;; amdgpu-corpus repo=ggml-org/llama.cpp kind=compiled arch=gfx950 opt=O3
	.amdgcn_target "amdgcn-amd-amdhsa--gfx950"
	.amdhsa_code_object_version 6
	.text
	.p2align	2                               ; -- Begin function __ockl_printf_append_string_n
	.type	__ockl_printf_append_string_n,@function
__ockl_printf_append_string_n:          ; @__ockl_printf_append_string_n
; %bb.0:
	s_waitcnt vmcnt(0) expcnt(0) lgkmcnt(0)
	v_mov_b32_e32 v7, v3
	v_mov_b32_e32 v6, v2
                                        ; kill: def $vgpr1 killed $vgpr1 def $vgpr0
	v_mov_b32_e32 v2, v0
	s_mov_b64 s[2:3], 0
	v_cmp_ne_u64_e32 vcc, 0, v[6:7]
	v_mbcnt_lo_u32_b32 v3, -1, 0
	s_and_saveexec_b64 s[0:1], vcc
	s_xor_b64 s[4:5], exec, s[0:1]
	s_cbranch_execz .LBB0_86
; %bb.1:
	s_load_dwordx2 s[6:7], s[8:9], 0x50
	v_and_b32_e32 v28, 2, v2
	s_mov_b32 s18, 0
	v_mov_b32_e32 v31, 0
	v_and_b32_e32 v0, -3, v2
	v_mbcnt_hi_u32_b32 v32, -1, v3
	s_movk_i32 s19, 0x1e0
	v_mov_b32_e32 v10, 2
	v_mov_b32_e32 v11, 1
	s_branch .LBB0_3
.LBB0_2:                                ;   in Loop: Header=BB0_3 Depth=1
	s_or_b64 exec, exec, s[12:13]
	v_sub_co_u32_e32 v4, vcc, v4, v34
	v_lshl_add_u64 v[6:7], v[6:7], 0, v[34:35]
	s_nop 0
	v_subb_co_u32_e32 v5, vcc, v5, v35, vcc
	v_cmp_eq_u64_e32 vcc, 0, v[4:5]
	s_or_b64 s[2:3], vcc, s[2:3]
	s_andn2_b64 exec, exec, s[2:3]
	s_cbranch_execz .LBB0_85
.LBB0_3:                                ; =>This Loop Header: Depth=1
                                        ;     Child Loop BB0_6 Depth 2
                                        ;     Child Loop BB0_14 Depth 2
	;; [unrolled: 1-line block ×11, first 2 shown]
	v_cmp_gt_u64_e32 vcc, 56, v[4:5]
	v_lshl_add_u64 v[14:15], v[6:7], 0, 8
	s_nop 0
	v_cndmask_b32_e32 v35, 0, v5, vcc
	v_cndmask_b32_e32 v34, 56, v4, vcc
	v_cmp_gt_u64_e32 vcc, 8, v[4:5]
	s_and_saveexec_b64 s[0:1], vcc
	s_xor_b64 s[0:1], exec, s[0:1]
	s_cbranch_execz .LBB0_9
; %bb.4:                                ;   in Loop: Header=BB0_3 Depth=1
	v_mov_b64_e32 v[2:3], 0
	v_cmp_ne_u64_e32 vcc, 0, v[4:5]
	s_and_saveexec_b64 s[10:11], vcc
	s_cbranch_execz .LBB0_8
; %bb.5:                                ;   in Loop: Header=BB0_3 Depth=1
	v_lshlrev_b64 v[8:9], 3, v[34:35]
	s_mov_b64 s[12:13], 0
	v_mov_b64_e32 v[2:3], 0
	v_mov_b64_e32 v[12:13], v[6:7]
	s_mov_b64 s[14:15], 0
.LBB0_6:                                ;   Parent Loop BB0_3 Depth=1
                                        ; =>  This Inner Loop Header: Depth=2
	global_load_ubyte v9, v[12:13], off
	v_mov_b32_e32 v15, s18
	v_lshl_add_u64 v[12:13], v[12:13], 0, 1
	s_waitcnt vmcnt(0)
	v_and_b32_e32 v14, 0xffff, v9
	v_lshlrev_b64 v[14:15], s14, v[14:15]
	s_add_u32 s14, s14, 8
	s_addc_u32 s15, s15, 0
	v_cmp_eq_u32_e32 vcc, s14, v8
	v_or_b32_e32 v3, v15, v3
	s_or_b64 s[12:13], vcc, s[12:13]
	v_or_b32_e32 v2, v14, v2
	s_andn2_b64 exec, exec, s[12:13]
	s_cbranch_execnz .LBB0_6
; %bb.7:                                ;   in Loop: Header=BB0_3 Depth=1
	s_or_b64 exec, exec, s[12:13]
.LBB0_8:                                ;   in Loop: Header=BB0_3 Depth=1
	s_or_b64 exec, exec, s[10:11]
	v_mov_b64_e32 v[14:15], v[6:7]
.LBB0_9:                                ;   in Loop: Header=BB0_3 Depth=1
	s_or_saveexec_b64 s[0:1], s[0:1]
	v_mov_b32_e32 v16, 0
	s_xor_b64 exec, exec, s[0:1]
	s_cbranch_execz .LBB0_11
; %bb.10:                               ;   in Loop: Header=BB0_3 Depth=1
	global_load_dwordx2 v[2:3], v[6:7], off
	v_add_u32_e32 v16, -8, v34
.LBB0_11:                               ;   in Loop: Header=BB0_3 Depth=1
	s_or_b64 exec, exec, s[0:1]
	v_cmp_gt_u32_e32 vcc, 8, v16
	v_lshl_add_u64 v[8:9], v[14:15], 0, 8
                                        ; implicit-def: $vgpr12_vgpr13
	s_and_saveexec_b64 s[0:1], vcc
	s_xor_b64 s[0:1], exec, s[0:1]
	s_cbranch_execz .LBB0_17
; %bb.12:                               ;   in Loop: Header=BB0_3 Depth=1
	v_cmp_ne_u32_e32 vcc, 0, v16
	v_mov_b64_e32 v[12:13], 0
	s_and_saveexec_b64 s[10:11], vcc
	s_cbranch_execz .LBB0_16
; %bb.13:                               ;   in Loop: Header=BB0_3 Depth=1
	s_mov_b64 s[12:13], 0
	v_mov_b64_e32 v[12:13], 0
	s_mov_b64 s[14:15], 0
	s_mov_b64 s[16:17], 0
.LBB0_14:                               ;   Parent Loop BB0_3 Depth=1
                                        ; =>  This Inner Loop Header: Depth=2
	v_lshl_add_u64 v[8:9], v[14:15], 0, s[16:17]
	global_load_ubyte v8, v[8:9], off
	s_add_u32 s16, s16, 1
	v_mov_b32_e32 v9, s18
	s_addc_u32 s17, s17, 0
	v_cmp_eq_u32_e32 vcc, s16, v16
	s_waitcnt vmcnt(0)
	v_and_b32_e32 v8, 0xffff, v8
	v_lshlrev_b64 v[8:9], s14, v[8:9]
	s_add_u32 s14, s14, 8
	s_addc_u32 s15, s15, 0
	v_or_b32_e32 v13, v9, v13
	s_or_b64 s[12:13], vcc, s[12:13]
	v_or_b32_e32 v12, v8, v12
	s_andn2_b64 exec, exec, s[12:13]
	s_cbranch_execnz .LBB0_14
; %bb.15:                               ;   in Loop: Header=BB0_3 Depth=1
	s_or_b64 exec, exec, s[12:13]
.LBB0_16:                               ;   in Loop: Header=BB0_3 Depth=1
	s_or_b64 exec, exec, s[10:11]
	v_mov_b64_e32 v[8:9], v[14:15]
                                        ; implicit-def: $vgpr16
.LBB0_17:                               ;   in Loop: Header=BB0_3 Depth=1
	s_or_saveexec_b64 s[0:1], s[0:1]
	v_mov_b32_e32 v17, 0
	s_xor_b64 exec, exec, s[0:1]
	s_cbranch_execz .LBB0_19
; %bb.18:                               ;   in Loop: Header=BB0_3 Depth=1
	global_load_dwordx2 v[12:13], v[14:15], off
	v_add_u32_e32 v17, -8, v16
.LBB0_19:                               ;   in Loop: Header=BB0_3 Depth=1
	s_or_b64 exec, exec, s[0:1]
	v_cmp_gt_u32_e32 vcc, 8, v17
	v_lshl_add_u64 v[18:19], v[8:9], 0, 8
	s_and_saveexec_b64 s[0:1], vcc
	s_xor_b64 s[0:1], exec, s[0:1]
	s_cbranch_execz .LBB0_25
; %bb.20:                               ;   in Loop: Header=BB0_3 Depth=1
	v_cmp_ne_u32_e32 vcc, 0, v17
	v_mov_b64_e32 v[14:15], 0
	s_and_saveexec_b64 s[10:11], vcc
	s_cbranch_execz .LBB0_24
; %bb.21:                               ;   in Loop: Header=BB0_3 Depth=1
	s_mov_b64 s[12:13], 0
	v_mov_b64_e32 v[14:15], 0
	s_mov_b64 s[14:15], 0
	s_mov_b64 s[16:17], 0
.LBB0_22:                               ;   Parent Loop BB0_3 Depth=1
                                        ; =>  This Inner Loop Header: Depth=2
	v_lshl_add_u64 v[18:19], v[8:9], 0, s[16:17]
	global_load_ubyte v16, v[18:19], off
	s_add_u32 s16, s16, 1
	v_mov_b32_e32 v19, s18
	s_addc_u32 s17, s17, 0
	v_cmp_eq_u32_e32 vcc, s16, v17
	s_waitcnt vmcnt(0)
	v_and_b32_e32 v18, 0xffff, v16
	v_lshlrev_b64 v[18:19], s14, v[18:19]
	s_add_u32 s14, s14, 8
	s_addc_u32 s15, s15, 0
	v_or_b32_e32 v15, v19, v15
	s_or_b64 s[12:13], vcc, s[12:13]
	v_or_b32_e32 v14, v18, v14
	s_andn2_b64 exec, exec, s[12:13]
	s_cbranch_execnz .LBB0_22
; %bb.23:                               ;   in Loop: Header=BB0_3 Depth=1
	s_or_b64 exec, exec, s[12:13]
.LBB0_24:                               ;   in Loop: Header=BB0_3 Depth=1
	s_or_b64 exec, exec, s[10:11]
	v_mov_b64_e32 v[18:19], v[8:9]
                                        ; implicit-def: $vgpr17
.LBB0_25:                               ;   in Loop: Header=BB0_3 Depth=1
	s_or_saveexec_b64 s[0:1], s[0:1]
	v_mov_b32_e32 v20, 0
	s_xor_b64 exec, exec, s[0:1]
	s_cbranch_execz .LBB0_27
; %bb.26:                               ;   in Loop: Header=BB0_3 Depth=1
	global_load_dwordx2 v[14:15], v[8:9], off
	v_add_u32_e32 v20, -8, v17
.LBB0_27:                               ;   in Loop: Header=BB0_3 Depth=1
	s_or_b64 exec, exec, s[0:1]
	v_cmp_gt_u32_e32 vcc, 8, v20
	v_lshl_add_u64 v[8:9], v[18:19], 0, 8
                                        ; implicit-def: $vgpr16_vgpr17
	s_and_saveexec_b64 s[0:1], vcc
	s_xor_b64 s[0:1], exec, s[0:1]
	s_cbranch_execz .LBB0_33
; %bb.28:                               ;   in Loop: Header=BB0_3 Depth=1
	v_cmp_ne_u32_e32 vcc, 0, v20
	v_mov_b64_e32 v[16:17], 0
	s_and_saveexec_b64 s[10:11], vcc
	s_cbranch_execz .LBB0_32
; %bb.29:                               ;   in Loop: Header=BB0_3 Depth=1
	s_mov_b64 s[12:13], 0
	v_mov_b64_e32 v[16:17], 0
	s_mov_b64 s[14:15], 0
	s_mov_b64 s[16:17], 0
.LBB0_30:                               ;   Parent Loop BB0_3 Depth=1
                                        ; =>  This Inner Loop Header: Depth=2
	v_lshl_add_u64 v[8:9], v[18:19], 0, s[16:17]
	global_load_ubyte v8, v[8:9], off
	s_add_u32 s16, s16, 1
	v_mov_b32_e32 v9, s18
	s_addc_u32 s17, s17, 0
	v_cmp_eq_u32_e32 vcc, s16, v20
	s_waitcnt vmcnt(0)
	v_and_b32_e32 v8, 0xffff, v8
	v_lshlrev_b64 v[8:9], s14, v[8:9]
	s_add_u32 s14, s14, 8
	s_addc_u32 s15, s15, 0
	v_or_b32_e32 v17, v9, v17
	s_or_b64 s[12:13], vcc, s[12:13]
	v_or_b32_e32 v16, v8, v16
	s_andn2_b64 exec, exec, s[12:13]
	s_cbranch_execnz .LBB0_30
; %bb.31:                               ;   in Loop: Header=BB0_3 Depth=1
	s_or_b64 exec, exec, s[12:13]
.LBB0_32:                               ;   in Loop: Header=BB0_3 Depth=1
	s_or_b64 exec, exec, s[10:11]
	v_mov_b64_e32 v[8:9], v[18:19]
                                        ; implicit-def: $vgpr20
.LBB0_33:                               ;   in Loop: Header=BB0_3 Depth=1
	s_or_saveexec_b64 s[0:1], s[0:1]
	v_mov_b32_e32 v21, 0
	s_xor_b64 exec, exec, s[0:1]
	s_cbranch_execz .LBB0_35
; %bb.34:                               ;   in Loop: Header=BB0_3 Depth=1
	global_load_dwordx2 v[16:17], v[18:19], off
	v_add_u32_e32 v21, -8, v20
.LBB0_35:                               ;   in Loop: Header=BB0_3 Depth=1
	s_or_b64 exec, exec, s[0:1]
	v_cmp_gt_u32_e32 vcc, 8, v21
	v_lshl_add_u64 v[22:23], v[8:9], 0, 8
	s_and_saveexec_b64 s[0:1], vcc
	s_xor_b64 s[0:1], exec, s[0:1]
	s_cbranch_execz .LBB0_41
; %bb.36:                               ;   in Loop: Header=BB0_3 Depth=1
	v_cmp_ne_u32_e32 vcc, 0, v21
	v_mov_b64_e32 v[18:19], 0
	s_and_saveexec_b64 s[10:11], vcc
	s_cbranch_execz .LBB0_40
; %bb.37:                               ;   in Loop: Header=BB0_3 Depth=1
	s_mov_b64 s[12:13], 0
	v_mov_b64_e32 v[18:19], 0
	s_mov_b64 s[14:15], 0
	s_mov_b64 s[16:17], 0
.LBB0_38:                               ;   Parent Loop BB0_3 Depth=1
                                        ; =>  This Inner Loop Header: Depth=2
	v_lshl_add_u64 v[22:23], v[8:9], 0, s[16:17]
	global_load_ubyte v20, v[22:23], off
	s_add_u32 s16, s16, 1
	v_mov_b32_e32 v23, s18
	s_addc_u32 s17, s17, 0
	v_cmp_eq_u32_e32 vcc, s16, v21
	s_waitcnt vmcnt(0)
	v_and_b32_e32 v22, 0xffff, v20
	v_lshlrev_b64 v[22:23], s14, v[22:23]
	s_add_u32 s14, s14, 8
	s_addc_u32 s15, s15, 0
	v_or_b32_e32 v19, v23, v19
	s_or_b64 s[12:13], vcc, s[12:13]
	v_or_b32_e32 v18, v22, v18
	s_andn2_b64 exec, exec, s[12:13]
	s_cbranch_execnz .LBB0_38
; %bb.39:                               ;   in Loop: Header=BB0_3 Depth=1
	s_or_b64 exec, exec, s[12:13]
.LBB0_40:                               ;   in Loop: Header=BB0_3 Depth=1
	s_or_b64 exec, exec, s[10:11]
	v_mov_b64_e32 v[22:23], v[8:9]
                                        ; implicit-def: $vgpr21
.LBB0_41:                               ;   in Loop: Header=BB0_3 Depth=1
	s_or_saveexec_b64 s[0:1], s[0:1]
	v_mov_b32_e32 v24, 0
	s_xor_b64 exec, exec, s[0:1]
	s_cbranch_execz .LBB0_43
; %bb.42:                               ;   in Loop: Header=BB0_3 Depth=1
	global_load_dwordx2 v[18:19], v[8:9], off
	v_add_u32_e32 v24, -8, v21
.LBB0_43:                               ;   in Loop: Header=BB0_3 Depth=1
	s_or_b64 exec, exec, s[0:1]
	v_cmp_gt_u32_e32 vcc, 8, v24
	v_lshl_add_u64 v[8:9], v[22:23], 0, 8
                                        ; implicit-def: $vgpr20_vgpr21
	s_and_saveexec_b64 s[0:1], vcc
	s_xor_b64 s[0:1], exec, s[0:1]
	s_cbranch_execz .LBB0_49
; %bb.44:                               ;   in Loop: Header=BB0_3 Depth=1
	v_cmp_ne_u32_e32 vcc, 0, v24
	v_mov_b64_e32 v[20:21], 0
	s_and_saveexec_b64 s[10:11], vcc
	s_cbranch_execz .LBB0_48
; %bb.45:                               ;   in Loop: Header=BB0_3 Depth=1
	s_mov_b64 s[12:13], 0
	v_mov_b64_e32 v[20:21], 0
	s_mov_b64 s[14:15], 0
	s_mov_b64 s[16:17], 0
.LBB0_46:                               ;   Parent Loop BB0_3 Depth=1
                                        ; =>  This Inner Loop Header: Depth=2
	v_lshl_add_u64 v[8:9], v[22:23], 0, s[16:17]
	global_load_ubyte v8, v[8:9], off
	s_add_u32 s16, s16, 1
	v_mov_b32_e32 v9, s18
	s_addc_u32 s17, s17, 0
	v_cmp_eq_u32_e32 vcc, s16, v24
	s_waitcnt vmcnt(0)
	v_and_b32_e32 v8, 0xffff, v8
	v_lshlrev_b64 v[8:9], s14, v[8:9]
	s_add_u32 s14, s14, 8
	s_addc_u32 s15, s15, 0
	v_or_b32_e32 v21, v9, v21
	s_or_b64 s[12:13], vcc, s[12:13]
	v_or_b32_e32 v20, v8, v20
	s_andn2_b64 exec, exec, s[12:13]
	s_cbranch_execnz .LBB0_46
; %bb.47:                               ;   in Loop: Header=BB0_3 Depth=1
	s_or_b64 exec, exec, s[12:13]
.LBB0_48:                               ;   in Loop: Header=BB0_3 Depth=1
	s_or_b64 exec, exec, s[10:11]
	v_mov_b64_e32 v[8:9], v[22:23]
                                        ; implicit-def: $vgpr24
.LBB0_49:                               ;   in Loop: Header=BB0_3 Depth=1
	s_or_saveexec_b64 s[0:1], s[0:1]
	v_mov_b32_e32 v25, 0
	s_xor_b64 exec, exec, s[0:1]
	s_cbranch_execz .LBB0_51
; %bb.50:                               ;   in Loop: Header=BB0_3 Depth=1
	global_load_dwordx2 v[20:21], v[22:23], off
	v_add_u32_e32 v25, -8, v24
.LBB0_51:                               ;   in Loop: Header=BB0_3 Depth=1
	s_or_b64 exec, exec, s[0:1]
	v_cmp_gt_u32_e32 vcc, 8, v25
	s_and_saveexec_b64 s[0:1], vcc
	s_xor_b64 s[0:1], exec, s[0:1]
	s_cbranch_execz .LBB0_57
; %bb.52:                               ;   in Loop: Header=BB0_3 Depth=1
	v_cmp_ne_u32_e32 vcc, 0, v25
	v_mov_b64_e32 v[22:23], 0
	s_and_saveexec_b64 s[10:11], vcc
	s_cbranch_execz .LBB0_56
; %bb.53:                               ;   in Loop: Header=BB0_3 Depth=1
	s_mov_b64 s[12:13], 0
	v_mov_b64_e32 v[22:23], 0
	s_mov_b64 s[14:15], 0
.LBB0_54:                               ;   Parent Loop BB0_3 Depth=1
                                        ; =>  This Inner Loop Header: Depth=2
	global_load_ubyte v24, v[8:9], off
	v_mov_b32_e32 v27, s18
	v_add_u32_e32 v25, -1, v25
	v_cmp_eq_u32_e32 vcc, 0, v25
	v_lshl_add_u64 v[8:9], v[8:9], 0, 1
	s_waitcnt vmcnt(0)
	v_and_b32_e32 v26, 0xffff, v24
	v_lshlrev_b64 v[26:27], s14, v[26:27]
	s_add_u32 s14, s14, 8
	s_addc_u32 s15, s15, 0
	v_or_b32_e32 v23, v27, v23
	s_or_b64 s[12:13], vcc, s[12:13]
	v_or_b32_e32 v22, v26, v22
	s_andn2_b64 exec, exec, s[12:13]
	s_cbranch_execnz .LBB0_54
; %bb.55:                               ;   in Loop: Header=BB0_3 Depth=1
	s_or_b64 exec, exec, s[12:13]
.LBB0_56:                               ;   in Loop: Header=BB0_3 Depth=1
	s_or_b64 exec, exec, s[10:11]
                                        ; implicit-def: $vgpr8_vgpr9
.LBB0_57:                               ;   in Loop: Header=BB0_3 Depth=1
	s_andn2_saveexec_b64 s[0:1], s[0:1]
	s_cbranch_execz .LBB0_59
; %bb.58:                               ;   in Loop: Header=BB0_3 Depth=1
	global_load_dwordx2 v[22:23], v[8:9], off
.LBB0_59:                               ;   in Loop: Header=BB0_3 Depth=1
	s_or_b64 exec, exec, s[0:1]
	v_readfirstlane_b32 s0, v32
	v_mov_b64_e32 v[8:9], 0
	s_nop 0
	v_cmp_eq_u32_e64 s[0:1], s0, v32
	s_and_saveexec_b64 s[10:11], s[0:1]
	s_cbranch_execz .LBB0_65
; %bb.60:                               ;   in Loop: Header=BB0_3 Depth=1
	s_waitcnt lgkmcnt(0)
	global_load_dwordx2 v[26:27], v31, s[6:7] offset:24 sc0 sc1
	s_waitcnt vmcnt(0)
	buffer_inv sc0 sc1
	global_load_dwordx2 v[8:9], v31, s[6:7] offset:40
	global_load_dwordx2 v[24:25], v31, s[6:7]
	s_waitcnt vmcnt(1)
	v_and_b32_e32 v8, v8, v26
	v_and_b32_e32 v9, v9, v27
	v_mul_lo_u32 v9, v9, 24
	v_mul_hi_u32 v29, v8, 24
	v_add_u32_e32 v9, v29, v9
	v_mul_lo_u32 v8, v8, 24
	s_waitcnt vmcnt(0)
	v_lshl_add_u64 v[8:9], v[24:25], 0, v[8:9]
	global_load_dwordx2 v[24:25], v[8:9], off sc0 sc1
	s_waitcnt vmcnt(0)
	global_atomic_cmpswap_x2 v[8:9], v31, v[24:27], s[6:7] offset:24 sc0 sc1
	s_waitcnt vmcnt(0)
	buffer_inv sc0 sc1
	v_cmp_ne_u64_e32 vcc, v[8:9], v[26:27]
	s_and_saveexec_b64 s[12:13], vcc
	s_cbranch_execz .LBB0_64
; %bb.61:                               ;   in Loop: Header=BB0_3 Depth=1
	s_mov_b64 s[14:15], 0
.LBB0_62:                               ;   Parent Loop BB0_3 Depth=1
                                        ; =>  This Inner Loop Header: Depth=2
	s_sleep 1
	global_load_dwordx2 v[24:25], v31, s[6:7] offset:40
	global_load_dwordx2 v[36:37], v31, s[6:7]
	v_mov_b64_e32 v[26:27], v[8:9]
	s_waitcnt vmcnt(1)
	v_and_b32_e32 v8, v24, v26
	s_waitcnt vmcnt(0)
	v_mad_u64_u32 v[8:9], s[16:17], v8, 24, v[36:37]
	v_and_b32_e32 v25, v25, v27
	v_mov_b32_e32 v24, v9
	v_mad_u64_u32 v[24:25], s[16:17], v25, 24, v[24:25]
	v_mov_b32_e32 v9, v24
	global_load_dwordx2 v[24:25], v[8:9], off sc0 sc1
	s_waitcnt vmcnt(0)
	global_atomic_cmpswap_x2 v[8:9], v31, v[24:27], s[6:7] offset:24 sc0 sc1
	s_waitcnt vmcnt(0)
	buffer_inv sc0 sc1
	v_cmp_eq_u64_e32 vcc, v[8:9], v[26:27]
	s_or_b64 s[14:15], vcc, s[14:15]
	s_andn2_b64 exec, exec, s[14:15]
	s_cbranch_execnz .LBB0_62
; %bb.63:                               ;   in Loop: Header=BB0_3 Depth=1
	s_or_b64 exec, exec, s[14:15]
.LBB0_64:                               ;   in Loop: Header=BB0_3 Depth=1
	s_or_b64 exec, exec, s[12:13]
.LBB0_65:                               ;   in Loop: Header=BB0_3 Depth=1
	s_or_b64 exec, exec, s[10:11]
	s_waitcnt lgkmcnt(0)
	global_load_dwordx2 v[36:37], v31, s[6:7] offset:40
	global_load_dwordx4 v[24:27], v31, s[6:7]
	v_readfirstlane_b32 s11, v9
	v_readfirstlane_b32 s10, v8
	s_mov_b64 s[12:13], exec
	s_waitcnt vmcnt(1)
	v_readfirstlane_b32 s14, v36
	v_readfirstlane_b32 s15, v37
	s_and_b64 s[14:15], s[14:15], s[10:11]
	s_mul_i32 s16, s15, 24
	s_mul_hi_u32 s17, s14, 24
	s_add_i32 s17, s17, s16
	s_mul_i32 s16, s14, 24
	s_waitcnt vmcnt(0)
	v_lshl_add_u64 v[36:37], v[24:25], 0, s[16:17]
	s_and_saveexec_b64 s[16:17], s[0:1]
	s_cbranch_execz .LBB0_67
; %bb.66:                               ;   in Loop: Header=BB0_3 Depth=1
	v_mov_b64_e32 v[8:9], s[12:13]
	global_store_dwordx4 v[36:37], v[8:11], off offset:8
.LBB0_67:                               ;   in Loop: Header=BB0_3 Depth=1
	s_or_b64 exec, exec, s[16:17]
	s_lshl_b64 s[12:13], s[14:15], 12
	v_cmp_gt_u64_e32 vcc, 57, v[4:5]
	v_lshl_add_u64 v[8:9], v[26:27], 0, s[12:13]
	v_and_b32_e32 v0, 0xffffff1f, v0
	v_cndmask_b32_e32 v26, 0, v28, vcc
	v_lshl_add_u32 v27, v34, 2, 28
	v_or_b32_e32 v0, v0, v26
	v_and_or_b32 v0, v27, s19, v0
	v_lshlrev_b32_e32 v30, 6, v32
	v_readfirstlane_b32 s12, v8
	v_readfirstlane_b32 s13, v9
	s_nop 4
	global_store_dwordx4 v30, v[0:3], s[12:13]
	global_store_dwordx4 v30, v[12:15], s[12:13] offset:16
	global_store_dwordx4 v30, v[16:19], s[12:13] offset:32
	;; [unrolled: 1-line block ×3, first 2 shown]
	s_and_saveexec_b64 s[12:13], s[0:1]
	s_cbranch_execz .LBB0_75
; %bb.68:                               ;   in Loop: Header=BB0_3 Depth=1
	global_load_dwordx2 v[16:17], v31, s[6:7] offset:32 sc0 sc1
	global_load_dwordx2 v[0:1], v31, s[6:7] offset:40
	v_mov_b32_e32 v14, s10
	v_mov_b32_e32 v15, s11
	s_waitcnt vmcnt(0)
	v_readfirstlane_b32 s14, v0
	v_readfirstlane_b32 s15, v1
	s_and_b64 s[14:15], s[14:15], s[10:11]
	s_mul_i32 s15, s15, 24
	s_mul_hi_u32 s16, s14, 24
	s_mul_i32 s14, s14, 24
	s_add_i32 s15, s16, s15
	v_lshl_add_u64 v[12:13], v[24:25], 0, s[14:15]
	global_store_dwordx2 v[12:13], v[16:17], off
	buffer_wbl2 sc0 sc1
	s_waitcnt vmcnt(0)
	global_atomic_cmpswap_x2 v[2:3], v31, v[14:17], s[6:7] offset:32 sc0 sc1
	s_waitcnt vmcnt(0)
	v_cmp_ne_u64_e32 vcc, v[2:3], v[16:17]
	s_and_saveexec_b64 s[14:15], vcc
	s_cbranch_execz .LBB0_71
; %bb.69:                               ;   in Loop: Header=BB0_3 Depth=1
	s_mov_b64 s[16:17], 0
.LBB0_70:                               ;   Parent Loop BB0_3 Depth=1
                                        ; =>  This Inner Loop Header: Depth=2
	s_sleep 1
	global_store_dwordx2 v[12:13], v[2:3], off
	v_mov_b32_e32 v0, s10
	v_mov_b32_e32 v1, s11
	buffer_wbl2 sc0 sc1
	s_waitcnt vmcnt(0)
	global_atomic_cmpswap_x2 v[0:1], v31, v[0:3], s[6:7] offset:32 sc0 sc1
	s_waitcnt vmcnt(0)
	v_cmp_eq_u64_e32 vcc, v[0:1], v[2:3]
	s_or_b64 s[16:17], vcc, s[16:17]
	v_mov_b64_e32 v[2:3], v[0:1]
	s_andn2_b64 exec, exec, s[16:17]
	s_cbranch_execnz .LBB0_70
.LBB0_71:                               ;   in Loop: Header=BB0_3 Depth=1
	s_or_b64 exec, exec, s[14:15]
	global_load_dwordx2 v[0:1], v31, s[6:7] offset:16
	s_mov_b64 s[16:17], exec
	v_mbcnt_lo_u32_b32 v2, s16, 0
	v_mbcnt_hi_u32_b32 v2, s17, v2
	v_cmp_eq_u32_e32 vcc, 0, v2
	s_and_saveexec_b64 s[14:15], vcc
	s_cbranch_execz .LBB0_73
; %bb.72:                               ;   in Loop: Header=BB0_3 Depth=1
	s_bcnt1_i32_b64 s16, s[16:17]
	v_mov_b32_e32 v2, s16
	v_mov_b32_e32 v3, v31
	buffer_wbl2 sc0 sc1
	s_waitcnt vmcnt(0)
	global_atomic_add_x2 v[0:1], v[2:3], off offset:8 sc1
.LBB0_73:                               ;   in Loop: Header=BB0_3 Depth=1
	s_or_b64 exec, exec, s[14:15]
	s_waitcnt vmcnt(0)
	global_load_dwordx2 v[2:3], v[0:1], off offset:16
	s_waitcnt vmcnt(0)
	v_cmp_eq_u64_e32 vcc, 0, v[2:3]
	s_cbranch_vccnz .LBB0_75
; %bb.74:                               ;   in Loop: Header=BB0_3 Depth=1
	global_load_dword v0, v[0:1], off offset:24
	v_mov_b32_e32 v1, v31
	s_waitcnt vmcnt(0)
	v_readfirstlane_b32 s14, v0
	s_and_b32 m0, s14, 0xffffff
	buffer_wbl2 sc0 sc1
	global_store_dwordx2 v[2:3], v[0:1], off sc0 sc1
	s_sendmsg sendmsg(MSG_INTERRUPT)
.LBB0_75:                               ;   in Loop: Header=BB0_3 Depth=1
	s_or_b64 exec, exec, s[12:13]
	v_lshl_add_u64 v[0:1], v[8:9], 0, v[30:31]
	s_branch .LBB0_79
.LBB0_76:                               ;   in Loop: Header=BB0_79 Depth=2
	s_or_b64 exec, exec, s[12:13]
	v_readfirstlane_b32 s12, v2
	s_cmp_eq_u32 s12, 0
	s_cbranch_scc1 .LBB0_78
; %bb.77:                               ;   in Loop: Header=BB0_79 Depth=2
	s_sleep 1
	s_cbranch_execnz .LBB0_79
	s_branch .LBB0_81
.LBB0_78:                               ;   in Loop: Header=BB0_3 Depth=1
	s_branch .LBB0_81
.LBB0_79:                               ;   Parent Loop BB0_3 Depth=1
                                        ; =>  This Inner Loop Header: Depth=2
	v_mov_b32_e32 v2, 1
	s_and_saveexec_b64 s[12:13], s[0:1]
	s_cbranch_execz .LBB0_76
; %bb.80:                               ;   in Loop: Header=BB0_79 Depth=2
	global_load_dword v2, v[36:37], off offset:20 sc0 sc1
	s_waitcnt vmcnt(0)
	buffer_inv sc0 sc1
	v_and_b32_e32 v2, 1, v2
	s_branch .LBB0_76
.LBB0_81:                               ;   in Loop: Header=BB0_3 Depth=1
	global_load_dwordx2 v[0:1], v[0:1], off
	s_and_saveexec_b64 s[12:13], s[0:1]
	s_cbranch_execz .LBB0_2
; %bb.82:                               ;   in Loop: Header=BB0_3 Depth=1
	global_load_dwordx2 v[2:3], v31, s[6:7] offset:40
	global_load_dwordx2 v[16:17], v31, s[6:7] offset:24 sc0 sc1
	global_load_dwordx2 v[8:9], v31, s[6:7]
	s_waitcnt vmcnt(2)
	v_readfirstlane_b32 s14, v2
	v_readfirstlane_b32 s15, v3
	s_add_u32 s16, s14, 1
	s_addc_u32 s17, s15, 0
	s_add_u32 s0, s16, s10
	s_addc_u32 s1, s17, s11
	s_cmp_eq_u64 s[0:1], 0
	s_cselect_b32 s1, s17, s1
	s_cselect_b32 s0, s16, s0
	s_and_b64 s[10:11], s[0:1], s[14:15]
	s_mul_i32 s11, s11, 24
	s_mul_hi_u32 s14, s10, 24
	s_mul_i32 s10, s10, 24
	s_add_i32 s11, s14, s11
	s_waitcnt vmcnt(0)
	v_lshl_add_u64 v[2:3], v[8:9], 0, s[10:11]
	v_mov_b32_e32 v14, s0
	global_store_dwordx2 v[2:3], v[16:17], off
	v_mov_b32_e32 v15, s1
	buffer_wbl2 sc0 sc1
	s_waitcnt vmcnt(0)
	global_atomic_cmpswap_x2 v[14:15], v31, v[14:17], s[6:7] offset:24 sc0 sc1
	s_waitcnt vmcnt(0)
	v_cmp_ne_u64_e32 vcc, v[14:15], v[16:17]
	s_and_b64 exec, exec, vcc
	s_cbranch_execz .LBB0_2
; %bb.83:                               ;   in Loop: Header=BB0_3 Depth=1
	s_mov_b64 s[10:11], 0
.LBB0_84:                               ;   Parent Loop BB0_3 Depth=1
                                        ; =>  This Inner Loop Header: Depth=2
	s_sleep 1
	global_store_dwordx2 v[2:3], v[14:15], off
	v_mov_b32_e32 v12, s0
	v_mov_b32_e32 v13, s1
	buffer_wbl2 sc0 sc1
	s_waitcnt vmcnt(0)
	global_atomic_cmpswap_x2 v[8:9], v31, v[12:15], s[6:7] offset:24 sc0 sc1
	s_waitcnt vmcnt(0)
	v_cmp_eq_u64_e32 vcc, v[8:9], v[14:15]
	s_or_b64 s[10:11], vcc, s[10:11]
	v_mov_b64_e32 v[14:15], v[8:9]
	s_andn2_b64 exec, exec, s[10:11]
	s_cbranch_execnz .LBB0_84
	s_branch .LBB0_2
.LBB0_85:
	s_or_b64 exec, exec, s[2:3]
                                        ; implicit-def: $vgpr2
                                        ; implicit-def: $vgpr3
.LBB0_86:
	s_andn2_saveexec_b64 s[2:3], s[4:5]
	s_cbranch_execz .LBB0_109
; %bb.87:
	s_load_dwordx2 s[4:5], s[8:9], 0x50
	v_mbcnt_hi_u32_b32 v3, -1, v3
	v_mov_b64_e32 v[8:9], 0
	v_readfirstlane_b32 s0, v3
	s_nop 1
	v_cmp_eq_u32_e64 s[0:1], s0, v3
	s_and_saveexec_b64 s[6:7], s[0:1]
	s_cbranch_execz .LBB0_93
; %bb.88:
	s_waitcnt vmcnt(0)
	v_mov_b32_e32 v0, 0
	s_waitcnt lgkmcnt(0)
	global_load_dwordx2 v[6:7], v0, s[4:5] offset:24 sc0 sc1
	s_waitcnt vmcnt(0)
	buffer_inv sc0 sc1
	global_load_dwordx2 v[4:5], v0, s[4:5] offset:40
	global_load_dwordx2 v[8:9], v0, s[4:5]
	s_waitcnt vmcnt(1)
	v_and_b32_e32 v4, v4, v6
	v_and_b32_e32 v5, v5, v7
	v_mul_lo_u32 v5, v5, 24
	v_mul_hi_u32 v10, v4, 24
	v_add_u32_e32 v5, v10, v5
	v_mul_lo_u32 v4, v4, 24
	s_waitcnt vmcnt(0)
	v_lshl_add_u64 v[4:5], v[8:9], 0, v[4:5]
	global_load_dwordx2 v[4:5], v[4:5], off sc0 sc1
	s_waitcnt vmcnt(0)
	global_atomic_cmpswap_x2 v[8:9], v0, v[4:7], s[4:5] offset:24 sc0 sc1
	s_waitcnt vmcnt(0)
	buffer_inv sc0 sc1
	v_cmp_ne_u64_e32 vcc, v[8:9], v[6:7]
	s_and_saveexec_b64 s[8:9], vcc
	s_cbranch_execz .LBB0_92
; %bb.89:
	s_mov_b64 s[10:11], 0
.LBB0_90:                               ; =>This Inner Loop Header: Depth=1
	s_sleep 1
	global_load_dwordx2 v[4:5], v0, s[4:5] offset:40
	global_load_dwordx2 v[10:11], v0, s[4:5]
	v_mov_b64_e32 v[6:7], v[8:9]
	s_waitcnt vmcnt(1)
	v_and_b32_e32 v4, v4, v6
	v_and_b32_e32 v9, v5, v7
	s_waitcnt vmcnt(0)
	v_mad_u64_u32 v[4:5], s[12:13], v4, 24, v[10:11]
	v_mov_b32_e32 v8, v5
	v_mad_u64_u32 v[8:9], s[12:13], v9, 24, v[8:9]
	v_mov_b32_e32 v5, v8
	global_load_dwordx2 v[4:5], v[4:5], off sc0 sc1
	s_waitcnt vmcnt(0)
	global_atomic_cmpswap_x2 v[8:9], v0, v[4:7], s[4:5] offset:24 sc0 sc1
	s_waitcnt vmcnt(0)
	buffer_inv sc0 sc1
	v_cmp_eq_u64_e32 vcc, v[8:9], v[6:7]
	s_or_b64 s[10:11], vcc, s[10:11]
	s_andn2_b64 exec, exec, s[10:11]
	s_cbranch_execnz .LBB0_90
; %bb.91:
	s_or_b64 exec, exec, s[10:11]
.LBB0_92:
	s_or_b64 exec, exec, s[8:9]
.LBB0_93:
	s_or_b64 exec, exec, s[6:7]
	v_mov_b32_e32 v11, 0
	s_waitcnt lgkmcnt(0)
	global_load_dwordx2 v[12:13], v11, s[4:5] offset:40
	global_load_dwordx4 v[4:7], v11, s[4:5]
	v_readfirstlane_b32 s7, v9
	v_readfirstlane_b32 s6, v8
	s_mov_b64 s[8:9], exec
	s_waitcnt vmcnt(1)
	v_readfirstlane_b32 s10, v12
	v_readfirstlane_b32 s11, v13
	s_and_b64 s[10:11], s[10:11], s[6:7]
	s_mul_i32 s12, s11, 24
	s_mul_hi_u32 s13, s10, 24
	s_add_i32 s13, s13, s12
	s_mul_i32 s12, s10, 24
	s_waitcnt vmcnt(0)
	v_lshl_add_u64 v[8:9], v[4:5], 0, s[12:13]
	s_and_saveexec_b64 s[12:13], s[0:1]
	s_cbranch_execz .LBB0_95
; %bb.94:
	v_mov_b64_e32 v[12:13], s[8:9]
	v_mov_b32_e32 v14, 2
	v_mov_b32_e32 v15, 1
	global_store_dwordx4 v[8:9], v[12:15], off offset:8
.LBB0_95:
	s_or_b64 exec, exec, s[12:13]
	s_lshl_b64 s[8:9], s[10:11], 12
	v_lshl_add_u64 v[6:7], v[6:7], 0, s[8:9]
	s_movk_i32 s8, 0xff1f
	v_and_or_b32 v0, v2, s8, 32
	s_mov_b32 s8, 0
	v_lshlrev_b32_e32 v10, 6, v3
	v_mov_b32_e32 v2, v11
	v_mov_b32_e32 v3, v11
	v_readfirstlane_b32 s12, v6
	v_readfirstlane_b32 s13, v7
	s_mov_b32 s9, s8
	s_mov_b32 s10, s8
	;; [unrolled: 1-line block ×3, first 2 shown]
	s_nop 1
	global_store_dwordx4 v10, v[0:3], s[12:13]
	s_nop 1
	v_mov_b64_e32 v[0:1], s[8:9]
	v_mov_b64_e32 v[2:3], s[10:11]
	global_store_dwordx4 v10, v[0:3], s[12:13] offset:16
	global_store_dwordx4 v10, v[0:3], s[12:13] offset:32
	;; [unrolled: 1-line block ×3, first 2 shown]
	s_and_saveexec_b64 s[8:9], s[0:1]
	s_cbranch_execz .LBB0_103
; %bb.96:
	v_mov_b32_e32 v12, 0
	global_load_dwordx2 v[16:17], v12, s[4:5] offset:32 sc0 sc1
	global_load_dwordx2 v[0:1], v12, s[4:5] offset:40
	v_mov_b32_e32 v14, s6
	v_mov_b32_e32 v15, s7
	s_waitcnt vmcnt(0)
	v_and_b32_e32 v0, s6, v0
	v_and_b32_e32 v1, s7, v1
	v_mul_lo_u32 v1, v1, 24
	v_mul_hi_u32 v2, v0, 24
	v_mul_lo_u32 v0, v0, 24
	v_add_u32_e32 v1, v2, v1
	v_lshl_add_u64 v[4:5], v[4:5], 0, v[0:1]
	global_store_dwordx2 v[4:5], v[16:17], off
	buffer_wbl2 sc0 sc1
	s_waitcnt vmcnt(0)
	global_atomic_cmpswap_x2 v[2:3], v12, v[14:17], s[4:5] offset:32 sc0 sc1
	s_waitcnt vmcnt(0)
	v_cmp_ne_u64_e32 vcc, v[2:3], v[16:17]
	s_and_saveexec_b64 s[10:11], vcc
	s_cbranch_execz .LBB0_99
; %bb.97:
	s_mov_b64 s[12:13], 0
.LBB0_98:                               ; =>This Inner Loop Header: Depth=1
	s_sleep 1
	global_store_dwordx2 v[4:5], v[2:3], off
	v_mov_b32_e32 v0, s6
	v_mov_b32_e32 v1, s7
	buffer_wbl2 sc0 sc1
	s_waitcnt vmcnt(0)
	global_atomic_cmpswap_x2 v[0:1], v12, v[0:3], s[4:5] offset:32 sc0 sc1
	s_waitcnt vmcnt(0)
	v_cmp_eq_u64_e32 vcc, v[0:1], v[2:3]
	s_or_b64 s[12:13], vcc, s[12:13]
	v_mov_b64_e32 v[2:3], v[0:1]
	s_andn2_b64 exec, exec, s[12:13]
	s_cbranch_execnz .LBB0_98
.LBB0_99:
	s_or_b64 exec, exec, s[10:11]
	v_mov_b32_e32 v3, 0
	global_load_dwordx2 v[0:1], v3, s[4:5] offset:16
	s_mov_b64 s[10:11], exec
	v_mbcnt_lo_u32_b32 v2, s10, 0
	v_mbcnt_hi_u32_b32 v2, s11, v2
	v_cmp_eq_u32_e32 vcc, 0, v2
	s_and_saveexec_b64 s[12:13], vcc
	s_cbranch_execz .LBB0_101
; %bb.100:
	s_bcnt1_i32_b64 s10, s[10:11]
	v_mov_b32_e32 v2, s10
	buffer_wbl2 sc0 sc1
	s_waitcnt vmcnt(0)
	global_atomic_add_x2 v[0:1], v[2:3], off offset:8 sc1
.LBB0_101:
	s_or_b64 exec, exec, s[12:13]
	s_waitcnt vmcnt(0)
	global_load_dwordx2 v[2:3], v[0:1], off offset:16
	s_waitcnt vmcnt(0)
	v_cmp_eq_u64_e32 vcc, 0, v[2:3]
	s_cbranch_vccnz .LBB0_103
; %bb.102:
	global_load_dword v0, v[0:1], off offset:24
	v_mov_b32_e32 v1, 0
	s_waitcnt vmcnt(0)
	v_readfirstlane_b32 s10, v0
	s_and_b32 m0, s10, 0xffffff
	buffer_wbl2 sc0 sc1
	global_store_dwordx2 v[2:3], v[0:1], off sc0 sc1
	s_sendmsg sendmsg(MSG_INTERRUPT)
.LBB0_103:
	s_or_b64 exec, exec, s[8:9]
	v_lshl_add_u64 v[0:1], v[6:7], 0, v[10:11]
	s_branch .LBB0_107
.LBB0_104:                              ;   in Loop: Header=BB0_107 Depth=1
	s_or_b64 exec, exec, s[8:9]
	v_readfirstlane_b32 s8, v2
	s_cmp_eq_u32 s8, 0
	s_cbranch_scc1 .LBB0_106
; %bb.105:                              ;   in Loop: Header=BB0_107 Depth=1
	s_sleep 1
	s_cbranch_execnz .LBB0_107
	s_branch .LBB0_110
.LBB0_106:
	s_branch .LBB0_110
.LBB0_107:                              ; =>This Inner Loop Header: Depth=1
	v_mov_b32_e32 v2, 1
	s_and_saveexec_b64 s[8:9], s[0:1]
	s_cbranch_execz .LBB0_104
; %bb.108:                              ;   in Loop: Header=BB0_107 Depth=1
	global_load_dword v2, v[8:9], off offset:20 sc0 sc1
	s_waitcnt vmcnt(0)
	buffer_inv sc0 sc1
	v_and_b32_e32 v2, 1, v2
	s_branch .LBB0_104
.LBB0_109:
	s_or_b64 exec, exec, s[2:3]
	s_waitcnt vmcnt(0) lgkmcnt(0)
	s_setpc_b64 s[30:31]
.LBB0_110:
	global_load_dwordx2 v[0:1], v[0:1], off
	s_and_saveexec_b64 s[8:9], s[0:1]
	s_cbranch_execz .LBB0_113
; %bb.111:
	v_mov_b32_e32 v8, 0
	global_load_dwordx2 v[2:3], v8, s[4:5] offset:40
	global_load_dwordx2 v[12:13], v8, s[4:5] offset:24 sc0 sc1
	global_load_dwordx2 v[4:5], v8, s[4:5]
	s_waitcnt vmcnt(2)
	v_readfirstlane_b32 s10, v2
	v_readfirstlane_b32 s11, v3
	s_add_u32 s12, s10, 1
	s_addc_u32 s13, s11, 0
	s_add_u32 s0, s12, s6
	s_addc_u32 s1, s13, s7
	s_cmp_eq_u64 s[0:1], 0
	s_cselect_b32 s1, s13, s1
	s_cselect_b32 s0, s12, s0
	s_and_b64 s[6:7], s[0:1], s[10:11]
	s_mul_i32 s7, s7, 24
	s_mul_hi_u32 s10, s6, 24
	s_mul_i32 s6, s6, 24
	s_add_i32 s7, s10, s7
	s_waitcnt vmcnt(0)
	v_lshl_add_u64 v[6:7], v[4:5], 0, s[6:7]
	v_mov_b32_e32 v10, s0
	global_store_dwordx2 v[6:7], v[12:13], off
	v_mov_b32_e32 v11, s1
	buffer_wbl2 sc0 sc1
	s_waitcnt vmcnt(0)
	global_atomic_cmpswap_x2 v[4:5], v8, v[10:13], s[4:5] offset:24 sc0 sc1
	s_mov_b64 s[6:7], 0
	s_waitcnt vmcnt(0)
	v_cmp_ne_u64_e32 vcc, v[4:5], v[12:13]
	s_and_b64 exec, exec, vcc
	s_cbranch_execz .LBB0_113
.LBB0_112:                              ; =>This Inner Loop Header: Depth=1
	s_sleep 1
	global_store_dwordx2 v[6:7], v[4:5], off
	v_mov_b32_e32 v2, s0
	v_mov_b32_e32 v3, s1
	buffer_wbl2 sc0 sc1
	s_waitcnt vmcnt(0)
	global_atomic_cmpswap_x2 v[2:3], v8, v[2:5], s[4:5] offset:24 sc0 sc1
	s_waitcnt vmcnt(0)
	v_cmp_eq_u64_e32 vcc, v[2:3], v[4:5]
	s_or_b64 s[6:7], vcc, s[6:7]
	v_mov_b64_e32 v[4:5], v[2:3]
	s_andn2_b64 exec, exec, s[6:7]
	s_cbranch_execnz .LBB0_112
.LBB0_113:
	s_or_b64 exec, exec, s[8:9]
	s_or_b64 exec, exec, s[2:3]
	s_waitcnt vmcnt(0) lgkmcnt(0)
	s_setpc_b64 s[30:31]
.Lfunc_end0:
	.size	__ockl_printf_append_string_n, .Lfunc_end0-__ockl_printf_append_string_n
                                        ; -- End function
	.set .L__ockl_printf_append_string_n.num_vgpr, 38
	.set .L__ockl_printf_append_string_n.num_agpr, 0
	.set .L__ockl_printf_append_string_n.numbered_sgpr, 32
	.set .L__ockl_printf_append_string_n.num_named_barrier, 0
	.set .L__ockl_printf_append_string_n.private_seg_size, 0
	.set .L__ockl_printf_append_string_n.uses_vcc, 1
	.set .L__ockl_printf_append_string_n.uses_flat_scratch, 0
	.set .L__ockl_printf_append_string_n.has_dyn_sized_stack, 0
	.set .L__ockl_printf_append_string_n.has_recursion, 0
	.set .L__ockl_printf_append_string_n.has_indirect_call, 0
	.section	.AMDGPU.csdata,"",@progbits
; Function info:
; codeLenInByte = 3772
; TotalNumSgprs: 38
; NumVgprs: 38
; NumAgprs: 0
; TotalNumVgprs: 38
; ScratchSize: 0
; MemoryBound: 0
	.text
	.p2align	2                               ; -- Begin function __ockl_printf_append_args
	.type	__ockl_printf_append_args,@function
__ockl_printf_append_args:              ; @__ockl_printf_append_args
; %bb.0:
	s_waitcnt vmcnt(0) expcnt(0) lgkmcnt(0)
	s_load_dwordx2 s[2:3], s[8:9], 0x50
	v_mbcnt_lo_u32_b32 v5, -1, 0
	v_mbcnt_hi_u32_b32 v5, -1, v5
	v_mov_b64_e32 v[10:11], 0
	v_readfirstlane_b32 s0, v5
	s_nop 1
	v_cmp_eq_u32_e64 s[0:1], s0, v5
	s_and_saveexec_b64 s[4:5], s[0:1]
	s_cbranch_execz .LBB1_6
; %bb.1:
	v_mov_b32_e32 v6, 0
	s_waitcnt lgkmcnt(0)
	global_load_dwordx2 v[12:13], v6, s[2:3] offset:24 sc0 sc1
	s_waitcnt vmcnt(0)
	buffer_inv sc0 sc1
	global_load_dwordx2 v[8:9], v6, s[2:3] offset:40
	global_load_dwordx2 v[10:11], v6, s[2:3]
	s_waitcnt vmcnt(1)
	v_and_b32_e32 v7, v8, v12
	v_and_b32_e32 v8, v9, v13
	v_mul_lo_u32 v8, v8, 24
	v_mul_hi_u32 v9, v7, 24
	v_add_u32_e32 v9, v9, v8
	v_mul_lo_u32 v8, v7, 24
	s_waitcnt vmcnt(0)
	v_lshl_add_u64 v[8:9], v[10:11], 0, v[8:9]
	global_load_dwordx2 v[10:11], v[8:9], off sc0 sc1
	s_waitcnt vmcnt(0)
	global_atomic_cmpswap_x2 v[10:11], v6, v[10:13], s[2:3] offset:24 sc0 sc1
	s_waitcnt vmcnt(0)
	buffer_inv sc0 sc1
	v_cmp_ne_u64_e32 vcc, v[10:11], v[12:13]
	s_and_saveexec_b64 s[6:7], vcc
	s_cbranch_execz .LBB1_5
; %bb.2:
	s_mov_b64 s[8:9], 0
.LBB1_3:                                ; =>This Inner Loop Header: Depth=1
	s_sleep 1
	global_load_dwordx2 v[8:9], v6, s[2:3] offset:40
	global_load_dwordx2 v[14:15], v6, s[2:3]
	v_mov_b64_e32 v[12:13], v[10:11]
	s_waitcnt vmcnt(1)
	v_and_b32_e32 v8, v8, v12
	v_and_b32_e32 v7, v9, v13
	s_waitcnt vmcnt(0)
	v_mad_u64_u32 v[8:9], s[10:11], v8, 24, v[14:15]
	v_mov_b32_e32 v10, v9
	v_mad_u64_u32 v[10:11], s[10:11], v7, 24, v[10:11]
	v_mov_b32_e32 v9, v10
	global_load_dwordx2 v[10:11], v[8:9], off sc0 sc1
	s_waitcnt vmcnt(0)
	global_atomic_cmpswap_x2 v[10:11], v6, v[10:13], s[2:3] offset:24 sc0 sc1
	s_waitcnt vmcnt(0)
	buffer_inv sc0 sc1
	v_cmp_eq_u64_e32 vcc, v[10:11], v[12:13]
	s_or_b64 s[8:9], vcc, s[8:9]
	s_andn2_b64 exec, exec, s[8:9]
	s_cbranch_execnz .LBB1_3
; %bb.4:
	s_or_b64 exec, exec, s[8:9]
.LBB1_5:
	s_or_b64 exec, exec, s[6:7]
.LBB1_6:
	s_or_b64 exec, exec, s[4:5]
	v_mov_b32_e32 v14, 0
	s_waitcnt lgkmcnt(0)
	global_load_dwordx2 v[12:13], v14, s[2:3] offset:40
	global_load_dwordx4 v[6:9], v14, s[2:3]
	v_readfirstlane_b32 s5, v11
	v_readfirstlane_b32 s4, v10
	s_mov_b64 s[6:7], exec
	s_waitcnt vmcnt(1)
	v_readfirstlane_b32 s8, v12
	v_readfirstlane_b32 s9, v13
	s_and_b64 s[8:9], s[8:9], s[4:5]
	s_mul_i32 s10, s9, 24
	s_mul_hi_u32 s11, s8, 24
	s_add_i32 s11, s11, s10
	s_mul_i32 s10, s8, 24
	s_waitcnt vmcnt(0)
	v_lshl_add_u64 v[10:11], v[6:7], 0, s[10:11]
	s_and_saveexec_b64 s[10:11], s[0:1]
	s_cbranch_execz .LBB1_8
; %bb.7:
	v_mov_b64_e32 v[12:13], s[6:7]
	v_mov_b32_e32 v14, 2
	v_mov_b32_e32 v15, 1
	global_store_dwordx4 v[10:11], v[12:15], off offset:8
.LBB1_8:
	s_or_b64 exec, exec, s[10:11]
	s_lshl_b64 s[6:7], s[8:9], 12
	v_or_b32_e32 v12, 2, v0
	v_cmp_eq_u32_e32 vcc, 0, v4
	v_lshl_add_u64 v[8:9], v[8:9], 0, s[6:7]
	s_mov_b32 s8, 0
	v_cndmask_b32_e32 v0, v12, v0, vcc
	s_movk_i32 s6, 0xff1f
	v_and_or_b32 v0, v0, s6, 32
	v_lshlrev_b32_e32 v4, 6, v5
	v_readfirstlane_b32 s6, v8
	v_readfirstlane_b32 s7, v9
	s_mov_b32 s9, s8
	s_mov_b32 s10, s8
	s_mov_b32 s11, s8
	s_nop 1
	global_store_dwordx4 v4, v[0:3], s[6:7]
	s_nop 1
	v_mov_b64_e32 v[0:1], s[8:9]
	v_mov_b64_e32 v[2:3], s[10:11]
	global_store_dwordx4 v4, v[0:3], s[6:7] offset:16
	global_store_dwordx4 v4, v[0:3], s[6:7] offset:32
	;; [unrolled: 1-line block ×3, first 2 shown]
	s_and_saveexec_b64 s[6:7], s[0:1]
	s_cbranch_execz .LBB1_16
; %bb.9:
	v_mov_b32_e32 v8, 0
	global_load_dwordx2 v[14:15], v8, s[2:3] offset:32 sc0 sc1
	global_load_dwordx2 v[0:1], v8, s[2:3] offset:40
	v_mov_b32_e32 v12, s4
	v_mov_b32_e32 v13, s5
	s_waitcnt vmcnt(0)
	v_and_b32_e32 v0, s4, v0
	v_and_b32_e32 v1, s5, v1
	v_mul_lo_u32 v1, v1, 24
	v_mul_hi_u32 v2, v0, 24
	v_mul_lo_u32 v0, v0, 24
	v_add_u32_e32 v1, v2, v1
	v_lshl_add_u64 v[4:5], v[6:7], 0, v[0:1]
	global_store_dwordx2 v[4:5], v[14:15], off
	buffer_wbl2 sc0 sc1
	s_waitcnt vmcnt(0)
	global_atomic_cmpswap_x2 v[2:3], v8, v[12:15], s[2:3] offset:32 sc0 sc1
	s_waitcnt vmcnt(0)
	v_cmp_ne_u64_e32 vcc, v[2:3], v[14:15]
	s_and_saveexec_b64 s[8:9], vcc
	s_cbranch_execz .LBB1_12
; %bb.10:
	s_mov_b64 s[10:11], 0
.LBB1_11:                               ; =>This Inner Loop Header: Depth=1
	s_sleep 1
	global_store_dwordx2 v[4:5], v[2:3], off
	v_mov_b32_e32 v0, s4
	v_mov_b32_e32 v1, s5
	buffer_wbl2 sc0 sc1
	s_waitcnt vmcnt(0)
	global_atomic_cmpswap_x2 v[0:1], v8, v[0:3], s[2:3] offset:32 sc0 sc1
	s_waitcnt vmcnt(0)
	v_cmp_eq_u64_e32 vcc, v[0:1], v[2:3]
	s_or_b64 s[10:11], vcc, s[10:11]
	v_mov_b64_e32 v[2:3], v[0:1]
	s_andn2_b64 exec, exec, s[10:11]
	s_cbranch_execnz .LBB1_11
.LBB1_12:
	s_or_b64 exec, exec, s[8:9]
	v_mov_b32_e32 v3, 0
	global_load_dwordx2 v[0:1], v3, s[2:3] offset:16
	s_mov_b64 s[8:9], exec
	v_mbcnt_lo_u32_b32 v2, s8, 0
	v_mbcnt_hi_u32_b32 v2, s9, v2
	v_cmp_eq_u32_e32 vcc, 0, v2
	s_and_saveexec_b64 s[10:11], vcc
	s_cbranch_execz .LBB1_14
; %bb.13:
	s_bcnt1_i32_b64 s8, s[8:9]
	v_mov_b32_e32 v2, s8
	buffer_wbl2 sc0 sc1
	s_waitcnt vmcnt(0)
	global_atomic_add_x2 v[0:1], v[2:3], off offset:8 sc1
.LBB1_14:
	s_or_b64 exec, exec, s[10:11]
	s_waitcnt vmcnt(0)
	global_load_dwordx2 v[2:3], v[0:1], off offset:16
	s_waitcnt vmcnt(0)
	v_cmp_eq_u64_e32 vcc, 0, v[2:3]
	s_cbranch_vccnz .LBB1_16
; %bb.15:
	global_load_dword v0, v[0:1], off offset:24
	v_mov_b32_e32 v1, 0
	s_waitcnt vmcnt(0)
	v_readfirstlane_b32 s8, v0
	s_and_b32 m0, s8, 0xffffff
	buffer_wbl2 sc0 sc1
	global_store_dwordx2 v[2:3], v[0:1], off sc0 sc1
	s_sendmsg sendmsg(MSG_INTERRUPT)
.LBB1_16:
	s_or_b64 exec, exec, s[6:7]
	s_branch .LBB1_20
.LBB1_17:                               ;   in Loop: Header=BB1_20 Depth=1
	s_or_b64 exec, exec, s[6:7]
	v_readfirstlane_b32 s6, v0
	s_cmp_eq_u32 s6, 0
	s_cbranch_scc1 .LBB1_19
; %bb.18:                               ;   in Loop: Header=BB1_20 Depth=1
	s_sleep 1
	s_cbranch_execnz .LBB1_20
	s_branch .LBB1_22
.LBB1_19:
	s_branch .LBB1_22
.LBB1_20:                               ; =>This Inner Loop Header: Depth=1
	v_mov_b32_e32 v0, 1
	s_and_saveexec_b64 s[6:7], s[0:1]
	s_cbranch_execz .LBB1_17
; %bb.21:                               ;   in Loop: Header=BB1_20 Depth=1
	global_load_dword v0, v[10:11], off offset:20 sc0 sc1
	s_waitcnt vmcnt(0)
	buffer_inv sc0 sc1
	v_and_b32_e32 v0, 1, v0
	s_branch .LBB1_17
.LBB1_22:
	s_and_saveexec_b64 s[6:7], s[0:1]
	s_cbranch_execz .LBB1_25
; %bb.23:
	v_mov_b32_e32 v6, 0
	global_load_dwordx2 v[0:1], v6, s[2:3] offset:40
	global_load_dwordx2 v[10:11], v6, s[2:3] offset:24 sc0 sc1
	global_load_dwordx2 v[2:3], v6, s[2:3]
	s_waitcnt vmcnt(2)
	v_readfirstlane_b32 s8, v0
	v_readfirstlane_b32 s9, v1
	s_add_u32 s10, s8, 1
	s_addc_u32 s11, s9, 0
	s_add_u32 s0, s10, s4
	s_addc_u32 s1, s11, s5
	s_cmp_eq_u64 s[0:1], 0
	s_cselect_b32 s1, s11, s1
	s_cselect_b32 s0, s10, s0
	s_and_b64 s[4:5], s[0:1], s[8:9]
	s_mul_i32 s5, s5, 24
	s_mul_hi_u32 s8, s4, 24
	s_mul_i32 s4, s4, 24
	s_add_i32 s5, s8, s5
	s_waitcnt vmcnt(0)
	v_lshl_add_u64 v[4:5], v[2:3], 0, s[4:5]
	v_mov_b32_e32 v8, s0
	global_store_dwordx2 v[4:5], v[10:11], off
	v_mov_b32_e32 v9, s1
	buffer_wbl2 sc0 sc1
	s_waitcnt vmcnt(0)
	global_atomic_cmpswap_x2 v[2:3], v6, v[8:11], s[2:3] offset:24 sc0 sc1
	s_mov_b64 s[4:5], 0
	s_waitcnt vmcnt(0)
	v_cmp_ne_u64_e32 vcc, v[2:3], v[10:11]
	s_and_b64 exec, exec, vcc
	s_cbranch_execz .LBB1_25
.LBB1_24:                               ; =>This Inner Loop Header: Depth=1
	s_sleep 1
	global_store_dwordx2 v[4:5], v[2:3], off
	v_mov_b32_e32 v0, s0
	v_mov_b32_e32 v1, s1
	buffer_wbl2 sc0 sc1
	s_waitcnt vmcnt(0)
	global_atomic_cmpswap_x2 v[0:1], v6, v[0:3], s[2:3] offset:24 sc0 sc1
	s_waitcnt vmcnt(0)
	v_cmp_eq_u64_e32 vcc, v[0:1], v[2:3]
	s_or_b64 s[4:5], vcc, s[4:5]
	v_mov_b64_e32 v[2:3], v[0:1]
	s_andn2_b64 exec, exec, s[4:5]
	s_cbranch_execnz .LBB1_24
.LBB1_25:
	s_or_b64 exec, exec, s[6:7]
	s_waitcnt vmcnt(0) lgkmcnt(0)
	s_setpc_b64 s[30:31]
.Lfunc_end1:
	.size	__ockl_printf_append_args, .Lfunc_end1-__ockl_printf_append_args
                                        ; -- End function
	.set .L__ockl_printf_append_args.num_vgpr, 16
	.set .L__ockl_printf_append_args.num_agpr, 0
	.set .L__ockl_printf_append_args.numbered_sgpr, 32
	.set .L__ockl_printf_append_args.num_named_barrier, 0
	.set .L__ockl_printf_append_args.private_seg_size, 0
	.set .L__ockl_printf_append_args.uses_vcc, 1
	.set .L__ockl_printf_append_args.uses_flat_scratch, 0
	.set .L__ockl_printf_append_args.has_dyn_sized_stack, 0
	.set .L__ockl_printf_append_args.has_recursion, 0
	.set .L__ockl_printf_append_args.has_indirect_call, 0
	.section	.AMDGPU.csdata,"",@progbits
; Function info:
; codeLenInByte = 1216
; TotalNumSgprs: 38
; NumVgprs: 16
; NumAgprs: 0
; TotalNumVgprs: 16
; ScratchSize: 0
; MemoryBound: 0
	.text
	.p2align	2                               ; -- Begin function _ZL14no_device_codePKciS0_iS0_
	.type	_ZL14no_device_codePKciS0_iS0_,@function
_ZL14no_device_codePKciS0_iS0_:         ; @_ZL14no_device_codePKciS0_iS0_
; %bb.0:
	s_waitcnt vmcnt(0) expcnt(0) lgkmcnt(0)
	s_mov_b32 s22, s33
	s_mov_b32 s33, s32
	s_xor_saveexec_b64 s[0:1], -1
	scratch_store_dword off, v33, s33       ; 4-byte Folded Spill
	s_mov_b64 exec, s[0:1]
	v_writelane_b32 v33, s30, 0
	s_add_i32 s32, s32, 16
	s_nop 0
	v_writelane_b32 v33, s31, 1
	s_load_dwordx2 s[2:3], s[8:9], 0x50
	v_mov_b32_e32 v3, v2
	v_mov_b32_e32 v2, v1
	v_mbcnt_lo_u32_b32 v1, -1, 0
	v_mbcnt_hi_u32_b32 v1, -1, v1
	v_mov_b64_e32 v[8:9], 0
	v_readfirstlane_b32 s0, v1
	s_nop 1
	v_cmp_eq_u32_e64 s[0:1], s0, v1
	s_and_saveexec_b64 s[4:5], s[0:1]
	s_cbranch_execz .LBB2_6
; %bb.1:
	v_mov_b32_e32 v4, 0
	s_waitcnt lgkmcnt(0)
	global_load_dwordx2 v[10:11], v4, s[2:3] offset:24 sc0 sc1
	s_waitcnt vmcnt(0)
	buffer_inv sc0 sc1
	global_load_dwordx2 v[6:7], v4, s[2:3] offset:40
	global_load_dwordx2 v[8:9], v4, s[2:3]
	s_waitcnt vmcnt(1)
	v_and_b32_e32 v5, v6, v10
	v_and_b32_e32 v6, v7, v11
	v_mul_lo_u32 v6, v6, 24
	v_mul_hi_u32 v7, v5, 24
	v_add_u32_e32 v7, v7, v6
	v_mul_lo_u32 v6, v5, 24
	s_waitcnt vmcnt(0)
	v_lshl_add_u64 v[6:7], v[8:9], 0, v[6:7]
	global_load_dwordx2 v[8:9], v[6:7], off sc0 sc1
	s_waitcnt vmcnt(0)
	global_atomic_cmpswap_x2 v[8:9], v4, v[8:11], s[2:3] offset:24 sc0 sc1
	s_waitcnt vmcnt(0)
	buffer_inv sc0 sc1
	v_cmp_ne_u64_e32 vcc, v[8:9], v[10:11]
	s_and_saveexec_b64 s[6:7], vcc
	s_cbranch_execz .LBB2_5
; %bb.2:
	s_mov_b64 s[10:11], 0
.LBB2_3:                                ; =>This Inner Loop Header: Depth=1
	s_sleep 1
	global_load_dwordx2 v[6:7], v4, s[2:3] offset:40
	global_load_dwordx2 v[12:13], v4, s[2:3]
	v_mov_b64_e32 v[10:11], v[8:9]
	s_waitcnt vmcnt(1)
	v_and_b32_e32 v6, v6, v10
	v_and_b32_e32 v5, v7, v11
	s_waitcnt vmcnt(0)
	v_mad_u64_u32 v[6:7], s[12:13], v6, 24, v[12:13]
	v_mov_b32_e32 v8, v7
	v_mad_u64_u32 v[8:9], s[12:13], v5, 24, v[8:9]
	v_mov_b32_e32 v7, v8
	global_load_dwordx2 v[8:9], v[6:7], off sc0 sc1
	s_waitcnt vmcnt(0)
	global_atomic_cmpswap_x2 v[8:9], v4, v[8:11], s[2:3] offset:24 sc0 sc1
	s_waitcnt vmcnt(0)
	buffer_inv sc0 sc1
	v_cmp_eq_u64_e32 vcc, v[8:9], v[10:11]
	s_or_b64 s[10:11], vcc, s[10:11]
	s_andn2_b64 exec, exec, s[10:11]
	s_cbranch_execnz .LBB2_3
; %bb.4:
	s_or_b64 exec, exec, s[10:11]
.LBB2_5:
	s_or_b64 exec, exec, s[6:7]
.LBB2_6:
	s_or_b64 exec, exec, s[4:5]
	v_mov_b32_e32 v31, 0
	s_waitcnt lgkmcnt(0)
	global_load_dwordx2 v[10:11], v31, s[2:3] offset:40
	global_load_dwordx4 v[4:7], v31, s[2:3]
	v_readfirstlane_b32 s5, v9
	v_readfirstlane_b32 s4, v8
	s_mov_b64 s[6:7], exec
	s_waitcnt vmcnt(1)
	v_readfirstlane_b32 s10, v10
	v_readfirstlane_b32 s11, v11
	s_and_b64 s[10:11], s[10:11], s[4:5]
	s_mul_i32 s12, s11, 24
	s_mul_hi_u32 s13, s10, 24
	s_add_i32 s13, s13, s12
	s_mul_i32 s12, s10, 24
	s_waitcnt vmcnt(0)
	v_lshl_add_u64 v[8:9], v[4:5], 0, s[12:13]
	s_and_saveexec_b64 s[12:13], s[0:1]
	s_cbranch_execz .LBB2_8
; %bb.7:
	v_mov_b64_e32 v[10:11], s[6:7]
	v_mov_b32_e32 v12, 2
	v_mov_b32_e32 v13, 1
	global_store_dwordx4 v[8:9], v[10:13], off offset:8
.LBB2_8:
	s_or_b64 exec, exec, s[12:13]
	s_lshl_b64 s[6:7], s[10:11], 12
	v_lshl_add_u64 v[10:11], v[6:7], 0, s[6:7]
	s_mov_b32 s12, 0
	v_lshlrev_b32_e32 v30, 6, v1
	v_mov_b32_e32 v12, 33
	v_mov_b32_e32 v13, v31
	v_mov_b32_e32 v14, v31
	v_mov_b32_e32 v15, v31
	v_readfirstlane_b32 s6, v10
	v_readfirstlane_b32 s7, v11
	s_mov_b32 s13, s12
	s_mov_b32 s14, s12
	;; [unrolled: 1-line block ×3, first 2 shown]
	s_nop 1
	global_store_dwordx4 v30, v[12:15], s[6:7]
	s_nop 1
	v_mov_b64_e32 v[12:13], s[12:13]
	v_mov_b64_e32 v[14:15], s[14:15]
	global_store_dwordx4 v30, v[12:15], s[6:7] offset:16
	global_store_dwordx4 v30, v[12:15], s[6:7] offset:32
	;; [unrolled: 1-line block ×3, first 2 shown]
	s_and_saveexec_b64 s[6:7], s[0:1]
	s_cbranch_execz .LBB2_16
; %bb.9:
	v_mov_b32_e32 v14, 0
	global_load_dwordx2 v[18:19], v14, s[2:3] offset:32 sc0 sc1
	global_load_dwordx2 v[6:7], v14, s[2:3] offset:40
	v_mov_b32_e32 v16, s4
	v_mov_b32_e32 v17, s5
	s_waitcnt vmcnt(0)
	v_and_b32_e32 v6, s4, v6
	v_and_b32_e32 v7, s5, v7
	v_mul_lo_u32 v7, v7, 24
	v_mul_hi_u32 v12, v6, 24
	v_mul_lo_u32 v6, v6, 24
	v_add_u32_e32 v7, v12, v7
	v_lshl_add_u64 v[12:13], v[4:5], 0, v[6:7]
	global_store_dwordx2 v[12:13], v[18:19], off
	buffer_wbl2 sc0 sc1
	s_waitcnt vmcnt(0)
	global_atomic_cmpswap_x2 v[6:7], v14, v[16:19], s[2:3] offset:32 sc0 sc1
	s_waitcnt vmcnt(0)
	v_cmp_ne_u64_e32 vcc, v[6:7], v[18:19]
	s_and_saveexec_b64 s[10:11], vcc
	s_cbranch_execz .LBB2_12
; %bb.10:
	s_mov_b64 s[12:13], 0
.LBB2_11:                               ; =>This Inner Loop Header: Depth=1
	s_sleep 1
	global_store_dwordx2 v[12:13], v[6:7], off
	v_mov_b32_e32 v4, s4
	v_mov_b32_e32 v5, s5
	buffer_wbl2 sc0 sc1
	s_waitcnt vmcnt(0)
	global_atomic_cmpswap_x2 v[4:5], v14, v[4:7], s[2:3] offset:32 sc0 sc1
	s_waitcnt vmcnt(0)
	v_cmp_eq_u64_e32 vcc, v[4:5], v[6:7]
	s_or_b64 s[12:13], vcc, s[12:13]
	v_mov_b64_e32 v[6:7], v[4:5]
	s_andn2_b64 exec, exec, s[12:13]
	s_cbranch_execnz .LBB2_11
.LBB2_12:
	s_or_b64 exec, exec, s[10:11]
	v_mov_b32_e32 v7, 0
	global_load_dwordx2 v[4:5], v7, s[2:3] offset:16
	s_mov_b64 s[10:11], exec
	v_mbcnt_lo_u32_b32 v6, s10, 0
	v_mbcnt_hi_u32_b32 v6, s11, v6
	v_cmp_eq_u32_e32 vcc, 0, v6
	s_and_saveexec_b64 s[12:13], vcc
	s_cbranch_execz .LBB2_14
; %bb.13:
	s_bcnt1_i32_b64 s10, s[10:11]
	v_mov_b32_e32 v6, s10
	buffer_wbl2 sc0 sc1
	s_waitcnt vmcnt(0)
	global_atomic_add_x2 v[4:5], v[6:7], off offset:8 sc1
.LBB2_14:
	s_or_b64 exec, exec, s[12:13]
	s_waitcnt vmcnt(0)
	global_load_dwordx2 v[6:7], v[4:5], off offset:16
	s_waitcnt vmcnt(0)
	v_cmp_eq_u64_e32 vcc, 0, v[6:7]
	s_cbranch_vccnz .LBB2_16
; %bb.15:
	global_load_dword v4, v[4:5], off offset:24
	v_mov_b32_e32 v5, 0
	s_waitcnt vmcnt(0)
	v_readfirstlane_b32 s10, v4
	s_and_b32 m0, s10, 0xffffff
	buffer_wbl2 sc0 sc1
	global_store_dwordx2 v[6:7], v[4:5], off sc0 sc1
	s_sendmsg sendmsg(MSG_INTERRUPT)
.LBB2_16:
	s_or_b64 exec, exec, s[6:7]
	v_lshl_add_u64 v[4:5], v[10:11], 0, v[30:31]
	s_branch .LBB2_20
.LBB2_17:                               ;   in Loop: Header=BB2_20 Depth=1
	s_or_b64 exec, exec, s[6:7]
	v_readfirstlane_b32 s6, v6
	s_cmp_eq_u32 s6, 0
	s_cbranch_scc1 .LBB2_19
; %bb.18:                               ;   in Loop: Header=BB2_20 Depth=1
	s_sleep 1
	s_cbranch_execnz .LBB2_20
	s_branch .LBB2_22
.LBB2_19:
	s_branch .LBB2_22
.LBB2_20:                               ; =>This Inner Loop Header: Depth=1
	v_mov_b32_e32 v6, 1
	s_and_saveexec_b64 s[6:7], s[0:1]
	s_cbranch_execz .LBB2_17
; %bb.21:                               ;   in Loop: Header=BB2_20 Depth=1
	global_load_dword v6, v[8:9], off offset:20 sc0 sc1
	s_waitcnt vmcnt(0)
	buffer_inv sc0 sc1
	v_and_b32_e32 v6, 1, v6
	s_branch .LBB2_17
.LBB2_22:
	global_load_dwordx2 v[8:9], v[4:5], off
	s_and_saveexec_b64 s[6:7], s[0:1]
	s_cbranch_execz .LBB2_25
; %bb.23:
	v_mov_b32_e32 v12, 0
	global_load_dwordx2 v[4:5], v12, s[2:3] offset:40
	global_load_dwordx2 v[16:17], v12, s[2:3] offset:24 sc0 sc1
	global_load_dwordx2 v[6:7], v12, s[2:3]
	s_waitcnt vmcnt(2)
	v_readfirstlane_b32 s10, v4
	v_readfirstlane_b32 s11, v5
	s_add_u32 s12, s10, 1
	s_addc_u32 s13, s11, 0
	s_add_u32 s0, s12, s4
	s_addc_u32 s1, s13, s5
	s_cmp_eq_u64 s[0:1], 0
	s_cselect_b32 s1, s13, s1
	s_cselect_b32 s0, s12, s0
	s_and_b64 s[4:5], s[0:1], s[10:11]
	s_mul_i32 s5, s5, 24
	s_mul_hi_u32 s10, s4, 24
	s_mul_i32 s4, s4, 24
	s_add_i32 s5, s10, s5
	s_waitcnt vmcnt(0)
	v_lshl_add_u64 v[10:11], v[6:7], 0, s[4:5]
	v_mov_b32_e32 v14, s0
	global_store_dwordx2 v[10:11], v[16:17], off
	v_mov_b32_e32 v15, s1
	buffer_wbl2 sc0 sc1
	s_waitcnt vmcnt(0)
	global_atomic_cmpswap_x2 v[6:7], v12, v[14:17], s[2:3] offset:24 sc0 sc1
	s_mov_b64 s[4:5], 0
	s_waitcnt vmcnt(0)
	v_cmp_ne_u64_e32 vcc, v[6:7], v[16:17]
	s_and_b64 exec, exec, vcc
	s_cbranch_execz .LBB2_25
.LBB2_24:                               ; =>This Inner Loop Header: Depth=1
	s_sleep 1
	global_store_dwordx2 v[10:11], v[6:7], off
	v_mov_b32_e32 v4, s0
	v_mov_b32_e32 v5, s1
	buffer_wbl2 sc0 sc1
	s_waitcnt vmcnt(0)
	global_atomic_cmpswap_x2 v[4:5], v12, v[4:7], s[2:3] offset:24 sc0 sc1
	s_waitcnt vmcnt(0)
	v_cmp_eq_u64_e32 vcc, v[4:5], v[6:7]
	s_or_b64 s[4:5], vcc, s[4:5]
	v_mov_b64_e32 v[6:7], v[4:5]
	s_andn2_b64 exec, exec, s[4:5]
	s_cbranch_execnz .LBB2_24
.LBB2_25:
	s_or_b64 exec, exec, s[6:7]
	s_getpc_b64 s[4:5]
	s_add_u32 s4, s4, .str.2@rel32@lo+4
	s_addc_u32 s5, s5, .str.2@rel32@hi+12
	s_cmp_lg_u64 s[4:5], 0
	s_cbranch_scc0 .LBB2_110
; %bb.26:
	s_waitcnt vmcnt(0)
	v_and_b32_e32 v32, 2, v8
	v_mov_b32_e32 v35, 0
	v_and_b32_e32 v4, -3, v8
	v_mov_b32_e32 v5, v9
	s_mov_b64 s[6:7], 0x4d
	v_mov_b32_e32 v12, 2
	v_mov_b32_e32 v13, 1
	s_branch .LBB2_28
.LBB2_27:                               ;   in Loop: Header=BB2_28 Depth=1
	s_or_b64 exec, exec, s[14:15]
	s_sub_u32 s6, s6, s10
	s_subb_u32 s7, s7, s11
	s_add_u32 s4, s4, s10
	s_addc_u32 s5, s5, s11
	s_cmp_lg_u64 s[6:7], 0
	s_cbranch_scc0 .LBB2_111
.LBB2_28:                               ; =>This Loop Header: Depth=1
                                        ;     Child Loop BB2_31 Depth 2
                                        ;     Child Loop BB2_39 Depth 2
	;; [unrolled: 1-line block ×11, first 2 shown]
	v_cmp_lt_u64_e64 s[0:1], s[6:7], 56
	s_and_b64 s[0:1], s[0:1], exec
	s_cselect_b32 s11, s7, 0
	s_cselect_b32 s10, s6, 56
	v_cmp_gt_u64_e64 s[12:13], s[6:7], 7
	s_add_u32 s0, s4, 8
	s_addc_u32 s1, s5, 0
	s_and_b64 vcc, exec, s[12:13]
	s_cbranch_vccnz .LBB2_32
; %bb.29:                               ;   in Loop: Header=BB2_28 Depth=1
	s_cmp_eq_u64 s[6:7], 0
	s_cbranch_scc1 .LBB2_33
; %bb.30:                               ;   in Loop: Header=BB2_28 Depth=1
	s_lshl_b64 s[0:1], s[10:11], 3
	s_mov_b64 s[12:13], 0
	v_mov_b64_e32 v[6:7], 0
	s_mov_b64 s[14:15], s[4:5]
.LBB2_31:                               ;   Parent Loop BB2_28 Depth=1
                                        ; =>  This Inner Loop Header: Depth=2
	global_load_ubyte v10, v35, s[14:15]
	s_waitcnt vmcnt(0)
	v_and_b32_e32 v34, 0xffff, v10
	v_lshlrev_b64 v[10:11], s12, v[34:35]
	s_add_u32 s12, s12, 8
	s_addc_u32 s13, s13, 0
	s_add_u32 s14, s14, 1
	s_addc_u32 s15, s15, 0
	v_or_b32_e32 v6, v10, v6
	s_cmp_lg_u32 s0, s12
	v_or_b32_e32 v7, v11, v7
	s_cbranch_scc1 .LBB2_31
	s_branch .LBB2_34
.LBB2_32:                               ;   in Loop: Header=BB2_28 Depth=1
	s_mov_b32 s16, 0
	s_branch .LBB2_35
.LBB2_33:                               ;   in Loop: Header=BB2_28 Depth=1
	v_mov_b64_e32 v[6:7], 0
.LBB2_34:                               ;   in Loop: Header=BB2_28 Depth=1
	s_mov_b64 s[0:1], s[4:5]
	s_mov_b32 s16, 0
	s_cbranch_execnz .LBB2_36
.LBB2_35:                               ;   in Loop: Header=BB2_28 Depth=1
	global_load_dwordx2 v[6:7], v35, s[4:5]
	s_add_i32 s16, s10, -8
.LBB2_36:                               ;   in Loop: Header=BB2_28 Depth=1
	s_add_u32 s12, s0, 8
	s_addc_u32 s13, s1, 0
	s_cmp_gt_u32 s16, 7
	s_cbranch_scc1 .LBB2_40
; %bb.37:                               ;   in Loop: Header=BB2_28 Depth=1
	s_cmp_eq_u32 s16, 0
	s_cbranch_scc1 .LBB2_41
; %bb.38:                               ;   in Loop: Header=BB2_28 Depth=1
	s_mov_b64 s[12:13], 0
	v_mov_b64_e32 v[14:15], 0
	s_mov_b64 s[14:15], 0
.LBB2_39:                               ;   Parent Loop BB2_28 Depth=1
                                        ; =>  This Inner Loop Header: Depth=2
	s_add_u32 s18, s0, s14
	s_addc_u32 s19, s1, s15
	global_load_ubyte v10, v35, s[18:19]
	s_add_u32 s14, s14, 1
	s_addc_u32 s15, s15, 0
	s_waitcnt vmcnt(0)
	v_and_b32_e32 v34, 0xffff, v10
	v_lshlrev_b64 v[10:11], s12, v[34:35]
	s_add_u32 s12, s12, 8
	s_addc_u32 s13, s13, 0
	v_or_b32_e32 v14, v10, v14
	s_cmp_lg_u32 s16, s14
	v_or_b32_e32 v15, v11, v15
	s_cbranch_scc1 .LBB2_39
	s_branch .LBB2_42
.LBB2_40:                               ;   in Loop: Header=BB2_28 Depth=1
                                        ; implicit-def: $vgpr14_vgpr15
	s_mov_b32 s17, 0
	s_branch .LBB2_43
.LBB2_41:                               ;   in Loop: Header=BB2_28 Depth=1
	v_mov_b64_e32 v[14:15], 0
.LBB2_42:                               ;   in Loop: Header=BB2_28 Depth=1
	s_mov_b64 s[12:13], s[0:1]
	s_mov_b32 s17, 0
	s_cbranch_execnz .LBB2_44
.LBB2_43:                               ;   in Loop: Header=BB2_28 Depth=1
	global_load_dwordx2 v[14:15], v35, s[0:1]
	s_add_i32 s17, s16, -8
.LBB2_44:                               ;   in Loop: Header=BB2_28 Depth=1
	s_add_u32 s0, s12, 8
	s_addc_u32 s1, s13, 0
	s_cmp_gt_u32 s17, 7
	s_cbranch_scc1 .LBB2_48
; %bb.45:                               ;   in Loop: Header=BB2_28 Depth=1
	s_cmp_eq_u32 s17, 0
	s_cbranch_scc1 .LBB2_49
; %bb.46:                               ;   in Loop: Header=BB2_28 Depth=1
	s_mov_b64 s[0:1], 0
	v_mov_b64_e32 v[16:17], 0
	s_mov_b64 s[14:15], 0
.LBB2_47:                               ;   Parent Loop BB2_28 Depth=1
                                        ; =>  This Inner Loop Header: Depth=2
	s_add_u32 s18, s12, s14
	s_addc_u32 s19, s13, s15
	global_load_ubyte v10, v35, s[18:19]
	s_add_u32 s14, s14, 1
	s_addc_u32 s15, s15, 0
	s_waitcnt vmcnt(0)
	v_and_b32_e32 v34, 0xffff, v10
	v_lshlrev_b64 v[10:11], s0, v[34:35]
	s_add_u32 s0, s0, 8
	s_addc_u32 s1, s1, 0
	v_or_b32_e32 v16, v10, v16
	s_cmp_lg_u32 s17, s14
	v_or_b32_e32 v17, v11, v17
	s_cbranch_scc1 .LBB2_47
	s_branch .LBB2_50
.LBB2_48:                               ;   in Loop: Header=BB2_28 Depth=1
	s_mov_b32 s16, 0
	s_branch .LBB2_51
.LBB2_49:                               ;   in Loop: Header=BB2_28 Depth=1
	v_mov_b64_e32 v[16:17], 0
.LBB2_50:                               ;   in Loop: Header=BB2_28 Depth=1
	s_mov_b64 s[0:1], s[12:13]
	s_mov_b32 s16, 0
	s_cbranch_execnz .LBB2_52
.LBB2_51:                               ;   in Loop: Header=BB2_28 Depth=1
	global_load_dwordx2 v[16:17], v35, s[12:13]
	s_add_i32 s16, s17, -8
.LBB2_52:                               ;   in Loop: Header=BB2_28 Depth=1
	s_add_u32 s12, s0, 8
	s_addc_u32 s13, s1, 0
	s_cmp_gt_u32 s16, 7
	s_cbranch_scc1 .LBB2_56
; %bb.53:                               ;   in Loop: Header=BB2_28 Depth=1
	s_cmp_eq_u32 s16, 0
	s_cbranch_scc1 .LBB2_57
; %bb.54:                               ;   in Loop: Header=BB2_28 Depth=1
	s_mov_b64 s[12:13], 0
	v_mov_b64_e32 v[18:19], 0
	s_mov_b64 s[14:15], 0
.LBB2_55:                               ;   Parent Loop BB2_28 Depth=1
                                        ; =>  This Inner Loop Header: Depth=2
	s_add_u32 s18, s0, s14
	s_addc_u32 s19, s1, s15
	global_load_ubyte v10, v35, s[18:19]
	s_add_u32 s14, s14, 1
	s_addc_u32 s15, s15, 0
	s_waitcnt vmcnt(0)
	v_and_b32_e32 v34, 0xffff, v10
	v_lshlrev_b64 v[10:11], s12, v[34:35]
	s_add_u32 s12, s12, 8
	s_addc_u32 s13, s13, 0
	v_or_b32_e32 v18, v10, v18
	s_cmp_lg_u32 s16, s14
	v_or_b32_e32 v19, v11, v19
	s_cbranch_scc1 .LBB2_55
	s_branch .LBB2_58
.LBB2_56:                               ;   in Loop: Header=BB2_28 Depth=1
                                        ; implicit-def: $vgpr18_vgpr19
	s_mov_b32 s17, 0
	s_branch .LBB2_59
.LBB2_57:                               ;   in Loop: Header=BB2_28 Depth=1
	v_mov_b64_e32 v[18:19], 0
.LBB2_58:                               ;   in Loop: Header=BB2_28 Depth=1
	s_mov_b64 s[12:13], s[0:1]
	s_mov_b32 s17, 0
	s_cbranch_execnz .LBB2_60
.LBB2_59:                               ;   in Loop: Header=BB2_28 Depth=1
	global_load_dwordx2 v[18:19], v35, s[0:1]
	s_add_i32 s17, s16, -8
.LBB2_60:                               ;   in Loop: Header=BB2_28 Depth=1
	s_add_u32 s0, s12, 8
	s_addc_u32 s1, s13, 0
	s_cmp_gt_u32 s17, 7
	s_cbranch_scc1 .LBB2_64
; %bb.61:                               ;   in Loop: Header=BB2_28 Depth=1
	s_cmp_eq_u32 s17, 0
	s_cbranch_scc1 .LBB2_65
; %bb.62:                               ;   in Loop: Header=BB2_28 Depth=1
	s_mov_b64 s[0:1], 0
	v_mov_b64_e32 v[20:21], 0
	s_mov_b64 s[14:15], 0
.LBB2_63:                               ;   Parent Loop BB2_28 Depth=1
                                        ; =>  This Inner Loop Header: Depth=2
	s_add_u32 s18, s12, s14
	s_addc_u32 s19, s13, s15
	global_load_ubyte v10, v35, s[18:19]
	s_add_u32 s14, s14, 1
	s_addc_u32 s15, s15, 0
	s_waitcnt vmcnt(0)
	v_and_b32_e32 v34, 0xffff, v10
	v_lshlrev_b64 v[10:11], s0, v[34:35]
	s_add_u32 s0, s0, 8
	s_addc_u32 s1, s1, 0
	v_or_b32_e32 v20, v10, v20
	s_cmp_lg_u32 s17, s14
	v_or_b32_e32 v21, v11, v21
	s_cbranch_scc1 .LBB2_63
	s_branch .LBB2_66
.LBB2_64:                               ;   in Loop: Header=BB2_28 Depth=1
	s_mov_b32 s16, 0
	s_branch .LBB2_67
.LBB2_65:                               ;   in Loop: Header=BB2_28 Depth=1
	v_mov_b64_e32 v[20:21], 0
.LBB2_66:                               ;   in Loop: Header=BB2_28 Depth=1
	s_mov_b64 s[0:1], s[12:13]
	s_mov_b32 s16, 0
	s_cbranch_execnz .LBB2_68
.LBB2_67:                               ;   in Loop: Header=BB2_28 Depth=1
	global_load_dwordx2 v[20:21], v35, s[12:13]
	s_add_i32 s16, s17, -8
.LBB2_68:                               ;   in Loop: Header=BB2_28 Depth=1
	s_add_u32 s12, s0, 8
	s_addc_u32 s13, s1, 0
	s_cmp_gt_u32 s16, 7
	s_cbranch_scc1 .LBB2_72
; %bb.69:                               ;   in Loop: Header=BB2_28 Depth=1
	s_cmp_eq_u32 s16, 0
	s_cbranch_scc1 .LBB2_73
; %bb.70:                               ;   in Loop: Header=BB2_28 Depth=1
	s_mov_b64 s[12:13], 0
	v_mov_b64_e32 v[22:23], 0
	s_mov_b64 s[14:15], 0
.LBB2_71:                               ;   Parent Loop BB2_28 Depth=1
                                        ; =>  This Inner Loop Header: Depth=2
	s_add_u32 s18, s0, s14
	s_addc_u32 s19, s1, s15
	global_load_ubyte v10, v35, s[18:19]
	s_add_u32 s14, s14, 1
	s_addc_u32 s15, s15, 0
	s_waitcnt vmcnt(0)
	v_and_b32_e32 v34, 0xffff, v10
	v_lshlrev_b64 v[10:11], s12, v[34:35]
	s_add_u32 s12, s12, 8
	s_addc_u32 s13, s13, 0
	v_or_b32_e32 v22, v10, v22
	s_cmp_lg_u32 s16, s14
	v_or_b32_e32 v23, v11, v23
	s_cbranch_scc1 .LBB2_71
	s_branch .LBB2_74
.LBB2_72:                               ;   in Loop: Header=BB2_28 Depth=1
                                        ; implicit-def: $vgpr22_vgpr23
	s_mov_b32 s17, 0
	s_branch .LBB2_75
.LBB2_73:                               ;   in Loop: Header=BB2_28 Depth=1
	v_mov_b64_e32 v[22:23], 0
.LBB2_74:                               ;   in Loop: Header=BB2_28 Depth=1
	s_mov_b64 s[12:13], s[0:1]
	s_mov_b32 s17, 0
	s_cbranch_execnz .LBB2_76
.LBB2_75:                               ;   in Loop: Header=BB2_28 Depth=1
	global_load_dwordx2 v[22:23], v35, s[0:1]
	s_add_i32 s17, s16, -8
.LBB2_76:                               ;   in Loop: Header=BB2_28 Depth=1
	s_cmp_gt_u32 s17, 7
	s_cbranch_scc1 .LBB2_80
; %bb.77:                               ;   in Loop: Header=BB2_28 Depth=1
	s_cmp_eq_u32 s17, 0
	s_cbranch_scc1 .LBB2_81
; %bb.78:                               ;   in Loop: Header=BB2_28 Depth=1
	s_mov_b64 s[0:1], 0
	v_mov_b64_e32 v[24:25], 0
	s_mov_b64 s[14:15], s[12:13]
.LBB2_79:                               ;   Parent Loop BB2_28 Depth=1
                                        ; =>  This Inner Loop Header: Depth=2
	global_load_ubyte v10, v35, s[14:15]
	s_add_i32 s17, s17, -1
	s_waitcnt vmcnt(0)
	v_and_b32_e32 v34, 0xffff, v10
	v_lshlrev_b64 v[10:11], s0, v[34:35]
	s_add_u32 s0, s0, 8
	s_addc_u32 s1, s1, 0
	s_add_u32 s14, s14, 1
	s_addc_u32 s15, s15, 0
	v_or_b32_e32 v24, v10, v24
	s_cmp_lg_u32 s17, 0
	v_or_b32_e32 v25, v11, v25
	s_cbranch_scc1 .LBB2_79
	s_branch .LBB2_82
.LBB2_80:                               ;   in Loop: Header=BB2_28 Depth=1
	s_branch .LBB2_83
.LBB2_81:                               ;   in Loop: Header=BB2_28 Depth=1
	v_mov_b64_e32 v[24:25], 0
.LBB2_82:                               ;   in Loop: Header=BB2_28 Depth=1
	s_cbranch_execnz .LBB2_84
.LBB2_83:                               ;   in Loop: Header=BB2_28 Depth=1
	global_load_dwordx2 v[24:25], v35, s[12:13]
.LBB2_84:                               ;   in Loop: Header=BB2_28 Depth=1
	v_readfirstlane_b32 s0, v1
	v_mov_b64_e32 v[10:11], 0
	s_nop 0
	v_cmp_eq_u32_e64 s[0:1], s0, v1
	s_and_saveexec_b64 s[12:13], s[0:1]
	s_cbranch_execz .LBB2_90
; %bb.85:                               ;   in Loop: Header=BB2_28 Depth=1
	global_load_dwordx2 v[28:29], v35, s[2:3] offset:24 sc0 sc1
	s_waitcnt vmcnt(0)
	buffer_inv sc0 sc1
	global_load_dwordx2 v[10:11], v35, s[2:3] offset:40
	global_load_dwordx2 v[26:27], v35, s[2:3]
	s_waitcnt vmcnt(1)
	v_and_b32_e32 v10, v10, v28
	v_and_b32_e32 v11, v11, v29
	v_mul_lo_u32 v11, v11, 24
	v_mul_hi_u32 v31, v10, 24
	v_add_u32_e32 v11, v31, v11
	v_mul_lo_u32 v10, v10, 24
	s_waitcnt vmcnt(0)
	v_lshl_add_u64 v[10:11], v[26:27], 0, v[10:11]
	global_load_dwordx2 v[26:27], v[10:11], off sc0 sc1
	s_waitcnt vmcnt(0)
	global_atomic_cmpswap_x2 v[10:11], v35, v[26:29], s[2:3] offset:24 sc0 sc1
	s_waitcnt vmcnt(0)
	buffer_inv sc0 sc1
	v_cmp_ne_u64_e32 vcc, v[10:11], v[28:29]
	s_and_saveexec_b64 s[14:15], vcc
	s_cbranch_execz .LBB2_89
; %bb.86:                               ;   in Loop: Header=BB2_28 Depth=1
	s_mov_b64 s[16:17], 0
.LBB2_87:                               ;   Parent Loop BB2_28 Depth=1
                                        ; =>  This Inner Loop Header: Depth=2
	s_sleep 1
	global_load_dwordx2 v[26:27], v35, s[2:3] offset:40
	global_load_dwordx2 v[36:37], v35, s[2:3]
	v_mov_b64_e32 v[28:29], v[10:11]
	s_waitcnt vmcnt(1)
	v_and_b32_e32 v10, v26, v28
	s_waitcnt vmcnt(0)
	v_mad_u64_u32 v[10:11], s[18:19], v10, 24, v[36:37]
	v_and_b32_e32 v27, v27, v29
	v_mov_b32_e32 v26, v11
	v_mad_u64_u32 v[26:27], s[18:19], v27, 24, v[26:27]
	v_mov_b32_e32 v11, v26
	global_load_dwordx2 v[26:27], v[10:11], off sc0 sc1
	s_waitcnt vmcnt(0)
	global_atomic_cmpswap_x2 v[10:11], v35, v[26:29], s[2:3] offset:24 sc0 sc1
	s_waitcnt vmcnt(0)
	buffer_inv sc0 sc1
	v_cmp_eq_u64_e32 vcc, v[10:11], v[28:29]
	s_or_b64 s[16:17], vcc, s[16:17]
	s_andn2_b64 exec, exec, s[16:17]
	s_cbranch_execnz .LBB2_87
; %bb.88:                               ;   in Loop: Header=BB2_28 Depth=1
	s_or_b64 exec, exec, s[16:17]
.LBB2_89:                               ;   in Loop: Header=BB2_28 Depth=1
	s_or_b64 exec, exec, s[14:15]
.LBB2_90:                               ;   in Loop: Header=BB2_28 Depth=1
	s_or_b64 exec, exec, s[12:13]
	global_load_dwordx2 v[36:37], v35, s[2:3] offset:40
	global_load_dwordx4 v[26:29], v35, s[2:3]
	v_readfirstlane_b32 s13, v11
	v_readfirstlane_b32 s12, v10
	s_mov_b64 s[14:15], exec
	s_waitcnt vmcnt(1)
	v_readfirstlane_b32 s16, v36
	v_readfirstlane_b32 s17, v37
	s_and_b64 s[16:17], s[16:17], s[12:13]
	s_mul_i32 s18, s17, 24
	s_mul_hi_u32 s19, s16, 24
	s_add_i32 s19, s19, s18
	s_mul_i32 s18, s16, 24
	s_waitcnt vmcnt(0)
	v_lshl_add_u64 v[36:37], v[26:27], 0, s[18:19]
	s_and_saveexec_b64 s[18:19], s[0:1]
	s_cbranch_execz .LBB2_92
; %bb.91:                               ;   in Loop: Header=BB2_28 Depth=1
	v_mov_b64_e32 v[10:11], s[14:15]
	global_store_dwordx4 v[36:37], v[10:13], off offset:8
.LBB2_92:                               ;   in Loop: Header=BB2_28 Depth=1
	s_or_b64 exec, exec, s[18:19]
	s_lshl_b64 s[14:15], s[16:17], 12
	v_lshl_add_u64 v[10:11], v[28:29], 0, s[14:15]
	v_cmp_lt_u64_e64 vcc, s[6:7], 57
	s_lshl_b32 s14, s10, 2
	s_add_i32 s14, s14, 28
	v_cndmask_b32_e32 v28, 0, v32, vcc
	v_and_b32_e32 v4, 0xffffff1f, v4
	s_and_b32 s14, s14, 0x1e0
	v_or_b32_e32 v4, v4, v28
	v_or_b32_e32 v4, s14, v4
	v_readfirstlane_b32 s14, v10
	v_readfirstlane_b32 s15, v11
	s_nop 4
	global_store_dwordx4 v30, v[4:7], s[14:15]
	global_store_dwordx4 v30, v[14:17], s[14:15] offset:16
	global_store_dwordx4 v30, v[18:21], s[14:15] offset:32
	;; [unrolled: 1-line block ×3, first 2 shown]
	s_and_saveexec_b64 s[14:15], s[0:1]
	s_cbranch_execz .LBB2_100
; %bb.93:                               ;   in Loop: Header=BB2_28 Depth=1
	global_load_dwordx2 v[18:19], v35, s[2:3] offset:32 sc0 sc1
	global_load_dwordx2 v[4:5], v35, s[2:3] offset:40
	v_mov_b32_e32 v16, s12
	v_mov_b32_e32 v17, s13
	s_waitcnt vmcnt(0)
	v_readfirstlane_b32 s16, v4
	v_readfirstlane_b32 s17, v5
	s_and_b64 s[16:17], s[16:17], s[12:13]
	s_mul_i32 s17, s17, 24
	s_mul_hi_u32 s18, s16, 24
	s_mul_i32 s16, s16, 24
	s_add_i32 s17, s18, s17
	v_lshl_add_u64 v[14:15], v[26:27], 0, s[16:17]
	global_store_dwordx2 v[14:15], v[18:19], off
	buffer_wbl2 sc0 sc1
	s_waitcnt vmcnt(0)
	global_atomic_cmpswap_x2 v[6:7], v35, v[16:19], s[2:3] offset:32 sc0 sc1
	s_waitcnt vmcnt(0)
	v_cmp_ne_u64_e32 vcc, v[6:7], v[18:19]
	s_and_saveexec_b64 s[16:17], vcc
	s_cbranch_execz .LBB2_96
; %bb.94:                               ;   in Loop: Header=BB2_28 Depth=1
	s_mov_b64 s[18:19], 0
.LBB2_95:                               ;   Parent Loop BB2_28 Depth=1
                                        ; =>  This Inner Loop Header: Depth=2
	s_sleep 1
	global_store_dwordx2 v[14:15], v[6:7], off
	v_mov_b32_e32 v4, s12
	v_mov_b32_e32 v5, s13
	buffer_wbl2 sc0 sc1
	s_waitcnt vmcnt(0)
	global_atomic_cmpswap_x2 v[4:5], v35, v[4:7], s[2:3] offset:32 sc0 sc1
	s_waitcnt vmcnt(0)
	v_cmp_eq_u64_e32 vcc, v[4:5], v[6:7]
	s_or_b64 s[18:19], vcc, s[18:19]
	v_mov_b64_e32 v[6:7], v[4:5]
	s_andn2_b64 exec, exec, s[18:19]
	s_cbranch_execnz .LBB2_95
.LBB2_96:                               ;   in Loop: Header=BB2_28 Depth=1
	s_or_b64 exec, exec, s[16:17]
	global_load_dwordx2 v[4:5], v35, s[2:3] offset:16
	s_mov_b64 s[18:19], exec
	v_mbcnt_lo_u32_b32 v6, s18, 0
	v_mbcnt_hi_u32_b32 v6, s19, v6
	v_cmp_eq_u32_e32 vcc, 0, v6
	s_and_saveexec_b64 s[16:17], vcc
	s_cbranch_execz .LBB2_98
; %bb.97:                               ;   in Loop: Header=BB2_28 Depth=1
	s_bcnt1_i32_b64 s18, s[18:19]
	v_mov_b32_e32 v34, s18
	buffer_wbl2 sc0 sc1
	s_waitcnt vmcnt(0)
	global_atomic_add_x2 v[4:5], v[34:35], off offset:8 sc1
.LBB2_98:                               ;   in Loop: Header=BB2_28 Depth=1
	s_or_b64 exec, exec, s[16:17]
	s_waitcnt vmcnt(0)
	global_load_dwordx2 v[6:7], v[4:5], off offset:16
	s_waitcnt vmcnt(0)
	v_cmp_eq_u64_e32 vcc, 0, v[6:7]
	s_cbranch_vccnz .LBB2_100
; %bb.99:                               ;   in Loop: Header=BB2_28 Depth=1
	global_load_dword v34, v[4:5], off offset:24
	s_waitcnt vmcnt(0)
	v_readfirstlane_b32 s16, v34
	s_and_b32 m0, s16, 0xffffff
	buffer_wbl2 sc0 sc1
	global_store_dwordx2 v[6:7], v[34:35], off sc0 sc1
	s_sendmsg sendmsg(MSG_INTERRUPT)
.LBB2_100:                              ;   in Loop: Header=BB2_28 Depth=1
	s_or_b64 exec, exec, s[14:15]
	v_mov_b32_e32 v31, v35
	v_lshl_add_u64 v[4:5], v[10:11], 0, v[30:31]
	s_branch .LBB2_104
.LBB2_101:                              ;   in Loop: Header=BB2_104 Depth=2
	s_or_b64 exec, exec, s[14:15]
	v_readfirstlane_b32 s14, v6
	s_cmp_eq_u32 s14, 0
	s_cbranch_scc1 .LBB2_103
; %bb.102:                              ;   in Loop: Header=BB2_104 Depth=2
	s_sleep 1
	s_cbranch_execnz .LBB2_104
	s_branch .LBB2_106
.LBB2_103:                              ;   in Loop: Header=BB2_28 Depth=1
	s_branch .LBB2_106
.LBB2_104:                              ;   Parent Loop BB2_28 Depth=1
                                        ; =>  This Inner Loop Header: Depth=2
	v_mov_b32_e32 v6, 1
	s_and_saveexec_b64 s[14:15], s[0:1]
	s_cbranch_execz .LBB2_101
; %bb.105:                              ;   in Loop: Header=BB2_104 Depth=2
	global_load_dword v6, v[36:37], off offset:20 sc0 sc1
	s_waitcnt vmcnt(0)
	buffer_inv sc0 sc1
	v_and_b32_e32 v6, 1, v6
	s_branch .LBB2_101
.LBB2_106:                              ;   in Loop: Header=BB2_28 Depth=1
	global_load_dwordx2 v[4:5], v[4:5], off
	s_and_saveexec_b64 s[14:15], s[0:1]
	s_cbranch_execz .LBB2_27
; %bb.107:                              ;   in Loop: Header=BB2_28 Depth=1
	global_load_dwordx2 v[6:7], v35, s[2:3] offset:40
	global_load_dwordx2 v[18:19], v35, s[2:3] offset:24 sc0 sc1
	global_load_dwordx2 v[10:11], v35, s[2:3]
	s_waitcnt vmcnt(2)
	v_readfirstlane_b32 s16, v6
	v_readfirstlane_b32 s17, v7
	s_add_u32 s18, s16, 1
	s_addc_u32 s19, s17, 0
	s_add_u32 s0, s18, s12
	s_addc_u32 s1, s19, s13
	s_cmp_eq_u64 s[0:1], 0
	s_cselect_b32 s1, s19, s1
	s_cselect_b32 s0, s18, s0
	s_and_b64 s[12:13], s[0:1], s[16:17]
	s_mul_i32 s13, s13, 24
	s_mul_hi_u32 s16, s12, 24
	s_mul_i32 s12, s12, 24
	s_add_i32 s13, s16, s13
	s_waitcnt vmcnt(0)
	v_lshl_add_u64 v[6:7], v[10:11], 0, s[12:13]
	v_mov_b32_e32 v16, s0
	global_store_dwordx2 v[6:7], v[18:19], off
	v_mov_b32_e32 v17, s1
	buffer_wbl2 sc0 sc1
	s_waitcnt vmcnt(0)
	global_atomic_cmpswap_x2 v[16:17], v35, v[16:19], s[2:3] offset:24 sc0 sc1
	s_waitcnt vmcnt(0)
	v_cmp_ne_u64_e32 vcc, v[16:17], v[18:19]
	s_and_b64 exec, exec, vcc
	s_cbranch_execz .LBB2_27
; %bb.108:                              ;   in Loop: Header=BB2_28 Depth=1
	s_mov_b64 s[12:13], 0
.LBB2_109:                              ;   Parent Loop BB2_28 Depth=1
                                        ; =>  This Inner Loop Header: Depth=2
	s_sleep 1
	global_store_dwordx2 v[6:7], v[16:17], off
	v_mov_b32_e32 v14, s0
	v_mov_b32_e32 v15, s1
	buffer_wbl2 sc0 sc1
	s_waitcnt vmcnt(0)
	global_atomic_cmpswap_x2 v[10:11], v35, v[14:17], s[2:3] offset:24 sc0 sc1
	s_waitcnt vmcnt(0)
	v_cmp_eq_u64_e32 vcc, v[10:11], v[16:17]
	s_or_b64 s[12:13], vcc, s[12:13]
	v_mov_b64_e32 v[16:17], v[10:11]
	s_andn2_b64 exec, exec, s[12:13]
	s_cbranch_execnz .LBB2_109
	s_branch .LBB2_27
.LBB2_110:
                                        ; implicit-def: $vgpr4_vgpr5
	s_cbranch_execnz .LBB2_112
	s_branch .LBB2_138
.LBB2_111:
	s_branch .LBB2_138
.LBB2_112:
	v_readfirstlane_b32 s0, v1
	v_mov_b64_e32 v[10:11], 0
	s_nop 0
	v_cmp_eq_u32_e64 s[0:1], s0, v1
	s_and_saveexec_b64 s[4:5], s[0:1]
	s_cbranch_execz .LBB2_118
; %bb.113:
	s_waitcnt vmcnt(0)
	v_mov_b32_e32 v4, 0
	global_load_dwordx2 v[12:13], v4, s[2:3] offset:24 sc0 sc1
	s_waitcnt vmcnt(0)
	buffer_inv sc0 sc1
	global_load_dwordx2 v[6:7], v4, s[2:3] offset:40
	global_load_dwordx2 v[10:11], v4, s[2:3]
	s_waitcnt vmcnt(1)
	v_and_b32_e32 v5, v6, v12
	v_and_b32_e32 v6, v7, v13
	v_mul_lo_u32 v6, v6, 24
	v_mul_hi_u32 v7, v5, 24
	v_add_u32_e32 v7, v7, v6
	v_mul_lo_u32 v6, v5, 24
	s_waitcnt vmcnt(0)
	v_lshl_add_u64 v[6:7], v[10:11], 0, v[6:7]
	global_load_dwordx2 v[10:11], v[6:7], off sc0 sc1
	s_waitcnt vmcnt(0)
	global_atomic_cmpswap_x2 v[10:11], v4, v[10:13], s[2:3] offset:24 sc0 sc1
	s_waitcnt vmcnt(0)
	buffer_inv sc0 sc1
	v_cmp_ne_u64_e32 vcc, v[10:11], v[12:13]
	s_and_saveexec_b64 s[6:7], vcc
	s_cbranch_execz .LBB2_117
; %bb.114:
	s_mov_b64 s[10:11], 0
.LBB2_115:                              ; =>This Inner Loop Header: Depth=1
	s_sleep 1
	global_load_dwordx2 v[6:7], v4, s[2:3] offset:40
	global_load_dwordx2 v[14:15], v4, s[2:3]
	v_mov_b64_e32 v[12:13], v[10:11]
	s_waitcnt vmcnt(1)
	v_and_b32_e32 v6, v6, v12
	v_and_b32_e32 v5, v7, v13
	s_waitcnt vmcnt(0)
	v_mad_u64_u32 v[6:7], s[12:13], v6, 24, v[14:15]
	v_mov_b32_e32 v10, v7
	v_mad_u64_u32 v[10:11], s[12:13], v5, 24, v[10:11]
	v_mov_b32_e32 v7, v10
	global_load_dwordx2 v[10:11], v[6:7], off sc0 sc1
	s_waitcnt vmcnt(0)
	global_atomic_cmpswap_x2 v[10:11], v4, v[10:13], s[2:3] offset:24 sc0 sc1
	s_waitcnt vmcnt(0)
	buffer_inv sc0 sc1
	v_cmp_eq_u64_e32 vcc, v[10:11], v[12:13]
	s_or_b64 s[10:11], vcc, s[10:11]
	s_andn2_b64 exec, exec, s[10:11]
	s_cbranch_execnz .LBB2_115
; %bb.116:
	s_or_b64 exec, exec, s[10:11]
.LBB2_117:
	s_or_b64 exec, exec, s[6:7]
.LBB2_118:
	s_or_b64 exec, exec, s[4:5]
	v_mov_b32_e32 v31, 0
	global_load_dwordx2 v[12:13], v31, s[2:3] offset:40
	global_load_dwordx4 v[4:7], v31, s[2:3]
	v_readfirstlane_b32 s5, v11
	v_readfirstlane_b32 s4, v10
	s_mov_b64 s[6:7], exec
	s_waitcnt vmcnt(1)
	v_readfirstlane_b32 s10, v12
	v_readfirstlane_b32 s11, v13
	s_and_b64 s[10:11], s[10:11], s[4:5]
	s_mul_i32 s12, s11, 24
	s_mul_hi_u32 s13, s10, 24
	s_add_i32 s13, s13, s12
	s_mul_i32 s12, s10, 24
	s_waitcnt vmcnt(0)
	v_lshl_add_u64 v[12:13], v[4:5], 0, s[12:13]
	s_and_saveexec_b64 s[12:13], s[0:1]
	s_cbranch_execz .LBB2_120
; %bb.119:
	v_mov_b64_e32 v[14:15], s[6:7]
	v_mov_b32_e32 v16, 2
	v_mov_b32_e32 v17, 1
	global_store_dwordx4 v[12:13], v[14:17], off offset:8
.LBB2_120:
	s_or_b64 exec, exec, s[12:13]
	s_lshl_b64 s[6:7], s[10:11], 12
	v_lshl_add_u64 v[14:15], v[6:7], 0, s[6:7]
	s_movk_i32 s6, 0xff1f
	s_mov_b32 s12, 0
	v_and_or_b32 v8, v8, s6, 32
	v_mov_b32_e32 v10, v31
	v_mov_b32_e32 v11, v31
	v_readfirstlane_b32 s6, v14
	v_readfirstlane_b32 s7, v15
	s_mov_b32 s13, s12
	s_mov_b32 s14, s12
	;; [unrolled: 1-line block ×3, first 2 shown]
	s_nop 1
	global_store_dwordx4 v30, v[8:11], s[6:7]
	v_mov_b64_e32 v[6:7], s[12:13]
	s_nop 0
	v_mov_b64_e32 v[8:9], s[14:15]
	global_store_dwordx4 v30, v[6:9], s[6:7] offset:16
	global_store_dwordx4 v30, v[6:9], s[6:7] offset:32
	;; [unrolled: 1-line block ×3, first 2 shown]
	s_and_saveexec_b64 s[6:7], s[0:1]
	s_cbranch_execz .LBB2_128
; %bb.121:
	v_mov_b32_e32 v10, 0
	global_load_dwordx2 v[18:19], v10, s[2:3] offset:32 sc0 sc1
	global_load_dwordx2 v[6:7], v10, s[2:3] offset:40
	v_mov_b32_e32 v16, s4
	v_mov_b32_e32 v17, s5
	s_waitcnt vmcnt(0)
	v_readfirstlane_b32 s10, v6
	v_readfirstlane_b32 s11, v7
	s_and_b64 s[10:11], s[10:11], s[4:5]
	s_mul_i32 s11, s11, 24
	s_mul_hi_u32 s12, s10, 24
	s_mul_i32 s10, s10, 24
	s_add_i32 s11, s12, s11
	v_lshl_add_u64 v[8:9], v[4:5], 0, s[10:11]
	global_store_dwordx2 v[8:9], v[18:19], off
	buffer_wbl2 sc0 sc1
	s_waitcnt vmcnt(0)
	global_atomic_cmpswap_x2 v[6:7], v10, v[16:19], s[2:3] offset:32 sc0 sc1
	s_waitcnt vmcnt(0)
	v_cmp_ne_u64_e32 vcc, v[6:7], v[18:19]
	s_and_saveexec_b64 s[10:11], vcc
	s_cbranch_execz .LBB2_124
; %bb.122:
	s_mov_b64 s[12:13], 0
.LBB2_123:                              ; =>This Inner Loop Header: Depth=1
	s_sleep 1
	global_store_dwordx2 v[8:9], v[6:7], off
	v_mov_b32_e32 v4, s4
	v_mov_b32_e32 v5, s5
	buffer_wbl2 sc0 sc1
	s_waitcnt vmcnt(0)
	global_atomic_cmpswap_x2 v[4:5], v10, v[4:7], s[2:3] offset:32 sc0 sc1
	s_waitcnt vmcnt(0)
	v_cmp_eq_u64_e32 vcc, v[4:5], v[6:7]
	s_or_b64 s[12:13], vcc, s[12:13]
	v_mov_b64_e32 v[6:7], v[4:5]
	s_andn2_b64 exec, exec, s[12:13]
	s_cbranch_execnz .LBB2_123
.LBB2_124:
	s_or_b64 exec, exec, s[10:11]
	v_mov_b32_e32 v7, 0
	global_load_dwordx2 v[4:5], v7, s[2:3] offset:16
	s_mov_b64 s[10:11], exec
	v_mbcnt_lo_u32_b32 v6, s10, 0
	v_mbcnt_hi_u32_b32 v6, s11, v6
	v_cmp_eq_u32_e32 vcc, 0, v6
	s_and_saveexec_b64 s[12:13], vcc
	s_cbranch_execz .LBB2_126
; %bb.125:
	s_bcnt1_i32_b64 s10, s[10:11]
	v_mov_b32_e32 v6, s10
	buffer_wbl2 sc0 sc1
	s_waitcnt vmcnt(0)
	global_atomic_add_x2 v[4:5], v[6:7], off offset:8 sc1
.LBB2_126:
	s_or_b64 exec, exec, s[12:13]
	s_waitcnt vmcnt(0)
	global_load_dwordx2 v[6:7], v[4:5], off offset:16
	s_waitcnt vmcnt(0)
	v_cmp_eq_u64_e32 vcc, 0, v[6:7]
	s_cbranch_vccnz .LBB2_128
; %bb.127:
	global_load_dword v4, v[4:5], off offset:24
	v_mov_b32_e32 v5, 0
	s_waitcnt vmcnt(0)
	v_readfirstlane_b32 s10, v4
	s_and_b32 m0, s10, 0xffffff
	buffer_wbl2 sc0 sc1
	global_store_dwordx2 v[6:7], v[4:5], off sc0 sc1
	s_sendmsg sendmsg(MSG_INTERRUPT)
.LBB2_128:
	s_or_b64 exec, exec, s[6:7]
	v_lshl_add_u64 v[4:5], v[14:15], 0, v[30:31]
	s_branch .LBB2_132
.LBB2_129:                              ;   in Loop: Header=BB2_132 Depth=1
	s_or_b64 exec, exec, s[6:7]
	v_readfirstlane_b32 s6, v6
	s_cmp_eq_u32 s6, 0
	s_cbranch_scc1 .LBB2_131
; %bb.130:                              ;   in Loop: Header=BB2_132 Depth=1
	s_sleep 1
	s_cbranch_execnz .LBB2_132
	s_branch .LBB2_134
.LBB2_131:
	s_branch .LBB2_134
.LBB2_132:                              ; =>This Inner Loop Header: Depth=1
	v_mov_b32_e32 v6, 1
	s_and_saveexec_b64 s[6:7], s[0:1]
	s_cbranch_execz .LBB2_129
; %bb.133:                              ;   in Loop: Header=BB2_132 Depth=1
	global_load_dword v6, v[12:13], off offset:20 sc0 sc1
	s_waitcnt vmcnt(0)
	buffer_inv sc0 sc1
	v_and_b32_e32 v6, 1, v6
	s_branch .LBB2_129
.LBB2_134:
	global_load_dwordx2 v[4:5], v[4:5], off
	s_and_saveexec_b64 s[6:7], s[0:1]
	s_cbranch_execz .LBB2_137
; %bb.135:
	v_mov_b32_e32 v12, 0
	global_load_dwordx2 v[6:7], v12, s[2:3] offset:40
	global_load_dwordx2 v[16:17], v12, s[2:3] offset:24 sc0 sc1
	global_load_dwordx2 v[8:9], v12, s[2:3]
	s_waitcnt vmcnt(2)
	v_readfirstlane_b32 s10, v6
	v_readfirstlane_b32 s11, v7
	s_add_u32 s12, s10, 1
	s_addc_u32 s13, s11, 0
	s_add_u32 s0, s12, s4
	s_addc_u32 s1, s13, s5
	s_cmp_eq_u64 s[0:1], 0
	s_cselect_b32 s1, s13, s1
	s_cselect_b32 s0, s12, s0
	s_and_b64 s[4:5], s[0:1], s[10:11]
	s_mul_i32 s5, s5, 24
	s_mul_hi_u32 s10, s4, 24
	s_mul_i32 s4, s4, 24
	s_add_i32 s5, s10, s5
	s_waitcnt vmcnt(0)
	v_lshl_add_u64 v[10:11], v[8:9], 0, s[4:5]
	v_mov_b32_e32 v14, s0
	global_store_dwordx2 v[10:11], v[16:17], off
	v_mov_b32_e32 v15, s1
	buffer_wbl2 sc0 sc1
	s_waitcnt vmcnt(0)
	global_atomic_cmpswap_x2 v[8:9], v12, v[14:17], s[2:3] offset:24 sc0 sc1
	s_mov_b64 s[4:5], 0
	s_waitcnt vmcnt(0)
	v_cmp_ne_u64_e32 vcc, v[8:9], v[16:17]
	s_and_b64 exec, exec, vcc
	s_cbranch_execz .LBB2_137
.LBB2_136:                              ; =>This Inner Loop Header: Depth=1
	s_sleep 1
	global_store_dwordx2 v[10:11], v[8:9], off
	v_mov_b32_e32 v6, s0
	v_mov_b32_e32 v7, s1
	buffer_wbl2 sc0 sc1
	s_waitcnt vmcnt(0)
	global_atomic_cmpswap_x2 v[6:7], v12, v[6:9], s[2:3] offset:24 sc0 sc1
	s_waitcnt vmcnt(0)
	v_cmp_eq_u64_e32 vcc, v[6:7], v[8:9]
	s_or_b64 s[4:5], vcc, s[4:5]
	v_mov_b64_e32 v[8:9], v[6:7]
	s_andn2_b64 exec, exec, s[4:5]
	s_cbranch_execnz .LBB2_136
.LBB2_137:
	s_or_b64 exec, exec, s[6:7]
.LBB2_138:
	s_getpc_b64 s[4:5]
	s_add_u32 s4, s4, .str@rel32@lo+4
	s_addc_u32 s5, s5, .str@rel32@hi+12
	s_cmp_lg_u64 s[4:5], 0
	s_cselect_b64 s[0:1], -1, 0
	s_cmp_eq_u64 s[4:5], 0
	s_mov_b64 s[4:5], 0
	s_cbranch_scc1 .LBB2_142
; %bb.139:
	v_mov_b32_e32 v6, 0
	s_getpc_b64 s[4:5]
	s_add_u32 s4, s4, .str@rel32@lo+3
	s_addc_u32 s5, s5, .str@rel32@hi+11
.LBB2_140:                              ; =>This Inner Loop Header: Depth=1
	global_load_ubyte v7, v6, s[4:5] offset:1
	s_add_u32 s6, s4, 1
	s_addc_u32 s7, s5, 0
	s_mov_b64 s[4:5], s[6:7]
	s_waitcnt vmcnt(0)
	v_cmp_ne_u32_e32 vcc, 0, v7
	s_cbranch_vccnz .LBB2_140
; %bb.141:
	s_getpc_b64 s[4:5]
	s_add_u32 s4, s4, .str@rel32@lo+4
	s_addc_u32 s5, s5, .str@rel32@hi+12
	s_sub_u32 s4, s6, s4
	s_subb_u32 s5, s7, s5
	s_add_u32 s4, s4, 1
	s_addc_u32 s5, s5, 0
.LBB2_142:
	s_and_b64 vcc, exec, s[0:1]
	s_cbranch_vccz .LBB2_227
; %bb.143:
	s_waitcnt vmcnt(0)
	v_and_b32_e32 v32, 2, v4
	v_mov_b32_e32 v35, 0
	v_and_b32_e32 v6, -3, v4
	v_mov_b32_e32 v7, v5
	v_mov_b32_e32 v12, 2
	;; [unrolled: 1-line block ×3, first 2 shown]
	s_getpc_b64 s[6:7]
	s_add_u32 s6, s6, .str@rel32@lo+4
	s_addc_u32 s7, s7, .str@rel32@hi+12
	s_branch .LBB2_145
.LBB2_144:                              ;   in Loop: Header=BB2_145 Depth=1
	s_or_b64 exec, exec, s[14:15]
	s_sub_u32 s4, s4, s10
	s_subb_u32 s5, s5, s11
	s_add_u32 s6, s6, s10
	s_addc_u32 s7, s7, s11
	s_cmp_lg_u64 s[4:5], 0
	s_cbranch_scc0 .LBB2_228
.LBB2_145:                              ; =>This Loop Header: Depth=1
                                        ;     Child Loop BB2_148 Depth 2
                                        ;     Child Loop BB2_156 Depth 2
	;; [unrolled: 1-line block ×11, first 2 shown]
	v_cmp_lt_u64_e64 s[0:1], s[4:5], 56
	s_and_b64 s[0:1], s[0:1], exec
	s_cselect_b32 s11, s5, 0
	s_cselect_b32 s10, s4, 56
	v_cmp_gt_u64_e64 s[12:13], s[4:5], 7
	s_add_u32 s0, s6, 8
	s_addc_u32 s1, s7, 0
	s_and_b64 vcc, exec, s[12:13]
	s_cbranch_vccnz .LBB2_149
; %bb.146:                              ;   in Loop: Header=BB2_145 Depth=1
	s_cmp_eq_u64 s[4:5], 0
	s_cbranch_scc1 .LBB2_150
; %bb.147:                              ;   in Loop: Header=BB2_145 Depth=1
	s_lshl_b64 s[0:1], s[10:11], 3
	s_mov_b64 s[12:13], 0
	v_mov_b64_e32 v[8:9], 0
	s_mov_b64 s[14:15], s[6:7]
.LBB2_148:                              ;   Parent Loop BB2_145 Depth=1
                                        ; =>  This Inner Loop Header: Depth=2
	global_load_ubyte v10, v35, s[14:15]
	s_waitcnt vmcnt(0)
	v_and_b32_e32 v34, 0xffff, v10
	v_lshlrev_b64 v[10:11], s12, v[34:35]
	s_add_u32 s12, s12, 8
	s_addc_u32 s13, s13, 0
	s_add_u32 s14, s14, 1
	s_addc_u32 s15, s15, 0
	v_or_b32_e32 v8, v10, v8
	s_cmp_lg_u32 s0, s12
	v_or_b32_e32 v9, v11, v9
	s_cbranch_scc1 .LBB2_148
	s_branch .LBB2_151
.LBB2_149:                              ;   in Loop: Header=BB2_145 Depth=1
	s_mov_b32 s16, 0
	s_branch .LBB2_152
.LBB2_150:                              ;   in Loop: Header=BB2_145 Depth=1
	v_mov_b64_e32 v[8:9], 0
.LBB2_151:                              ;   in Loop: Header=BB2_145 Depth=1
	s_mov_b64 s[0:1], s[6:7]
	s_mov_b32 s16, 0
	s_cbranch_execnz .LBB2_153
.LBB2_152:                              ;   in Loop: Header=BB2_145 Depth=1
	global_load_dwordx2 v[8:9], v35, s[6:7]
	s_add_i32 s16, s10, -8
.LBB2_153:                              ;   in Loop: Header=BB2_145 Depth=1
	s_add_u32 s12, s0, 8
	s_addc_u32 s13, s1, 0
	s_cmp_gt_u32 s16, 7
	s_cbranch_scc1 .LBB2_157
; %bb.154:                              ;   in Loop: Header=BB2_145 Depth=1
	s_cmp_eq_u32 s16, 0
	s_cbranch_scc1 .LBB2_158
; %bb.155:                              ;   in Loop: Header=BB2_145 Depth=1
	s_mov_b64 s[12:13], 0
	v_mov_b64_e32 v[14:15], 0
	s_mov_b64 s[14:15], 0
.LBB2_156:                              ;   Parent Loop BB2_145 Depth=1
                                        ; =>  This Inner Loop Header: Depth=2
	s_add_u32 s18, s0, s14
	s_addc_u32 s19, s1, s15
	global_load_ubyte v10, v35, s[18:19]
	s_add_u32 s14, s14, 1
	s_addc_u32 s15, s15, 0
	s_waitcnt vmcnt(0)
	v_and_b32_e32 v34, 0xffff, v10
	v_lshlrev_b64 v[10:11], s12, v[34:35]
	s_add_u32 s12, s12, 8
	s_addc_u32 s13, s13, 0
	v_or_b32_e32 v14, v10, v14
	s_cmp_lg_u32 s16, s14
	v_or_b32_e32 v15, v11, v15
	s_cbranch_scc1 .LBB2_156
	s_branch .LBB2_159
.LBB2_157:                              ;   in Loop: Header=BB2_145 Depth=1
                                        ; implicit-def: $vgpr14_vgpr15
	s_mov_b32 s17, 0
	s_branch .LBB2_160
.LBB2_158:                              ;   in Loop: Header=BB2_145 Depth=1
	v_mov_b64_e32 v[14:15], 0
.LBB2_159:                              ;   in Loop: Header=BB2_145 Depth=1
	s_mov_b64 s[12:13], s[0:1]
	s_mov_b32 s17, 0
	s_cbranch_execnz .LBB2_161
.LBB2_160:                              ;   in Loop: Header=BB2_145 Depth=1
	global_load_dwordx2 v[14:15], v35, s[0:1]
	s_add_i32 s17, s16, -8
.LBB2_161:                              ;   in Loop: Header=BB2_145 Depth=1
	s_add_u32 s0, s12, 8
	s_addc_u32 s1, s13, 0
	s_cmp_gt_u32 s17, 7
	s_cbranch_scc1 .LBB2_165
; %bb.162:                              ;   in Loop: Header=BB2_145 Depth=1
	s_cmp_eq_u32 s17, 0
	s_cbranch_scc1 .LBB2_166
; %bb.163:                              ;   in Loop: Header=BB2_145 Depth=1
	s_mov_b64 s[0:1], 0
	v_mov_b64_e32 v[16:17], 0
	s_mov_b64 s[14:15], 0
.LBB2_164:                              ;   Parent Loop BB2_145 Depth=1
                                        ; =>  This Inner Loop Header: Depth=2
	s_add_u32 s18, s12, s14
	s_addc_u32 s19, s13, s15
	global_load_ubyte v10, v35, s[18:19]
	s_add_u32 s14, s14, 1
	s_addc_u32 s15, s15, 0
	s_waitcnt vmcnt(0)
	v_and_b32_e32 v34, 0xffff, v10
	v_lshlrev_b64 v[10:11], s0, v[34:35]
	s_add_u32 s0, s0, 8
	s_addc_u32 s1, s1, 0
	v_or_b32_e32 v16, v10, v16
	s_cmp_lg_u32 s17, s14
	v_or_b32_e32 v17, v11, v17
	s_cbranch_scc1 .LBB2_164
	s_branch .LBB2_167
.LBB2_165:                              ;   in Loop: Header=BB2_145 Depth=1
	s_mov_b32 s16, 0
	s_branch .LBB2_168
.LBB2_166:                              ;   in Loop: Header=BB2_145 Depth=1
	v_mov_b64_e32 v[16:17], 0
.LBB2_167:                              ;   in Loop: Header=BB2_145 Depth=1
	s_mov_b64 s[0:1], s[12:13]
	s_mov_b32 s16, 0
	s_cbranch_execnz .LBB2_169
.LBB2_168:                              ;   in Loop: Header=BB2_145 Depth=1
	global_load_dwordx2 v[16:17], v35, s[12:13]
	s_add_i32 s16, s17, -8
.LBB2_169:                              ;   in Loop: Header=BB2_145 Depth=1
	s_add_u32 s12, s0, 8
	s_addc_u32 s13, s1, 0
	s_cmp_gt_u32 s16, 7
	s_cbranch_scc1 .LBB2_173
; %bb.170:                              ;   in Loop: Header=BB2_145 Depth=1
	s_cmp_eq_u32 s16, 0
	s_cbranch_scc1 .LBB2_174
; %bb.171:                              ;   in Loop: Header=BB2_145 Depth=1
	s_mov_b64 s[12:13], 0
	v_mov_b64_e32 v[18:19], 0
	s_mov_b64 s[14:15], 0
.LBB2_172:                              ;   Parent Loop BB2_145 Depth=1
                                        ; =>  This Inner Loop Header: Depth=2
	s_add_u32 s18, s0, s14
	s_addc_u32 s19, s1, s15
	global_load_ubyte v10, v35, s[18:19]
	s_add_u32 s14, s14, 1
	s_addc_u32 s15, s15, 0
	s_waitcnt vmcnt(0)
	v_and_b32_e32 v34, 0xffff, v10
	v_lshlrev_b64 v[10:11], s12, v[34:35]
	s_add_u32 s12, s12, 8
	s_addc_u32 s13, s13, 0
	v_or_b32_e32 v18, v10, v18
	s_cmp_lg_u32 s16, s14
	v_or_b32_e32 v19, v11, v19
	s_cbranch_scc1 .LBB2_172
	s_branch .LBB2_175
.LBB2_173:                              ;   in Loop: Header=BB2_145 Depth=1
                                        ; implicit-def: $vgpr18_vgpr19
	s_mov_b32 s17, 0
	s_branch .LBB2_176
.LBB2_174:                              ;   in Loop: Header=BB2_145 Depth=1
	v_mov_b64_e32 v[18:19], 0
.LBB2_175:                              ;   in Loop: Header=BB2_145 Depth=1
	s_mov_b64 s[12:13], s[0:1]
	s_mov_b32 s17, 0
	s_cbranch_execnz .LBB2_177
.LBB2_176:                              ;   in Loop: Header=BB2_145 Depth=1
	global_load_dwordx2 v[18:19], v35, s[0:1]
	s_add_i32 s17, s16, -8
.LBB2_177:                              ;   in Loop: Header=BB2_145 Depth=1
	s_add_u32 s0, s12, 8
	s_addc_u32 s1, s13, 0
	s_cmp_gt_u32 s17, 7
	s_cbranch_scc1 .LBB2_181
; %bb.178:                              ;   in Loop: Header=BB2_145 Depth=1
	s_cmp_eq_u32 s17, 0
	s_cbranch_scc1 .LBB2_182
; %bb.179:                              ;   in Loop: Header=BB2_145 Depth=1
	s_mov_b64 s[0:1], 0
	v_mov_b64_e32 v[20:21], 0
	s_mov_b64 s[14:15], 0
.LBB2_180:                              ;   Parent Loop BB2_145 Depth=1
                                        ; =>  This Inner Loop Header: Depth=2
	s_add_u32 s18, s12, s14
	s_addc_u32 s19, s13, s15
	global_load_ubyte v10, v35, s[18:19]
	s_add_u32 s14, s14, 1
	s_addc_u32 s15, s15, 0
	s_waitcnt vmcnt(0)
	v_and_b32_e32 v34, 0xffff, v10
	v_lshlrev_b64 v[10:11], s0, v[34:35]
	s_add_u32 s0, s0, 8
	s_addc_u32 s1, s1, 0
	v_or_b32_e32 v20, v10, v20
	s_cmp_lg_u32 s17, s14
	v_or_b32_e32 v21, v11, v21
	s_cbranch_scc1 .LBB2_180
	s_branch .LBB2_183
.LBB2_181:                              ;   in Loop: Header=BB2_145 Depth=1
	s_mov_b32 s16, 0
	s_branch .LBB2_184
.LBB2_182:                              ;   in Loop: Header=BB2_145 Depth=1
	v_mov_b64_e32 v[20:21], 0
.LBB2_183:                              ;   in Loop: Header=BB2_145 Depth=1
	s_mov_b64 s[0:1], s[12:13]
	s_mov_b32 s16, 0
	s_cbranch_execnz .LBB2_185
.LBB2_184:                              ;   in Loop: Header=BB2_145 Depth=1
	global_load_dwordx2 v[20:21], v35, s[12:13]
	s_add_i32 s16, s17, -8
.LBB2_185:                              ;   in Loop: Header=BB2_145 Depth=1
	s_add_u32 s12, s0, 8
	s_addc_u32 s13, s1, 0
	s_cmp_gt_u32 s16, 7
	s_cbranch_scc1 .LBB2_189
; %bb.186:                              ;   in Loop: Header=BB2_145 Depth=1
	s_cmp_eq_u32 s16, 0
	s_cbranch_scc1 .LBB2_190
; %bb.187:                              ;   in Loop: Header=BB2_145 Depth=1
	s_mov_b64 s[12:13], 0
	v_mov_b64_e32 v[22:23], 0
	s_mov_b64 s[14:15], 0
.LBB2_188:                              ;   Parent Loop BB2_145 Depth=1
                                        ; =>  This Inner Loop Header: Depth=2
	s_add_u32 s18, s0, s14
	s_addc_u32 s19, s1, s15
	global_load_ubyte v10, v35, s[18:19]
	s_add_u32 s14, s14, 1
	s_addc_u32 s15, s15, 0
	s_waitcnt vmcnt(0)
	v_and_b32_e32 v34, 0xffff, v10
	v_lshlrev_b64 v[10:11], s12, v[34:35]
	s_add_u32 s12, s12, 8
	s_addc_u32 s13, s13, 0
	v_or_b32_e32 v22, v10, v22
	s_cmp_lg_u32 s16, s14
	v_or_b32_e32 v23, v11, v23
	s_cbranch_scc1 .LBB2_188
	s_branch .LBB2_191
.LBB2_189:                              ;   in Loop: Header=BB2_145 Depth=1
                                        ; implicit-def: $vgpr22_vgpr23
	s_mov_b32 s17, 0
	s_branch .LBB2_192
.LBB2_190:                              ;   in Loop: Header=BB2_145 Depth=1
	v_mov_b64_e32 v[22:23], 0
.LBB2_191:                              ;   in Loop: Header=BB2_145 Depth=1
	s_mov_b64 s[12:13], s[0:1]
	s_mov_b32 s17, 0
	s_cbranch_execnz .LBB2_193
.LBB2_192:                              ;   in Loop: Header=BB2_145 Depth=1
	global_load_dwordx2 v[22:23], v35, s[0:1]
	s_add_i32 s17, s16, -8
.LBB2_193:                              ;   in Loop: Header=BB2_145 Depth=1
	s_cmp_gt_u32 s17, 7
	s_cbranch_scc1 .LBB2_197
; %bb.194:                              ;   in Loop: Header=BB2_145 Depth=1
	s_cmp_eq_u32 s17, 0
	s_cbranch_scc1 .LBB2_198
; %bb.195:                              ;   in Loop: Header=BB2_145 Depth=1
	s_mov_b64 s[0:1], 0
	v_mov_b64_e32 v[24:25], 0
	s_mov_b64 s[14:15], s[12:13]
.LBB2_196:                              ;   Parent Loop BB2_145 Depth=1
                                        ; =>  This Inner Loop Header: Depth=2
	global_load_ubyte v10, v35, s[14:15]
	s_add_i32 s17, s17, -1
	s_waitcnt vmcnt(0)
	v_and_b32_e32 v34, 0xffff, v10
	v_lshlrev_b64 v[10:11], s0, v[34:35]
	s_add_u32 s0, s0, 8
	s_addc_u32 s1, s1, 0
	s_add_u32 s14, s14, 1
	s_addc_u32 s15, s15, 0
	v_or_b32_e32 v24, v10, v24
	s_cmp_lg_u32 s17, 0
	v_or_b32_e32 v25, v11, v25
	s_cbranch_scc1 .LBB2_196
	s_branch .LBB2_199
.LBB2_197:                              ;   in Loop: Header=BB2_145 Depth=1
	s_branch .LBB2_200
.LBB2_198:                              ;   in Loop: Header=BB2_145 Depth=1
	v_mov_b64_e32 v[24:25], 0
.LBB2_199:                              ;   in Loop: Header=BB2_145 Depth=1
	s_cbranch_execnz .LBB2_201
.LBB2_200:                              ;   in Loop: Header=BB2_145 Depth=1
	global_load_dwordx2 v[24:25], v35, s[12:13]
.LBB2_201:                              ;   in Loop: Header=BB2_145 Depth=1
	v_readfirstlane_b32 s0, v1
	v_mov_b64_e32 v[10:11], 0
	s_nop 0
	v_cmp_eq_u32_e64 s[0:1], s0, v1
	s_and_saveexec_b64 s[12:13], s[0:1]
	s_cbranch_execz .LBB2_207
; %bb.202:                              ;   in Loop: Header=BB2_145 Depth=1
	global_load_dwordx2 v[28:29], v35, s[2:3] offset:24 sc0 sc1
	s_waitcnt vmcnt(0)
	buffer_inv sc0 sc1
	global_load_dwordx2 v[10:11], v35, s[2:3] offset:40
	global_load_dwordx2 v[26:27], v35, s[2:3]
	s_waitcnt vmcnt(1)
	v_and_b32_e32 v10, v10, v28
	v_and_b32_e32 v11, v11, v29
	v_mul_lo_u32 v11, v11, 24
	v_mul_hi_u32 v31, v10, 24
	v_add_u32_e32 v11, v31, v11
	v_mul_lo_u32 v10, v10, 24
	s_waitcnt vmcnt(0)
	v_lshl_add_u64 v[10:11], v[26:27], 0, v[10:11]
	global_load_dwordx2 v[26:27], v[10:11], off sc0 sc1
	s_waitcnt vmcnt(0)
	global_atomic_cmpswap_x2 v[10:11], v35, v[26:29], s[2:3] offset:24 sc0 sc1
	s_waitcnt vmcnt(0)
	buffer_inv sc0 sc1
	v_cmp_ne_u64_e32 vcc, v[10:11], v[28:29]
	s_and_saveexec_b64 s[14:15], vcc
	s_cbranch_execz .LBB2_206
; %bb.203:                              ;   in Loop: Header=BB2_145 Depth=1
	s_mov_b64 s[16:17], 0
.LBB2_204:                              ;   Parent Loop BB2_145 Depth=1
                                        ; =>  This Inner Loop Header: Depth=2
	s_sleep 1
	global_load_dwordx2 v[26:27], v35, s[2:3] offset:40
	global_load_dwordx2 v[36:37], v35, s[2:3]
	v_mov_b64_e32 v[28:29], v[10:11]
	s_waitcnt vmcnt(1)
	v_and_b32_e32 v10, v26, v28
	s_waitcnt vmcnt(0)
	v_mad_u64_u32 v[10:11], s[18:19], v10, 24, v[36:37]
	v_and_b32_e32 v27, v27, v29
	v_mov_b32_e32 v26, v11
	v_mad_u64_u32 v[26:27], s[18:19], v27, 24, v[26:27]
	v_mov_b32_e32 v11, v26
	global_load_dwordx2 v[26:27], v[10:11], off sc0 sc1
	s_waitcnt vmcnt(0)
	global_atomic_cmpswap_x2 v[10:11], v35, v[26:29], s[2:3] offset:24 sc0 sc1
	s_waitcnt vmcnt(0)
	buffer_inv sc0 sc1
	v_cmp_eq_u64_e32 vcc, v[10:11], v[28:29]
	s_or_b64 s[16:17], vcc, s[16:17]
	s_andn2_b64 exec, exec, s[16:17]
	s_cbranch_execnz .LBB2_204
; %bb.205:                              ;   in Loop: Header=BB2_145 Depth=1
	s_or_b64 exec, exec, s[16:17]
.LBB2_206:                              ;   in Loop: Header=BB2_145 Depth=1
	s_or_b64 exec, exec, s[14:15]
.LBB2_207:                              ;   in Loop: Header=BB2_145 Depth=1
	s_or_b64 exec, exec, s[12:13]
	global_load_dwordx2 v[36:37], v35, s[2:3] offset:40
	global_load_dwordx4 v[26:29], v35, s[2:3]
	v_readfirstlane_b32 s13, v11
	v_readfirstlane_b32 s12, v10
	s_mov_b64 s[14:15], exec
	s_waitcnt vmcnt(1)
	v_readfirstlane_b32 s16, v36
	v_readfirstlane_b32 s17, v37
	s_and_b64 s[16:17], s[16:17], s[12:13]
	s_mul_i32 s18, s17, 24
	s_mul_hi_u32 s19, s16, 24
	s_add_i32 s19, s19, s18
	s_mul_i32 s18, s16, 24
	s_waitcnt vmcnt(0)
	v_lshl_add_u64 v[36:37], v[26:27], 0, s[18:19]
	s_and_saveexec_b64 s[18:19], s[0:1]
	s_cbranch_execz .LBB2_209
; %bb.208:                              ;   in Loop: Header=BB2_145 Depth=1
	v_mov_b64_e32 v[10:11], s[14:15]
	global_store_dwordx4 v[36:37], v[10:13], off offset:8
.LBB2_209:                              ;   in Loop: Header=BB2_145 Depth=1
	s_or_b64 exec, exec, s[18:19]
	s_lshl_b64 s[14:15], s[16:17], 12
	v_lshl_add_u64 v[10:11], v[28:29], 0, s[14:15]
	v_cmp_lt_u64_e64 vcc, s[4:5], 57
	s_lshl_b32 s14, s10, 2
	s_add_i32 s14, s14, 28
	v_cndmask_b32_e32 v28, 0, v32, vcc
	v_and_b32_e32 v6, 0xffffff1f, v6
	s_and_b32 s14, s14, 0x1e0
	v_or_b32_e32 v6, v6, v28
	v_or_b32_e32 v6, s14, v6
	v_readfirstlane_b32 s14, v10
	v_readfirstlane_b32 s15, v11
	s_nop 4
	global_store_dwordx4 v30, v[6:9], s[14:15]
	global_store_dwordx4 v30, v[14:17], s[14:15] offset:16
	global_store_dwordx4 v30, v[18:21], s[14:15] offset:32
	;; [unrolled: 1-line block ×3, first 2 shown]
	s_and_saveexec_b64 s[14:15], s[0:1]
	s_cbranch_execz .LBB2_217
; %bb.210:                              ;   in Loop: Header=BB2_145 Depth=1
	global_load_dwordx2 v[18:19], v35, s[2:3] offset:32 sc0 sc1
	global_load_dwordx2 v[6:7], v35, s[2:3] offset:40
	v_mov_b32_e32 v16, s12
	v_mov_b32_e32 v17, s13
	s_waitcnt vmcnt(0)
	v_readfirstlane_b32 s16, v6
	v_readfirstlane_b32 s17, v7
	s_and_b64 s[16:17], s[16:17], s[12:13]
	s_mul_i32 s17, s17, 24
	s_mul_hi_u32 s18, s16, 24
	s_mul_i32 s16, s16, 24
	s_add_i32 s17, s18, s17
	v_lshl_add_u64 v[14:15], v[26:27], 0, s[16:17]
	global_store_dwordx2 v[14:15], v[18:19], off
	buffer_wbl2 sc0 sc1
	s_waitcnt vmcnt(0)
	global_atomic_cmpswap_x2 v[8:9], v35, v[16:19], s[2:3] offset:32 sc0 sc1
	s_waitcnt vmcnt(0)
	v_cmp_ne_u64_e32 vcc, v[8:9], v[18:19]
	s_and_saveexec_b64 s[16:17], vcc
	s_cbranch_execz .LBB2_213
; %bb.211:                              ;   in Loop: Header=BB2_145 Depth=1
	s_mov_b64 s[18:19], 0
.LBB2_212:                              ;   Parent Loop BB2_145 Depth=1
                                        ; =>  This Inner Loop Header: Depth=2
	s_sleep 1
	global_store_dwordx2 v[14:15], v[8:9], off
	v_mov_b32_e32 v6, s12
	v_mov_b32_e32 v7, s13
	buffer_wbl2 sc0 sc1
	s_waitcnt vmcnt(0)
	global_atomic_cmpswap_x2 v[6:7], v35, v[6:9], s[2:3] offset:32 sc0 sc1
	s_waitcnt vmcnt(0)
	v_cmp_eq_u64_e32 vcc, v[6:7], v[8:9]
	s_or_b64 s[18:19], vcc, s[18:19]
	v_mov_b64_e32 v[8:9], v[6:7]
	s_andn2_b64 exec, exec, s[18:19]
	s_cbranch_execnz .LBB2_212
.LBB2_213:                              ;   in Loop: Header=BB2_145 Depth=1
	s_or_b64 exec, exec, s[16:17]
	global_load_dwordx2 v[6:7], v35, s[2:3] offset:16
	s_mov_b64 s[18:19], exec
	v_mbcnt_lo_u32_b32 v8, s18, 0
	v_mbcnt_hi_u32_b32 v8, s19, v8
	v_cmp_eq_u32_e32 vcc, 0, v8
	s_and_saveexec_b64 s[16:17], vcc
	s_cbranch_execz .LBB2_215
; %bb.214:                              ;   in Loop: Header=BB2_145 Depth=1
	s_bcnt1_i32_b64 s18, s[18:19]
	v_mov_b32_e32 v34, s18
	buffer_wbl2 sc0 sc1
	s_waitcnt vmcnt(0)
	global_atomic_add_x2 v[6:7], v[34:35], off offset:8 sc1
.LBB2_215:                              ;   in Loop: Header=BB2_145 Depth=1
	s_or_b64 exec, exec, s[16:17]
	s_waitcnt vmcnt(0)
	global_load_dwordx2 v[8:9], v[6:7], off offset:16
	s_waitcnt vmcnt(0)
	v_cmp_eq_u64_e32 vcc, 0, v[8:9]
	s_cbranch_vccnz .LBB2_217
; %bb.216:                              ;   in Loop: Header=BB2_145 Depth=1
	global_load_dword v34, v[6:7], off offset:24
	s_waitcnt vmcnt(0)
	v_readfirstlane_b32 s16, v34
	s_and_b32 m0, s16, 0xffffff
	buffer_wbl2 sc0 sc1
	global_store_dwordx2 v[8:9], v[34:35], off sc0 sc1
	s_sendmsg sendmsg(MSG_INTERRUPT)
.LBB2_217:                              ;   in Loop: Header=BB2_145 Depth=1
	s_or_b64 exec, exec, s[14:15]
	v_mov_b32_e32 v31, v35
	v_lshl_add_u64 v[6:7], v[10:11], 0, v[30:31]
	s_branch .LBB2_221
.LBB2_218:                              ;   in Loop: Header=BB2_221 Depth=2
	s_or_b64 exec, exec, s[14:15]
	v_readfirstlane_b32 s14, v8
	s_cmp_eq_u32 s14, 0
	s_cbranch_scc1 .LBB2_220
; %bb.219:                              ;   in Loop: Header=BB2_221 Depth=2
	s_sleep 1
	s_cbranch_execnz .LBB2_221
	s_branch .LBB2_223
.LBB2_220:                              ;   in Loop: Header=BB2_145 Depth=1
	s_branch .LBB2_223
.LBB2_221:                              ;   Parent Loop BB2_145 Depth=1
                                        ; =>  This Inner Loop Header: Depth=2
	v_mov_b32_e32 v8, 1
	s_and_saveexec_b64 s[14:15], s[0:1]
	s_cbranch_execz .LBB2_218
; %bb.222:                              ;   in Loop: Header=BB2_221 Depth=2
	global_load_dword v8, v[36:37], off offset:20 sc0 sc1
	s_waitcnt vmcnt(0)
	buffer_inv sc0 sc1
	v_and_b32_e32 v8, 1, v8
	s_branch .LBB2_218
.LBB2_223:                              ;   in Loop: Header=BB2_145 Depth=1
	global_load_dwordx2 v[6:7], v[6:7], off
	s_and_saveexec_b64 s[14:15], s[0:1]
	s_cbranch_execz .LBB2_144
; %bb.224:                              ;   in Loop: Header=BB2_145 Depth=1
	global_load_dwordx2 v[8:9], v35, s[2:3] offset:40
	global_load_dwordx2 v[18:19], v35, s[2:3] offset:24 sc0 sc1
	global_load_dwordx2 v[10:11], v35, s[2:3]
	s_waitcnt vmcnt(2)
	v_readfirstlane_b32 s16, v8
	v_readfirstlane_b32 s17, v9
	s_add_u32 s18, s16, 1
	s_addc_u32 s19, s17, 0
	s_add_u32 s0, s18, s12
	s_addc_u32 s1, s19, s13
	s_cmp_eq_u64 s[0:1], 0
	s_cselect_b32 s1, s19, s1
	s_cselect_b32 s0, s18, s0
	s_and_b64 s[12:13], s[0:1], s[16:17]
	s_mul_i32 s13, s13, 24
	s_mul_hi_u32 s16, s12, 24
	s_mul_i32 s12, s12, 24
	s_add_i32 s13, s16, s13
	s_waitcnt vmcnt(0)
	v_lshl_add_u64 v[14:15], v[10:11], 0, s[12:13]
	v_mov_b32_e32 v16, s0
	global_store_dwordx2 v[14:15], v[18:19], off
	v_mov_b32_e32 v17, s1
	buffer_wbl2 sc0 sc1
	s_waitcnt vmcnt(0)
	global_atomic_cmpswap_x2 v[10:11], v35, v[16:19], s[2:3] offset:24 sc0 sc1
	s_waitcnt vmcnt(0)
	v_cmp_ne_u64_e32 vcc, v[10:11], v[18:19]
	s_and_b64 exec, exec, vcc
	s_cbranch_execz .LBB2_144
; %bb.225:                              ;   in Loop: Header=BB2_145 Depth=1
	s_mov_b64 s[12:13], 0
.LBB2_226:                              ;   Parent Loop BB2_145 Depth=1
                                        ; =>  This Inner Loop Header: Depth=2
	s_sleep 1
	global_store_dwordx2 v[14:15], v[10:11], off
	v_mov_b32_e32 v8, s0
	v_mov_b32_e32 v9, s1
	buffer_wbl2 sc0 sc1
	s_waitcnt vmcnt(0)
	global_atomic_cmpswap_x2 v[8:9], v35, v[8:11], s[2:3] offset:24 sc0 sc1
	s_waitcnt vmcnt(0)
	v_cmp_eq_u64_e32 vcc, v[8:9], v[10:11]
	s_or_b64 s[12:13], vcc, s[12:13]
	v_mov_b64_e32 v[10:11], v[8:9]
	s_andn2_b64 exec, exec, s[12:13]
	s_cbranch_execnz .LBB2_226
	s_branch .LBB2_144
.LBB2_227:
                                        ; implicit-def: $vgpr6_vgpr7
	s_cbranch_execnz .LBB2_229
	s_branch .LBB2_255
.LBB2_228:
	s_branch .LBB2_255
.LBB2_229:
	v_readfirstlane_b32 s0, v1
	s_waitcnt vmcnt(0)
	v_mov_b64_e32 v[6:7], 0
	v_cmp_eq_u32_e64 s[0:1], s0, v1
	s_and_saveexec_b64 s[4:5], s[0:1]
	s_cbranch_execz .LBB2_235
; %bb.230:
	v_mov_b32_e32 v8, 0
	global_load_dwordx2 v[12:13], v8, s[2:3] offset:24 sc0 sc1
	s_waitcnt vmcnt(0)
	buffer_inv sc0 sc1
	global_load_dwordx2 v[6:7], v8, s[2:3] offset:40
	global_load_dwordx2 v[10:11], v8, s[2:3]
	s_waitcnt vmcnt(1)
	v_and_b32_e32 v6, v6, v12
	v_and_b32_e32 v7, v7, v13
	v_mul_lo_u32 v7, v7, 24
	v_mul_hi_u32 v9, v6, 24
	v_add_u32_e32 v7, v9, v7
	v_mul_lo_u32 v6, v6, 24
	s_waitcnt vmcnt(0)
	v_lshl_add_u64 v[6:7], v[10:11], 0, v[6:7]
	global_load_dwordx2 v[10:11], v[6:7], off sc0 sc1
	s_waitcnt vmcnt(0)
	global_atomic_cmpswap_x2 v[6:7], v8, v[10:13], s[2:3] offset:24 sc0 sc1
	s_waitcnt vmcnt(0)
	buffer_inv sc0 sc1
	v_cmp_ne_u64_e32 vcc, v[6:7], v[12:13]
	s_and_saveexec_b64 s[6:7], vcc
	s_cbranch_execz .LBB2_234
; %bb.231:
	s_mov_b64 s[10:11], 0
.LBB2_232:                              ; =>This Inner Loop Header: Depth=1
	s_sleep 1
	global_load_dwordx2 v[10:11], v8, s[2:3] offset:40
	global_load_dwordx2 v[14:15], v8, s[2:3]
	v_mov_b64_e32 v[12:13], v[6:7]
	s_waitcnt vmcnt(1)
	v_and_b32_e32 v6, v10, v12
	s_waitcnt vmcnt(0)
	v_mad_u64_u32 v[6:7], s[12:13], v6, 24, v[14:15]
	v_and_b32_e32 v9, v11, v13
	v_mov_b32_e32 v10, v7
	v_mad_u64_u32 v[10:11], s[12:13], v9, 24, v[10:11]
	v_mov_b32_e32 v7, v10
	global_load_dwordx2 v[10:11], v[6:7], off sc0 sc1
	s_waitcnt vmcnt(0)
	global_atomic_cmpswap_x2 v[6:7], v8, v[10:13], s[2:3] offset:24 sc0 sc1
	s_waitcnt vmcnt(0)
	buffer_inv sc0 sc1
	v_cmp_eq_u64_e32 vcc, v[6:7], v[12:13]
	s_or_b64 s[10:11], vcc, s[10:11]
	s_andn2_b64 exec, exec, s[10:11]
	s_cbranch_execnz .LBB2_232
; %bb.233:
	s_or_b64 exec, exec, s[10:11]
.LBB2_234:
	s_or_b64 exec, exec, s[6:7]
.LBB2_235:
	s_or_b64 exec, exec, s[4:5]
	v_mov_b32_e32 v31, 0
	global_load_dwordx2 v[12:13], v31, s[2:3] offset:40
	global_load_dwordx4 v[8:11], v31, s[2:3]
	v_readfirstlane_b32 s5, v7
	v_readfirstlane_b32 s4, v6
	s_mov_b64 s[6:7], exec
	s_waitcnt vmcnt(1)
	v_readfirstlane_b32 s10, v12
	v_readfirstlane_b32 s11, v13
	s_and_b64 s[10:11], s[10:11], s[4:5]
	s_mul_i32 s12, s11, 24
	s_mul_hi_u32 s13, s10, 24
	s_add_i32 s13, s13, s12
	s_mul_i32 s12, s10, 24
	s_waitcnt vmcnt(0)
	v_lshl_add_u64 v[12:13], v[8:9], 0, s[12:13]
	s_and_saveexec_b64 s[12:13], s[0:1]
	s_cbranch_execz .LBB2_237
; %bb.236:
	v_mov_b64_e32 v[14:15], s[6:7]
	v_mov_b32_e32 v16, 2
	v_mov_b32_e32 v17, 1
	global_store_dwordx4 v[12:13], v[14:17], off offset:8
.LBB2_237:
	s_or_b64 exec, exec, s[12:13]
	s_lshl_b64 s[6:7], s[10:11], 12
	v_lshl_add_u64 v[10:11], v[10:11], 0, s[6:7]
	s_movk_i32 s6, 0xff1f
	s_mov_b32 s12, 0
	v_and_or_b32 v4, v4, s6, 32
	v_mov_b32_e32 v6, v31
	v_mov_b32_e32 v7, v31
	v_readfirstlane_b32 s6, v10
	v_readfirstlane_b32 s7, v11
	s_mov_b32 s13, s12
	s_mov_b32 s14, s12
	;; [unrolled: 1-line block ×3, first 2 shown]
	s_nop 1
	global_store_dwordx4 v30, v[4:7], s[6:7]
	s_nop 1
	v_mov_b64_e32 v[4:5], s[12:13]
	v_mov_b64_e32 v[6:7], s[14:15]
	global_store_dwordx4 v30, v[4:7], s[6:7] offset:16
	global_store_dwordx4 v30, v[4:7], s[6:7] offset:32
	;; [unrolled: 1-line block ×3, first 2 shown]
	s_and_saveexec_b64 s[6:7], s[0:1]
	s_cbranch_execz .LBB2_245
; %bb.238:
	v_mov_b32_e32 v14, 0
	global_load_dwordx2 v[18:19], v14, s[2:3] offset:32 sc0 sc1
	global_load_dwordx2 v[4:5], v14, s[2:3] offset:40
	v_mov_b32_e32 v16, s4
	v_mov_b32_e32 v17, s5
	s_waitcnt vmcnt(0)
	v_readfirstlane_b32 s10, v4
	v_readfirstlane_b32 s11, v5
	s_and_b64 s[10:11], s[10:11], s[4:5]
	s_mul_i32 s11, s11, 24
	s_mul_hi_u32 s12, s10, 24
	s_mul_i32 s10, s10, 24
	s_add_i32 s11, s12, s11
	v_lshl_add_u64 v[8:9], v[8:9], 0, s[10:11]
	global_store_dwordx2 v[8:9], v[18:19], off
	buffer_wbl2 sc0 sc1
	s_waitcnt vmcnt(0)
	global_atomic_cmpswap_x2 v[6:7], v14, v[16:19], s[2:3] offset:32 sc0 sc1
	s_waitcnt vmcnt(0)
	v_cmp_ne_u64_e32 vcc, v[6:7], v[18:19]
	s_and_saveexec_b64 s[10:11], vcc
	s_cbranch_execz .LBB2_241
; %bb.239:
	s_mov_b64 s[12:13], 0
.LBB2_240:                              ; =>This Inner Loop Header: Depth=1
	s_sleep 1
	global_store_dwordx2 v[8:9], v[6:7], off
	v_mov_b32_e32 v4, s4
	v_mov_b32_e32 v5, s5
	buffer_wbl2 sc0 sc1
	s_waitcnt vmcnt(0)
	global_atomic_cmpswap_x2 v[4:5], v14, v[4:7], s[2:3] offset:32 sc0 sc1
	s_waitcnt vmcnt(0)
	v_cmp_eq_u64_e32 vcc, v[4:5], v[6:7]
	s_or_b64 s[12:13], vcc, s[12:13]
	v_mov_b64_e32 v[6:7], v[4:5]
	s_andn2_b64 exec, exec, s[12:13]
	s_cbranch_execnz .LBB2_240
.LBB2_241:
	s_or_b64 exec, exec, s[10:11]
	v_mov_b32_e32 v7, 0
	global_load_dwordx2 v[4:5], v7, s[2:3] offset:16
	s_mov_b64 s[10:11], exec
	v_mbcnt_lo_u32_b32 v6, s10, 0
	v_mbcnt_hi_u32_b32 v6, s11, v6
	v_cmp_eq_u32_e32 vcc, 0, v6
	s_and_saveexec_b64 s[12:13], vcc
	s_cbranch_execz .LBB2_243
; %bb.242:
	s_bcnt1_i32_b64 s10, s[10:11]
	v_mov_b32_e32 v6, s10
	buffer_wbl2 sc0 sc1
	s_waitcnt vmcnt(0)
	global_atomic_add_x2 v[4:5], v[6:7], off offset:8 sc1
.LBB2_243:
	s_or_b64 exec, exec, s[12:13]
	s_waitcnt vmcnt(0)
	global_load_dwordx2 v[6:7], v[4:5], off offset:16
	s_waitcnt vmcnt(0)
	v_cmp_eq_u64_e32 vcc, 0, v[6:7]
	s_cbranch_vccnz .LBB2_245
; %bb.244:
	global_load_dword v4, v[4:5], off offset:24
	v_mov_b32_e32 v5, 0
	s_waitcnt vmcnt(0)
	v_readfirstlane_b32 s10, v4
	s_and_b32 m0, s10, 0xffffff
	buffer_wbl2 sc0 sc1
	global_store_dwordx2 v[6:7], v[4:5], off sc0 sc1
	s_sendmsg sendmsg(MSG_INTERRUPT)
.LBB2_245:
	s_or_b64 exec, exec, s[6:7]
	v_lshl_add_u64 v[4:5], v[10:11], 0, v[30:31]
	s_branch .LBB2_249
.LBB2_246:                              ;   in Loop: Header=BB2_249 Depth=1
	s_or_b64 exec, exec, s[6:7]
	v_readfirstlane_b32 s6, v6
	s_cmp_eq_u32 s6, 0
	s_cbranch_scc1 .LBB2_248
; %bb.247:                              ;   in Loop: Header=BB2_249 Depth=1
	s_sleep 1
	s_cbranch_execnz .LBB2_249
	s_branch .LBB2_251
.LBB2_248:
	s_branch .LBB2_251
.LBB2_249:                              ; =>This Inner Loop Header: Depth=1
	v_mov_b32_e32 v6, 1
	s_and_saveexec_b64 s[6:7], s[0:1]
	s_cbranch_execz .LBB2_246
; %bb.250:                              ;   in Loop: Header=BB2_249 Depth=1
	global_load_dword v6, v[12:13], off offset:20 sc0 sc1
	s_waitcnt vmcnt(0)
	buffer_inv sc0 sc1
	v_and_b32_e32 v6, 1, v6
	s_branch .LBB2_246
.LBB2_251:
	global_load_dwordx2 v[6:7], v[4:5], off
	s_and_saveexec_b64 s[6:7], s[0:1]
	s_cbranch_execz .LBB2_254
; %bb.252:
	v_mov_b32_e32 v12, 0
	global_load_dwordx2 v[4:5], v12, s[2:3] offset:40
	global_load_dwordx2 v[16:17], v12, s[2:3] offset:24 sc0 sc1
	global_load_dwordx2 v[8:9], v12, s[2:3]
	s_waitcnt vmcnt(2)
	v_readfirstlane_b32 s10, v4
	v_readfirstlane_b32 s11, v5
	s_add_u32 s12, s10, 1
	s_addc_u32 s13, s11, 0
	s_add_u32 s0, s12, s4
	s_addc_u32 s1, s13, s5
	s_cmp_eq_u64 s[0:1], 0
	s_cselect_b32 s1, s13, s1
	s_cselect_b32 s0, s12, s0
	s_and_b64 s[4:5], s[0:1], s[10:11]
	s_mul_i32 s5, s5, 24
	s_mul_hi_u32 s10, s4, 24
	s_mul_i32 s4, s4, 24
	s_add_i32 s5, s10, s5
	s_waitcnt vmcnt(0)
	v_lshl_add_u64 v[4:5], v[8:9], 0, s[4:5]
	v_mov_b32_e32 v14, s0
	global_store_dwordx2 v[4:5], v[16:17], off
	v_mov_b32_e32 v15, s1
	buffer_wbl2 sc0 sc1
	s_waitcnt vmcnt(0)
	global_atomic_cmpswap_x2 v[10:11], v12, v[14:17], s[2:3] offset:24 sc0 sc1
	s_mov_b64 s[4:5], 0
	s_waitcnt vmcnt(0)
	v_cmp_ne_u64_e32 vcc, v[10:11], v[16:17]
	s_and_b64 exec, exec, vcc
	s_cbranch_execz .LBB2_254
.LBB2_253:                              ; =>This Inner Loop Header: Depth=1
	s_sleep 1
	global_store_dwordx2 v[4:5], v[10:11], off
	v_mov_b32_e32 v8, s0
	v_mov_b32_e32 v9, s1
	buffer_wbl2 sc0 sc1
	s_waitcnt vmcnt(0)
	global_atomic_cmpswap_x2 v[8:9], v12, v[8:11], s[2:3] offset:24 sc0 sc1
	s_waitcnt vmcnt(0)
	v_cmp_eq_u64_e32 vcc, v[8:9], v[10:11]
	s_or_b64 s[4:5], vcc, s[4:5]
	v_mov_b64_e32 v[10:11], v[8:9]
	s_andn2_b64 exec, exec, s[4:5]
	s_cbranch_execnz .LBB2_253
.LBB2_254:
	s_or_b64 exec, exec, s[6:7]
.LBB2_255:
	v_readfirstlane_b32 s0, v1
	s_waitcnt vmcnt(0)
	v_mov_b64_e32 v[4:5], 0
	v_cmp_eq_u32_e64 s[0:1], s0, v1
	s_and_saveexec_b64 s[4:5], s[0:1]
	s_cbranch_execz .LBB2_261
; %bb.256:
	v_mov_b32_e32 v1, 0
	global_load_dwordx2 v[10:11], v1, s[2:3] offset:24 sc0 sc1
	s_waitcnt vmcnt(0)
	buffer_inv sc0 sc1
	global_load_dwordx2 v[4:5], v1, s[2:3] offset:40
	global_load_dwordx2 v[8:9], v1, s[2:3]
	s_waitcnt vmcnt(1)
	v_and_b32_e32 v4, v4, v10
	v_and_b32_e32 v5, v5, v11
	v_mul_lo_u32 v5, v5, 24
	v_mul_hi_u32 v12, v4, 24
	v_add_u32_e32 v5, v12, v5
	v_mul_lo_u32 v4, v4, 24
	s_waitcnt vmcnt(0)
	v_lshl_add_u64 v[4:5], v[8:9], 0, v[4:5]
	global_load_dwordx2 v[8:9], v[4:5], off sc0 sc1
	s_waitcnt vmcnt(0)
	global_atomic_cmpswap_x2 v[4:5], v1, v[8:11], s[2:3] offset:24 sc0 sc1
	s_waitcnt vmcnt(0)
	buffer_inv sc0 sc1
	v_cmp_ne_u64_e32 vcc, v[4:5], v[10:11]
	s_and_saveexec_b64 s[6:7], vcc
	s_cbranch_execz .LBB2_260
; %bb.257:
	s_mov_b64 s[10:11], 0
.LBB2_258:                              ; =>This Inner Loop Header: Depth=1
	s_sleep 1
	global_load_dwordx2 v[8:9], v1, s[2:3] offset:40
	global_load_dwordx2 v[12:13], v1, s[2:3]
	v_mov_b64_e32 v[10:11], v[4:5]
	s_waitcnt vmcnt(1)
	v_and_b32_e32 v4, v8, v10
	s_waitcnt vmcnt(0)
	v_mad_u64_u32 v[4:5], s[12:13], v4, 24, v[12:13]
	v_and_b32_e32 v9, v9, v11
	v_mov_b32_e32 v8, v5
	v_mad_u64_u32 v[8:9], s[12:13], v9, 24, v[8:9]
	v_mov_b32_e32 v5, v8
	global_load_dwordx2 v[8:9], v[4:5], off sc0 sc1
	s_waitcnt vmcnt(0)
	global_atomic_cmpswap_x2 v[4:5], v1, v[8:11], s[2:3] offset:24 sc0 sc1
	s_waitcnt vmcnt(0)
	buffer_inv sc0 sc1
	v_cmp_eq_u64_e32 vcc, v[4:5], v[10:11]
	s_or_b64 s[10:11], vcc, s[10:11]
	s_andn2_b64 exec, exec, s[10:11]
	s_cbranch_execnz .LBB2_258
; %bb.259:
	s_or_b64 exec, exec, s[10:11]
.LBB2_260:
	s_or_b64 exec, exec, s[6:7]
.LBB2_261:
	s_or_b64 exec, exec, s[4:5]
	v_mov_b32_e32 v31, 0
	global_load_dwordx2 v[8:9], v31, s[2:3] offset:40
	global_load_dwordx4 v[10:13], v31, s[2:3]
	v_readfirstlane_b32 s5, v5
	v_readfirstlane_b32 s4, v4
	s_mov_b64 s[6:7], exec
	s_waitcnt vmcnt(1)
	v_readfirstlane_b32 s10, v8
	v_readfirstlane_b32 s11, v9
	s_and_b64 s[10:11], s[10:11], s[4:5]
	s_mul_i32 s12, s11, 24
	s_mul_hi_u32 s13, s10, 24
	s_add_i32 s13, s13, s12
	s_mul_i32 s12, s10, 24
	s_waitcnt vmcnt(0)
	v_lshl_add_u64 v[14:15], v[10:11], 0, s[12:13]
	s_and_saveexec_b64 s[12:13], s[0:1]
	s_cbranch_execz .LBB2_263
; %bb.262:
	v_mov_b64_e32 v[16:17], s[6:7]
	v_mov_b32_e32 v18, 2
	v_mov_b32_e32 v19, 1
	global_store_dwordx4 v[14:15], v[16:19], off offset:8
.LBB2_263:
	s_or_b64 exec, exec, s[12:13]
	s_lshl_b64 s[6:7], s[10:11], 12
	v_lshl_add_u64 v[12:13], v[12:13], 0, s[6:7]
	s_movk_i32 s6, 0xff1f
	s_mov_b32 s12, 0
	v_and_or_b32 v6, v6, s6, 32
	v_mov_b32_e32 v8, v0
	v_mov_b32_e32 v9, v31
	v_readfirstlane_b32 s6, v12
	v_readfirstlane_b32 s7, v13
	s_mov_b32 s13, s12
	s_mov_b32 s14, s12
	;; [unrolled: 1-line block ×3, first 2 shown]
	s_nop 1
	global_store_dwordx4 v30, v[6:9], s[6:7]
	v_mov_b64_e32 v[4:5], s[12:13]
	s_nop 0
	v_mov_b64_e32 v[6:7], s[14:15]
	global_store_dwordx4 v30, v[4:7], s[6:7] offset:16
	global_store_dwordx4 v30, v[4:7], s[6:7] offset:32
	;; [unrolled: 1-line block ×3, first 2 shown]
	s_and_saveexec_b64 s[6:7], s[0:1]
	s_cbranch_execz .LBB2_271
; %bb.264:
	v_mov_b32_e32 v8, 0
	global_load_dwordx2 v[18:19], v8, s[2:3] offset:32 sc0 sc1
	global_load_dwordx2 v[0:1], v8, s[2:3] offset:40
	v_mov_b32_e32 v16, s4
	v_mov_b32_e32 v17, s5
	s_waitcnt vmcnt(0)
	v_readfirstlane_b32 s10, v0
	v_readfirstlane_b32 s11, v1
	s_and_b64 s[10:11], s[10:11], s[4:5]
	s_mul_i32 s11, s11, 24
	s_mul_hi_u32 s12, s10, 24
	s_mul_i32 s10, s10, 24
	s_add_i32 s11, s12, s11
	v_lshl_add_u64 v[0:1], v[10:11], 0, s[10:11]
	global_store_dwordx2 v[0:1], v[18:19], off
	buffer_wbl2 sc0 sc1
	s_waitcnt vmcnt(0)
	global_atomic_cmpswap_x2 v[6:7], v8, v[16:19], s[2:3] offset:32 sc0 sc1
	s_waitcnt vmcnt(0)
	v_cmp_ne_u64_e32 vcc, v[6:7], v[18:19]
	s_and_saveexec_b64 s[10:11], vcc
	s_cbranch_execz .LBB2_267
; %bb.265:
	s_mov_b64 s[12:13], 0
.LBB2_266:                              ; =>This Inner Loop Header: Depth=1
	s_sleep 1
	global_store_dwordx2 v[0:1], v[6:7], off
	v_mov_b32_e32 v4, s4
	v_mov_b32_e32 v5, s5
	buffer_wbl2 sc0 sc1
	s_waitcnt vmcnt(0)
	global_atomic_cmpswap_x2 v[4:5], v8, v[4:7], s[2:3] offset:32 sc0 sc1
	s_waitcnt vmcnt(0)
	v_cmp_eq_u64_e32 vcc, v[4:5], v[6:7]
	s_or_b64 s[12:13], vcc, s[12:13]
	v_mov_b64_e32 v[6:7], v[4:5]
	s_andn2_b64 exec, exec, s[12:13]
	s_cbranch_execnz .LBB2_266
.LBB2_267:
	s_or_b64 exec, exec, s[10:11]
	v_mov_b32_e32 v5, 0
	global_load_dwordx2 v[0:1], v5, s[2:3] offset:16
	s_mov_b64 s[10:11], exec
	v_mbcnt_lo_u32_b32 v4, s10, 0
	v_mbcnt_hi_u32_b32 v4, s11, v4
	v_cmp_eq_u32_e32 vcc, 0, v4
	s_and_saveexec_b64 s[12:13], vcc
	s_cbranch_execz .LBB2_269
; %bb.268:
	s_bcnt1_i32_b64 s10, s[10:11]
	v_mov_b32_e32 v4, s10
	buffer_wbl2 sc0 sc1
	s_waitcnt vmcnt(0)
	global_atomic_add_x2 v[0:1], v[4:5], off offset:8 sc1
.LBB2_269:
	s_or_b64 exec, exec, s[12:13]
	s_waitcnt vmcnt(0)
	global_load_dwordx2 v[4:5], v[0:1], off offset:16
	s_waitcnt vmcnt(0)
	v_cmp_eq_u64_e32 vcc, 0, v[4:5]
	s_cbranch_vccnz .LBB2_271
; %bb.270:
	global_load_dword v0, v[0:1], off offset:24
	v_mov_b32_e32 v1, 0
	s_waitcnt vmcnt(0)
	v_readfirstlane_b32 s10, v0
	s_and_b32 m0, s10, 0xffffff
	buffer_wbl2 sc0 sc1
	global_store_dwordx2 v[4:5], v[0:1], off sc0 sc1
	s_sendmsg sendmsg(MSG_INTERRUPT)
.LBB2_271:
	s_or_b64 exec, exec, s[6:7]
	v_lshl_add_u64 v[0:1], v[12:13], 0, v[30:31]
	s_branch .LBB2_275
.LBB2_272:                              ;   in Loop: Header=BB2_275 Depth=1
	s_or_b64 exec, exec, s[6:7]
	v_readfirstlane_b32 s6, v4
	s_cmp_eq_u32 s6, 0
	s_cbranch_scc1 .LBB2_274
; %bb.273:                              ;   in Loop: Header=BB2_275 Depth=1
	s_sleep 1
	s_cbranch_execnz .LBB2_275
	s_branch .LBB2_277
.LBB2_274:
	s_branch .LBB2_277
.LBB2_275:                              ; =>This Inner Loop Header: Depth=1
	v_mov_b32_e32 v4, 1
	s_and_saveexec_b64 s[6:7], s[0:1]
	s_cbranch_execz .LBB2_272
; %bb.276:                              ;   in Loop: Header=BB2_275 Depth=1
	global_load_dword v4, v[14:15], off offset:20 sc0 sc1
	s_waitcnt vmcnt(0)
	buffer_inv sc0 sc1
	v_and_b32_e32 v4, 1, v4
	s_branch .LBB2_272
.LBB2_277:
	global_load_dwordx2 v[0:1], v[0:1], off
	s_and_saveexec_b64 s[6:7], s[0:1]
	s_cbranch_execz .LBB2_280
; %bb.278:
	v_mov_b32_e32 v10, 0
	global_load_dwordx2 v[4:5], v10, s[2:3] offset:40
	global_load_dwordx2 v[14:15], v10, s[2:3] offset:24 sc0 sc1
	global_load_dwordx2 v[6:7], v10, s[2:3]
	s_waitcnt vmcnt(2)
	v_readfirstlane_b32 s10, v4
	v_readfirstlane_b32 s11, v5
	s_add_u32 s12, s10, 1
	s_addc_u32 s13, s11, 0
	s_add_u32 s0, s12, s4
	s_addc_u32 s1, s13, s5
	s_cmp_eq_u64 s[0:1], 0
	s_cselect_b32 s1, s13, s1
	s_cselect_b32 s0, s12, s0
	s_and_b64 s[4:5], s[0:1], s[10:11]
	s_mul_i32 s5, s5, 24
	s_mul_hi_u32 s10, s4, 24
	s_mul_i32 s4, s4, 24
	s_add_i32 s5, s10, s5
	s_waitcnt vmcnt(0)
	v_lshl_add_u64 v[8:9], v[6:7], 0, s[4:5]
	v_mov_b32_e32 v12, s0
	global_store_dwordx2 v[8:9], v[14:15], off
	v_mov_b32_e32 v13, s1
	buffer_wbl2 sc0 sc1
	s_waitcnt vmcnt(0)
	global_atomic_cmpswap_x2 v[6:7], v10, v[12:15], s[2:3] offset:24 sc0 sc1
	s_mov_b64 s[4:5], 0
	s_waitcnt vmcnt(0)
	v_cmp_ne_u64_e32 vcc, v[6:7], v[14:15]
	s_and_b64 exec, exec, vcc
	s_cbranch_execz .LBB2_280
.LBB2_279:                              ; =>This Inner Loop Header: Depth=1
	s_sleep 1
	global_store_dwordx2 v[8:9], v[6:7], off
	v_mov_b32_e32 v4, s0
	v_mov_b32_e32 v5, s1
	buffer_wbl2 sc0 sc1
	s_waitcnt vmcnt(0)
	global_atomic_cmpswap_x2 v[4:5], v10, v[4:7], s[2:3] offset:24 sc0 sc1
	s_waitcnt vmcnt(0)
	v_cmp_eq_u64_e32 vcc, v[4:5], v[6:7]
	s_or_b64 s[4:5], vcc, s[4:5]
	v_mov_b64_e32 v[6:7], v[4:5]
	s_andn2_b64 exec, exec, s[4:5]
	s_cbranch_execnz .LBB2_279
.LBB2_280:
	s_or_b64 exec, exec, s[6:7]
	v_mov_b64_e32 v[4:5], 0
	v_cmp_ne_u64_e32 vcc, 0, v[2:3]
	s_and_saveexec_b64 s[0:1], vcc
	s_cbranch_execz .LBB2_284
; %bb.281:
	s_mov_b64 s[2:3], 0
	v_mov_b64_e32 v[4:5], v[2:3]
.LBB2_282:                              ; =>This Inner Loop Header: Depth=1
	global_load_ubyte v6, v[4:5], off
	v_lshl_add_u64 v[4:5], v[4:5], 0, 1
	s_waitcnt vmcnt(0)
	v_cmp_eq_u16_e32 vcc, 0, v6
	s_or_b64 s[2:3], vcc, s[2:3]
	s_andn2_b64 exec, exec, s[2:3]
	s_cbranch_execnz .LBB2_282
; %bb.283:
	s_or_b64 exec, exec, s[2:3]
	v_lshl_add_u64 v[4:5], v[4:5], 0, -1
	v_sub_co_u32_e32 v4, vcc, v4, v2
	s_nop 1
	v_subb_co_u32_e32 v5, vcc, v5, v3, vcc
	v_lshl_add_u64 v[4:5], v[4:5], 0, 1
.LBB2_284:
	s_or_b64 exec, exec, s[0:1]
	s_getpc_b64 s[0:1]
	s_add_u32 s0, s0, __ockl_printf_append_string_n@rel32@lo+4
	s_addc_u32 s1, s1, __ockl_printf_append_string_n@rel32@hi+12
	s_mov_b64 s[20:21], s[8:9]
	s_swappc_b64 s[30:31], s[0:1]
	s_getpc_b64 s[0:1]
	s_add_u32 s0, s0, __ockl_printf_append_args@rel32@lo+4
	s_addc_u32 s1, s1, __ockl_printf_append_args@rel32@hi+12
	s_mov_b64 s[8:9], s[20:21]
	v_mov_b32_e32 v2, 0x514
	v_mov_b32_e32 v3, 0
	;; [unrolled: 1-line block ×3, first 2 shown]
	s_swappc_b64 s[30:31], s[0:1]
	s_trap 2
.Lfunc_end2:
	.size	_ZL14no_device_codePKciS0_iS0_, .Lfunc_end2-_ZL14no_device_codePKciS0_iS0_
                                        ; -- End function
	.set .L_ZL14no_device_codePKciS0_iS0_.num_vgpr, max(38, .L__ockl_printf_append_string_n.num_vgpr, .L__ockl_printf_append_args.num_vgpr)
	.set .L_ZL14no_device_codePKciS0_iS0_.num_agpr, max(0, .L__ockl_printf_append_string_n.num_agpr, .L__ockl_printf_append_args.num_agpr)
	.set .L_ZL14no_device_codePKciS0_iS0_.numbered_sgpr, max(34, .L__ockl_printf_append_string_n.numbered_sgpr, .L__ockl_printf_append_args.numbered_sgpr)
	.set .L_ZL14no_device_codePKciS0_iS0_.num_named_barrier, max(0, .L__ockl_printf_append_string_n.num_named_barrier, .L__ockl_printf_append_args.num_named_barrier)
	.set .L_ZL14no_device_codePKciS0_iS0_.private_seg_size, 16+max(.L__ockl_printf_append_string_n.private_seg_size, .L__ockl_printf_append_args.private_seg_size)
	.set .L_ZL14no_device_codePKciS0_iS0_.uses_vcc, or(1, .L__ockl_printf_append_string_n.uses_vcc, .L__ockl_printf_append_args.uses_vcc)
	.set .L_ZL14no_device_codePKciS0_iS0_.uses_flat_scratch, or(0, .L__ockl_printf_append_string_n.uses_flat_scratch, .L__ockl_printf_append_args.uses_flat_scratch)
	.set .L_ZL14no_device_codePKciS0_iS0_.has_dyn_sized_stack, or(0, .L__ockl_printf_append_string_n.has_dyn_sized_stack, .L__ockl_printf_append_args.has_dyn_sized_stack)
	.set .L_ZL14no_device_codePKciS0_iS0_.has_recursion, or(0, .L__ockl_printf_append_string_n.has_recursion, .L__ockl_printf_append_args.has_recursion)
	.set .L_ZL14no_device_codePKciS0_iS0_.has_indirect_call, or(0, .L__ockl_printf_append_string_n.has_indirect_call, .L__ockl_printf_append_args.has_indirect_call)
	.section	.AMDGPU.csdata,"",@progbits
; Function info:
; codeLenInByte = 9592
; TotalNumSgprs: 40
; NumVgprs: 38
; NumAgprs: 0
; TotalNumVgprs: 38
; ScratchSize: 16
; MemoryBound: 0
	.section	.text._ZL13mul_mat_f_idsIfLi32ELi13ELi1EEvPKT_PKfPKiS6_S6_Pfiiiiiiiiiiiiii15HIP_vector_typeIjLj3EES9_,"axG",@progbits,_ZL13mul_mat_f_idsIfLi32ELi13ELi1EEvPKT_PKfPKiS6_S6_Pfiiiiiiiiiiiiii15HIP_vector_typeIjLj3EES9_,comdat
	.globl	_ZL13mul_mat_f_idsIfLi32ELi13ELi1EEvPKT_PKfPKiS6_S6_Pfiiiiiiiiiiiiii15HIP_vector_typeIjLj3EES9_ ; -- Begin function _ZL13mul_mat_f_idsIfLi32ELi13ELi1EEvPKT_PKfPKiS6_S6_Pfiiiiiiiiiiiiii15HIP_vector_typeIjLj3EES9_
	.p2align	8
	.type	_ZL13mul_mat_f_idsIfLi32ELi13ELi1EEvPKT_PKfPKiS6_S6_Pfiiiiiiiiiiiiii15HIP_vector_typeIjLj3EES9_,@function
_ZL13mul_mat_f_idsIfLi32ELi13ELi1EEvPKT_PKfPKiS6_S6_Pfiiiiiiiiiiiiii15HIP_vector_typeIjLj3EES9_: ; @_ZL13mul_mat_f_idsIfLi32ELi13ELi1EEvPKT_PKfPKiS6_S6_Pfiiiiiiiiiiiiii15HIP_vector_typeIjLj3EES9_
; %bb.0:
	s_add_u32 s8, s0, 0x80
	s_addc_u32 s9, s1, 0
	s_getpc_b64 s[0:1]
	s_add_u32 s0, s0, __FUNCTION__._ZL13mul_mat_f_idsIfLi32ELi13ELi1EEvPKT_PKfPKiS6_S6_Pfiiiiiiiiiiiiii15HIP_vector_typeIjLj3EES9_@rel32@lo+4
	s_addc_u32 s1, s1, __FUNCTION__._ZL13mul_mat_f_idsIfLi32ELi13ELi1EEvPKT_PKfPKiS6_S6_Pfiiiiiiiiiiiiii15HIP_vector_typeIjLj3EES9_@rel32@hi+12
	s_getpc_b64 s[2:3]
	s_add_u32 s2, s2, _ZL14no_device_codePKciS0_iS0_@rel32@lo+4
	s_addc_u32 s3, s3, _ZL14no_device_codePKciS0_iS0_@rel32@hi+12
	v_mov_b32_e32 v0, 0x13b
	v_mov_b32_e32 v1, s0
	;; [unrolled: 1-line block ×3, first 2 shown]
	s_mov_b32 s32, 0
	s_swappc_b64 s[30:31], s[2:3]
	.section	.rodata,"a",@progbits
	.p2align	6, 0x0
	.amdhsa_kernel _ZL13mul_mat_f_idsIfLi32ELi13ELi1EEvPKT_PKfPKiS6_S6_Pfiiiiiiiiiiiiii15HIP_vector_typeIjLj3EES9_
		.amdhsa_group_segment_fixed_size 0
		.amdhsa_private_segment_fixed_size 16
		.amdhsa_kernarg_size 384
		.amdhsa_user_sgpr_count 2
		.amdhsa_user_sgpr_dispatch_ptr 0
		.amdhsa_user_sgpr_queue_ptr 0
		.amdhsa_user_sgpr_kernarg_segment_ptr 1
		.amdhsa_user_sgpr_dispatch_id 0
		.amdhsa_user_sgpr_kernarg_preload_length 0
		.amdhsa_user_sgpr_kernarg_preload_offset 0
		.amdhsa_user_sgpr_private_segment_size 0
		.amdhsa_uses_dynamic_stack 0
		.amdhsa_enable_private_segment 1
		.amdhsa_system_sgpr_workgroup_id_x 1
		.amdhsa_system_sgpr_workgroup_id_y 0
		.amdhsa_system_sgpr_workgroup_id_z 0
		.amdhsa_system_sgpr_workgroup_info 0
		.amdhsa_system_vgpr_workitem_id 0
		.amdhsa_next_free_vgpr 38
		.amdhsa_next_free_sgpr 34
		.amdhsa_accum_offset 40
		.amdhsa_reserve_vcc 1
		.amdhsa_float_round_mode_32 0
		.amdhsa_float_round_mode_16_64 0
		.amdhsa_float_denorm_mode_32 3
		.amdhsa_float_denorm_mode_16_64 3
		.amdhsa_dx10_clamp 1
		.amdhsa_ieee_mode 1
		.amdhsa_fp16_overflow 0
		.amdhsa_tg_split 0
		.amdhsa_exception_fp_ieee_invalid_op 0
		.amdhsa_exception_fp_denorm_src 0
		.amdhsa_exception_fp_ieee_div_zero 0
		.amdhsa_exception_fp_ieee_overflow 0
		.amdhsa_exception_fp_ieee_underflow 0
		.amdhsa_exception_fp_ieee_inexact 0
		.amdhsa_exception_int_div_zero 0
	.end_amdhsa_kernel
	.section	.text._ZL13mul_mat_f_idsIfLi32ELi13ELi1EEvPKT_PKfPKiS6_S6_Pfiiiiiiiiiiiiii15HIP_vector_typeIjLj3EES9_,"axG",@progbits,_ZL13mul_mat_f_idsIfLi32ELi13ELi1EEvPKT_PKfPKiS6_S6_Pfiiiiiiiiiiiiii15HIP_vector_typeIjLj3EES9_,comdat
.Lfunc_end3:
	.size	_ZL13mul_mat_f_idsIfLi32ELi13ELi1EEvPKT_PKfPKiS6_S6_Pfiiiiiiiiiiiiii15HIP_vector_typeIjLj3EES9_, .Lfunc_end3-_ZL13mul_mat_f_idsIfLi32ELi13ELi1EEvPKT_PKfPKiS6_S6_Pfiiiiiiiiiiiiii15HIP_vector_typeIjLj3EES9_
                                        ; -- End function
	.set _ZL13mul_mat_f_idsIfLi32ELi13ELi1EEvPKT_PKfPKiS6_S6_Pfiiiiiiiiiiiiii15HIP_vector_typeIjLj3EES9_.num_vgpr, max(3, .L_ZL14no_device_codePKciS0_iS0_.num_vgpr)
	.set _ZL13mul_mat_f_idsIfLi32ELi13ELi1EEvPKT_PKfPKiS6_S6_Pfiiiiiiiiiiiiii15HIP_vector_typeIjLj3EES9_.num_agpr, max(0, .L_ZL14no_device_codePKciS0_iS0_.num_agpr)
	.set _ZL13mul_mat_f_idsIfLi32ELi13ELi1EEvPKT_PKfPKiS6_S6_Pfiiiiiiiiiiiiii15HIP_vector_typeIjLj3EES9_.numbered_sgpr, max(33, .L_ZL14no_device_codePKciS0_iS0_.numbered_sgpr)
	.set _ZL13mul_mat_f_idsIfLi32ELi13ELi1EEvPKT_PKfPKiS6_S6_Pfiiiiiiiiiiiiii15HIP_vector_typeIjLj3EES9_.num_named_barrier, max(0, .L_ZL14no_device_codePKciS0_iS0_.num_named_barrier)
	.set _ZL13mul_mat_f_idsIfLi32ELi13ELi1EEvPKT_PKfPKiS6_S6_Pfiiiiiiiiiiiiii15HIP_vector_typeIjLj3EES9_.private_seg_size, 0+max(.L_ZL14no_device_codePKciS0_iS0_.private_seg_size)
	.set _ZL13mul_mat_f_idsIfLi32ELi13ELi1EEvPKT_PKfPKiS6_S6_Pfiiiiiiiiiiiiii15HIP_vector_typeIjLj3EES9_.uses_vcc, or(1, .L_ZL14no_device_codePKciS0_iS0_.uses_vcc)
	.set _ZL13mul_mat_f_idsIfLi32ELi13ELi1EEvPKT_PKfPKiS6_S6_Pfiiiiiiiiiiiiii15HIP_vector_typeIjLj3EES9_.uses_flat_scratch, or(0, .L_ZL14no_device_codePKciS0_iS0_.uses_flat_scratch)
	.set _ZL13mul_mat_f_idsIfLi32ELi13ELi1EEvPKT_PKfPKiS6_S6_Pfiiiiiiiiiiiiii15HIP_vector_typeIjLj3EES9_.has_dyn_sized_stack, or(0, .L_ZL14no_device_codePKciS0_iS0_.has_dyn_sized_stack)
	.set _ZL13mul_mat_f_idsIfLi32ELi13ELi1EEvPKT_PKfPKiS6_S6_Pfiiiiiiiiiiiiii15HIP_vector_typeIjLj3EES9_.has_recursion, or(0, .L_ZL14no_device_codePKciS0_iS0_.has_recursion)
	.set _ZL13mul_mat_f_idsIfLi32ELi13ELi1EEvPKT_PKfPKiS6_S6_Pfiiiiiiiiiiiiii15HIP_vector_typeIjLj3EES9_.has_indirect_call, or(0, .L_ZL14no_device_codePKciS0_iS0_.has_indirect_call)
	.section	.AMDGPU.csdata,"",@progbits
; Kernel info:
; codeLenInByte = 76
; TotalNumSgprs: 40
; NumVgprs: 38
; NumAgprs: 0
; TotalNumVgprs: 38
; ScratchSize: 16
; MemoryBound: 0
; FloatMode: 240
; IeeeMode: 1
; LDSByteSize: 0 bytes/workgroup (compile time only)
; SGPRBlocks: 4
; VGPRBlocks: 4
; NumSGPRsForWavesPerEU: 40
; NumVGPRsForWavesPerEU: 38
; AccumOffset: 40
; Occupancy: 8
; WaveLimiterHint : 1
; COMPUTE_PGM_RSRC2:SCRATCH_EN: 1
; COMPUTE_PGM_RSRC2:USER_SGPR: 2
; COMPUTE_PGM_RSRC2:TRAP_HANDLER: 0
; COMPUTE_PGM_RSRC2:TGID_X_EN: 1
; COMPUTE_PGM_RSRC2:TGID_Y_EN: 0
; COMPUTE_PGM_RSRC2:TGID_Z_EN: 0
; COMPUTE_PGM_RSRC2:TIDIG_COMP_CNT: 0
; COMPUTE_PGM_RSRC3_GFX90A:ACCUM_OFFSET: 9
; COMPUTE_PGM_RSRC3_GFX90A:TG_SPLIT: 0
	.section	.text._ZL9mul_mat_fIfLi32ELi13ELi1ELb1EEvPKT_PKfPKiPfiiiiiiiiiiiiiiii,"axG",@progbits,_ZL9mul_mat_fIfLi32ELi13ELi1ELb1EEvPKT_PKfPKiPfiiiiiiiiiiiiiiii,comdat
	.globl	_ZL9mul_mat_fIfLi32ELi13ELi1ELb1EEvPKT_PKfPKiPfiiiiiiiiiiiiiiii ; -- Begin function _ZL9mul_mat_fIfLi32ELi13ELi1ELb1EEvPKT_PKfPKiPfiiiiiiiiiiiiiiii
	.p2align	8
	.type	_ZL9mul_mat_fIfLi32ELi13ELi1ELb1EEvPKT_PKfPKiPfiiiiiiiiiiiiiiii,@function
_ZL9mul_mat_fIfLi32ELi13ELi1ELb1EEvPKT_PKfPKiPfiiiiiiiiiiiiiiii: ; @_ZL9mul_mat_fIfLi32ELi13ELi1ELb1EEvPKT_PKfPKiPfiiiiiiiiiiiiiiii
; %bb.0:
	s_add_u32 s8, s0, 0x60
	s_addc_u32 s9, s1, 0
	s_getpc_b64 s[0:1]
	s_add_u32 s0, s0, __FUNCTION__._ZL9mul_mat_fIfLi32ELi13ELi1ELb1EEvPKT_PKfPKiPfiiiiiiiiiiiiiiii@rel32@lo+4
	s_addc_u32 s1, s1, __FUNCTION__._ZL9mul_mat_fIfLi32ELi13ELi1ELb1EEvPKT_PKfPKiPfiiiiiiiiiiiiiiii@rel32@hi+12
	s_getpc_b64 s[2:3]
	s_add_u32 s2, s2, _ZL14no_device_codePKciS0_iS0_@rel32@lo+4
	s_addc_u32 s3, s3, _ZL14no_device_codePKciS0_iS0_@rel32@hi+12
	v_mov_b32_e32 v0, 64
	v_mov_b32_e32 v1, s0
	v_mov_b32_e32 v2, s1
	s_mov_b32 s32, 0
	s_swappc_b64 s[30:31], s[2:3]
	.section	.rodata,"a",@progbits
	.p2align	6, 0x0
	.amdhsa_kernel _ZL9mul_mat_fIfLi32ELi13ELi1ELb1EEvPKT_PKfPKiPfiiiiiiiiiiiiiiii
		.amdhsa_group_segment_fixed_size 0
		.amdhsa_private_segment_fixed_size 16
		.amdhsa_kernarg_size 352
		.amdhsa_user_sgpr_count 2
		.amdhsa_user_sgpr_dispatch_ptr 0
		.amdhsa_user_sgpr_queue_ptr 0
		.amdhsa_user_sgpr_kernarg_segment_ptr 1
		.amdhsa_user_sgpr_dispatch_id 0
		.amdhsa_user_sgpr_kernarg_preload_length 0
		.amdhsa_user_sgpr_kernarg_preload_offset 0
		.amdhsa_user_sgpr_private_segment_size 0
		.amdhsa_uses_dynamic_stack 0
		.amdhsa_enable_private_segment 1
		.amdhsa_system_sgpr_workgroup_id_x 1
		.amdhsa_system_sgpr_workgroup_id_y 0
		.amdhsa_system_sgpr_workgroup_id_z 0
		.amdhsa_system_sgpr_workgroup_info 0
		.amdhsa_system_vgpr_workitem_id 0
		.amdhsa_next_free_vgpr 38
		.amdhsa_next_free_sgpr 34
		.amdhsa_accum_offset 40
		.amdhsa_reserve_vcc 1
		.amdhsa_float_round_mode_32 0
		.amdhsa_float_round_mode_16_64 0
		.amdhsa_float_denorm_mode_32 3
		.amdhsa_float_denorm_mode_16_64 3
		.amdhsa_dx10_clamp 1
		.amdhsa_ieee_mode 1
		.amdhsa_fp16_overflow 0
		.amdhsa_tg_split 0
		.amdhsa_exception_fp_ieee_invalid_op 0
		.amdhsa_exception_fp_denorm_src 0
		.amdhsa_exception_fp_ieee_div_zero 0
		.amdhsa_exception_fp_ieee_overflow 0
		.amdhsa_exception_fp_ieee_underflow 0
		.amdhsa_exception_fp_ieee_inexact 0
		.amdhsa_exception_int_div_zero 0
	.end_amdhsa_kernel
	.section	.text._ZL9mul_mat_fIfLi32ELi13ELi1ELb1EEvPKT_PKfPKiPfiiiiiiiiiiiiiiii,"axG",@progbits,_ZL9mul_mat_fIfLi32ELi13ELi1ELb1EEvPKT_PKfPKiPfiiiiiiiiiiiiiiii,comdat
.Lfunc_end4:
	.size	_ZL9mul_mat_fIfLi32ELi13ELi1ELb1EEvPKT_PKfPKiPfiiiiiiiiiiiiiiii, .Lfunc_end4-_ZL9mul_mat_fIfLi32ELi13ELi1ELb1EEvPKT_PKfPKiPfiiiiiiiiiiiiiiii
                                        ; -- End function
	.set _ZL9mul_mat_fIfLi32ELi13ELi1ELb1EEvPKT_PKfPKiPfiiiiiiiiiiiiiiii.num_vgpr, max(3, .L_ZL14no_device_codePKciS0_iS0_.num_vgpr)
	.set _ZL9mul_mat_fIfLi32ELi13ELi1ELb1EEvPKT_PKfPKiPfiiiiiiiiiiiiiiii.num_agpr, max(0, .L_ZL14no_device_codePKciS0_iS0_.num_agpr)
	.set _ZL9mul_mat_fIfLi32ELi13ELi1ELb1EEvPKT_PKfPKiPfiiiiiiiiiiiiiiii.numbered_sgpr, max(33, .L_ZL14no_device_codePKciS0_iS0_.numbered_sgpr)
	.set _ZL9mul_mat_fIfLi32ELi13ELi1ELb1EEvPKT_PKfPKiPfiiiiiiiiiiiiiiii.num_named_barrier, max(0, .L_ZL14no_device_codePKciS0_iS0_.num_named_barrier)
	.set _ZL9mul_mat_fIfLi32ELi13ELi1ELb1EEvPKT_PKfPKiPfiiiiiiiiiiiiiiii.private_seg_size, 0+max(.L_ZL14no_device_codePKciS0_iS0_.private_seg_size)
	.set _ZL9mul_mat_fIfLi32ELi13ELi1ELb1EEvPKT_PKfPKiPfiiiiiiiiiiiiiiii.uses_vcc, or(1, .L_ZL14no_device_codePKciS0_iS0_.uses_vcc)
	.set _ZL9mul_mat_fIfLi32ELi13ELi1ELb1EEvPKT_PKfPKiPfiiiiiiiiiiiiiiii.uses_flat_scratch, or(0, .L_ZL14no_device_codePKciS0_iS0_.uses_flat_scratch)
	.set _ZL9mul_mat_fIfLi32ELi13ELi1ELb1EEvPKT_PKfPKiPfiiiiiiiiiiiiiiii.has_dyn_sized_stack, or(0, .L_ZL14no_device_codePKciS0_iS0_.has_dyn_sized_stack)
	.set _ZL9mul_mat_fIfLi32ELi13ELi1ELb1EEvPKT_PKfPKiPfiiiiiiiiiiiiiiii.has_recursion, or(0, .L_ZL14no_device_codePKciS0_iS0_.has_recursion)
	.set _ZL9mul_mat_fIfLi32ELi13ELi1ELb1EEvPKT_PKfPKiPfiiiiiiiiiiiiiiii.has_indirect_call, or(0, .L_ZL14no_device_codePKciS0_iS0_.has_indirect_call)
	.section	.AMDGPU.csdata,"",@progbits
; Kernel info:
; codeLenInByte = 72
; TotalNumSgprs: 40
; NumVgprs: 38
; NumAgprs: 0
; TotalNumVgprs: 38
; ScratchSize: 16
; MemoryBound: 0
; FloatMode: 240
; IeeeMode: 1
; LDSByteSize: 0 bytes/workgroup (compile time only)
; SGPRBlocks: 4
; VGPRBlocks: 4
; NumSGPRsForWavesPerEU: 40
; NumVGPRsForWavesPerEU: 38
; AccumOffset: 40
; Occupancy: 8
; WaveLimiterHint : 1
; COMPUTE_PGM_RSRC2:SCRATCH_EN: 1
; COMPUTE_PGM_RSRC2:USER_SGPR: 2
; COMPUTE_PGM_RSRC2:TRAP_HANDLER: 0
; COMPUTE_PGM_RSRC2:TGID_X_EN: 1
; COMPUTE_PGM_RSRC2:TGID_Y_EN: 0
; COMPUTE_PGM_RSRC2:TGID_Z_EN: 0
; COMPUTE_PGM_RSRC2:TIDIG_COMP_CNT: 0
; COMPUTE_PGM_RSRC3_GFX90A:ACCUM_OFFSET: 9
; COMPUTE_PGM_RSRC3_GFX90A:TG_SPLIT: 0
	.section	.text._ZL9mul_mat_fIfLi32ELi13ELi1ELb0EEvPKT_PKfPKiPfiiiiiiiiiiiiiiii,"axG",@progbits,_ZL9mul_mat_fIfLi32ELi13ELi1ELb0EEvPKT_PKfPKiPfiiiiiiiiiiiiiiii,comdat
	.globl	_ZL9mul_mat_fIfLi32ELi13ELi1ELb0EEvPKT_PKfPKiPfiiiiiiiiiiiiiiii ; -- Begin function _ZL9mul_mat_fIfLi32ELi13ELi1ELb0EEvPKT_PKfPKiPfiiiiiiiiiiiiiiii
	.p2align	8
	.type	_ZL9mul_mat_fIfLi32ELi13ELi1ELb0EEvPKT_PKfPKiPfiiiiiiiiiiiiiiii,@function
_ZL9mul_mat_fIfLi32ELi13ELi1ELb0EEvPKT_PKfPKiPfiiiiiiiiiiiiiiii: ; @_ZL9mul_mat_fIfLi32ELi13ELi1ELb0EEvPKT_PKfPKiPfiiiiiiiiiiiiiiii
; %bb.0:
	s_add_u32 s8, s0, 0x60
	s_addc_u32 s9, s1, 0
	s_getpc_b64 s[0:1]
	s_add_u32 s0, s0, __FUNCTION__._ZL9mul_mat_fIfLi32ELi13ELi1ELb1EEvPKT_PKfPKiPfiiiiiiiiiiiiiiii@rel32@lo+4
	s_addc_u32 s1, s1, __FUNCTION__._ZL9mul_mat_fIfLi32ELi13ELi1ELb1EEvPKT_PKfPKiPfiiiiiiiiiiiiiiii@rel32@hi+12
	s_getpc_b64 s[2:3]
	s_add_u32 s2, s2, _ZL14no_device_codePKciS0_iS0_@rel32@lo+4
	s_addc_u32 s3, s3, _ZL14no_device_codePKciS0_iS0_@rel32@hi+12
	v_mov_b32_e32 v0, 64
	v_mov_b32_e32 v1, s0
	;; [unrolled: 1-line block ×3, first 2 shown]
	s_mov_b32 s32, 0
	s_swappc_b64 s[30:31], s[2:3]
	.section	.rodata,"a",@progbits
	.p2align	6, 0x0
	.amdhsa_kernel _ZL9mul_mat_fIfLi32ELi13ELi1ELb0EEvPKT_PKfPKiPfiiiiiiiiiiiiiiii
		.amdhsa_group_segment_fixed_size 0
		.amdhsa_private_segment_fixed_size 16
		.amdhsa_kernarg_size 352
		.amdhsa_user_sgpr_count 2
		.amdhsa_user_sgpr_dispatch_ptr 0
		.amdhsa_user_sgpr_queue_ptr 0
		.amdhsa_user_sgpr_kernarg_segment_ptr 1
		.amdhsa_user_sgpr_dispatch_id 0
		.amdhsa_user_sgpr_kernarg_preload_length 0
		.amdhsa_user_sgpr_kernarg_preload_offset 0
		.amdhsa_user_sgpr_private_segment_size 0
		.amdhsa_uses_dynamic_stack 0
		.amdhsa_enable_private_segment 1
		.amdhsa_system_sgpr_workgroup_id_x 1
		.amdhsa_system_sgpr_workgroup_id_y 0
		.amdhsa_system_sgpr_workgroup_id_z 0
		.amdhsa_system_sgpr_workgroup_info 0
		.amdhsa_system_vgpr_workitem_id 0
		.amdhsa_next_free_vgpr 38
		.amdhsa_next_free_sgpr 34
		.amdhsa_accum_offset 40
		.amdhsa_reserve_vcc 1
		.amdhsa_float_round_mode_32 0
		.amdhsa_float_round_mode_16_64 0
		.amdhsa_float_denorm_mode_32 3
		.amdhsa_float_denorm_mode_16_64 3
		.amdhsa_dx10_clamp 1
		.amdhsa_ieee_mode 1
		.amdhsa_fp16_overflow 0
		.amdhsa_tg_split 0
		.amdhsa_exception_fp_ieee_invalid_op 0
		.amdhsa_exception_fp_denorm_src 0
		.amdhsa_exception_fp_ieee_div_zero 0
		.amdhsa_exception_fp_ieee_overflow 0
		.amdhsa_exception_fp_ieee_underflow 0
		.amdhsa_exception_fp_ieee_inexact 0
		.amdhsa_exception_int_div_zero 0
	.end_amdhsa_kernel
	.section	.text._ZL9mul_mat_fIfLi32ELi13ELi1ELb0EEvPKT_PKfPKiPfiiiiiiiiiiiiiiii,"axG",@progbits,_ZL9mul_mat_fIfLi32ELi13ELi1ELb0EEvPKT_PKfPKiPfiiiiiiiiiiiiiiii,comdat
.Lfunc_end5:
	.size	_ZL9mul_mat_fIfLi32ELi13ELi1ELb0EEvPKT_PKfPKiPfiiiiiiiiiiiiiiii, .Lfunc_end5-_ZL9mul_mat_fIfLi32ELi13ELi1ELb0EEvPKT_PKfPKiPfiiiiiiiiiiiiiiii
                                        ; -- End function
	.set _ZL9mul_mat_fIfLi32ELi13ELi1ELb0EEvPKT_PKfPKiPfiiiiiiiiiiiiiiii.num_vgpr, max(3, .L_ZL14no_device_codePKciS0_iS0_.num_vgpr)
	.set _ZL9mul_mat_fIfLi32ELi13ELi1ELb0EEvPKT_PKfPKiPfiiiiiiiiiiiiiiii.num_agpr, max(0, .L_ZL14no_device_codePKciS0_iS0_.num_agpr)
	.set _ZL9mul_mat_fIfLi32ELi13ELi1ELb0EEvPKT_PKfPKiPfiiiiiiiiiiiiiiii.numbered_sgpr, max(33, .L_ZL14no_device_codePKciS0_iS0_.numbered_sgpr)
	.set _ZL9mul_mat_fIfLi32ELi13ELi1ELb0EEvPKT_PKfPKiPfiiiiiiiiiiiiiiii.num_named_barrier, max(0, .L_ZL14no_device_codePKciS0_iS0_.num_named_barrier)
	.set _ZL9mul_mat_fIfLi32ELi13ELi1ELb0EEvPKT_PKfPKiPfiiiiiiiiiiiiiiii.private_seg_size, 0+max(.L_ZL14no_device_codePKciS0_iS0_.private_seg_size)
	.set _ZL9mul_mat_fIfLi32ELi13ELi1ELb0EEvPKT_PKfPKiPfiiiiiiiiiiiiiiii.uses_vcc, or(1, .L_ZL14no_device_codePKciS0_iS0_.uses_vcc)
	.set _ZL9mul_mat_fIfLi32ELi13ELi1ELb0EEvPKT_PKfPKiPfiiiiiiiiiiiiiiii.uses_flat_scratch, or(0, .L_ZL14no_device_codePKciS0_iS0_.uses_flat_scratch)
	.set _ZL9mul_mat_fIfLi32ELi13ELi1ELb0EEvPKT_PKfPKiPfiiiiiiiiiiiiiiii.has_dyn_sized_stack, or(0, .L_ZL14no_device_codePKciS0_iS0_.has_dyn_sized_stack)
	.set _ZL9mul_mat_fIfLi32ELi13ELi1ELb0EEvPKT_PKfPKiPfiiiiiiiiiiiiiiii.has_recursion, or(0, .L_ZL14no_device_codePKciS0_iS0_.has_recursion)
	.set _ZL9mul_mat_fIfLi32ELi13ELi1ELb0EEvPKT_PKfPKiPfiiiiiiiiiiiiiiii.has_indirect_call, or(0, .L_ZL14no_device_codePKciS0_iS0_.has_indirect_call)
	.section	.AMDGPU.csdata,"",@progbits
; Kernel info:
; codeLenInByte = 72
; TotalNumSgprs: 40
; NumVgprs: 38
; NumAgprs: 0
; TotalNumVgprs: 38
; ScratchSize: 16
; MemoryBound: 0
; FloatMode: 240
; IeeeMode: 1
; LDSByteSize: 0 bytes/workgroup (compile time only)
; SGPRBlocks: 4
; VGPRBlocks: 4
; NumSGPRsForWavesPerEU: 40
; NumVGPRsForWavesPerEU: 38
; AccumOffset: 40
; Occupancy: 8
; WaveLimiterHint : 1
; COMPUTE_PGM_RSRC2:SCRATCH_EN: 1
; COMPUTE_PGM_RSRC2:USER_SGPR: 2
; COMPUTE_PGM_RSRC2:TRAP_HANDLER: 0
; COMPUTE_PGM_RSRC2:TGID_X_EN: 1
; COMPUTE_PGM_RSRC2:TGID_Y_EN: 0
; COMPUTE_PGM_RSRC2:TGID_Z_EN: 0
; COMPUTE_PGM_RSRC2:TIDIG_COMP_CNT: 0
; COMPUTE_PGM_RSRC3_GFX90A:ACCUM_OFFSET: 9
; COMPUTE_PGM_RSRC3_GFX90A:TG_SPLIT: 0
	.section	.text._ZL13mul_mat_f_idsIfLi32ELi13ELi2EEvPKT_PKfPKiS6_S6_Pfiiiiiiiiiiiiii15HIP_vector_typeIjLj3EES9_,"axG",@progbits,_ZL13mul_mat_f_idsIfLi32ELi13ELi2EEvPKT_PKfPKiS6_S6_Pfiiiiiiiiiiiiii15HIP_vector_typeIjLj3EES9_,comdat
	.globl	_ZL13mul_mat_f_idsIfLi32ELi13ELi2EEvPKT_PKfPKiS6_S6_Pfiiiiiiiiiiiiii15HIP_vector_typeIjLj3EES9_ ; -- Begin function _ZL13mul_mat_f_idsIfLi32ELi13ELi2EEvPKT_PKfPKiS6_S6_Pfiiiiiiiiiiiiii15HIP_vector_typeIjLj3EES9_
	.p2align	8
	.type	_ZL13mul_mat_f_idsIfLi32ELi13ELi2EEvPKT_PKfPKiS6_S6_Pfiiiiiiiiiiiiii15HIP_vector_typeIjLj3EES9_,@function
_ZL13mul_mat_f_idsIfLi32ELi13ELi2EEvPKT_PKfPKiS6_S6_Pfiiiiiiiiiiiiii15HIP_vector_typeIjLj3EES9_: ; @_ZL13mul_mat_f_idsIfLi32ELi13ELi2EEvPKT_PKfPKiS6_S6_Pfiiiiiiiiiiiiii15HIP_vector_typeIjLj3EES9_
; %bb.0:
	s_add_u32 s8, s0, 0x80
	s_addc_u32 s9, s1, 0
	s_getpc_b64 s[0:1]
	s_add_u32 s0, s0, __FUNCTION__._ZL13mul_mat_f_idsIfLi32ELi13ELi1EEvPKT_PKfPKiS6_S6_Pfiiiiiiiiiiiiii15HIP_vector_typeIjLj3EES9_@rel32@lo+4
	s_addc_u32 s1, s1, __FUNCTION__._ZL13mul_mat_f_idsIfLi32ELi13ELi1EEvPKT_PKfPKiS6_S6_Pfiiiiiiiiiiiiii15HIP_vector_typeIjLj3EES9_@rel32@hi+12
	s_getpc_b64 s[2:3]
	s_add_u32 s2, s2, _ZL14no_device_codePKciS0_iS0_@rel32@lo+4
	s_addc_u32 s3, s3, _ZL14no_device_codePKciS0_iS0_@rel32@hi+12
	v_mov_b32_e32 v0, 0x13b
	v_mov_b32_e32 v1, s0
	;; [unrolled: 1-line block ×3, first 2 shown]
	s_mov_b32 s32, 0
	s_swappc_b64 s[30:31], s[2:3]
	.section	.rodata,"a",@progbits
	.p2align	6, 0x0
	.amdhsa_kernel _ZL13mul_mat_f_idsIfLi32ELi13ELi2EEvPKT_PKfPKiS6_S6_Pfiiiiiiiiiiiiii15HIP_vector_typeIjLj3EES9_
		.amdhsa_group_segment_fixed_size 0
		.amdhsa_private_segment_fixed_size 16
		.amdhsa_kernarg_size 384
		.amdhsa_user_sgpr_count 2
		.amdhsa_user_sgpr_dispatch_ptr 0
		.amdhsa_user_sgpr_queue_ptr 0
		.amdhsa_user_sgpr_kernarg_segment_ptr 1
		.amdhsa_user_sgpr_dispatch_id 0
		.amdhsa_user_sgpr_kernarg_preload_length 0
		.amdhsa_user_sgpr_kernarg_preload_offset 0
		.amdhsa_user_sgpr_private_segment_size 0
		.amdhsa_uses_dynamic_stack 0
		.amdhsa_enable_private_segment 1
		.amdhsa_system_sgpr_workgroup_id_x 1
		.amdhsa_system_sgpr_workgroup_id_y 0
		.amdhsa_system_sgpr_workgroup_id_z 0
		.amdhsa_system_sgpr_workgroup_info 0
		.amdhsa_system_vgpr_workitem_id 0
		.amdhsa_next_free_vgpr 38
		.amdhsa_next_free_sgpr 34
		.amdhsa_accum_offset 40
		.amdhsa_reserve_vcc 1
		.amdhsa_float_round_mode_32 0
		.amdhsa_float_round_mode_16_64 0
		.amdhsa_float_denorm_mode_32 3
		.amdhsa_float_denorm_mode_16_64 3
		.amdhsa_dx10_clamp 1
		.amdhsa_ieee_mode 1
		.amdhsa_fp16_overflow 0
		.amdhsa_tg_split 0
		.amdhsa_exception_fp_ieee_invalid_op 0
		.amdhsa_exception_fp_denorm_src 0
		.amdhsa_exception_fp_ieee_div_zero 0
		.amdhsa_exception_fp_ieee_overflow 0
		.amdhsa_exception_fp_ieee_underflow 0
		.amdhsa_exception_fp_ieee_inexact 0
		.amdhsa_exception_int_div_zero 0
	.end_amdhsa_kernel
	.section	.text._ZL13mul_mat_f_idsIfLi32ELi13ELi2EEvPKT_PKfPKiS6_S6_Pfiiiiiiiiiiiiii15HIP_vector_typeIjLj3EES9_,"axG",@progbits,_ZL13mul_mat_f_idsIfLi32ELi13ELi2EEvPKT_PKfPKiS6_S6_Pfiiiiiiiiiiiiii15HIP_vector_typeIjLj3EES9_,comdat
.Lfunc_end6:
	.size	_ZL13mul_mat_f_idsIfLi32ELi13ELi2EEvPKT_PKfPKiS6_S6_Pfiiiiiiiiiiiiii15HIP_vector_typeIjLj3EES9_, .Lfunc_end6-_ZL13mul_mat_f_idsIfLi32ELi13ELi2EEvPKT_PKfPKiS6_S6_Pfiiiiiiiiiiiiii15HIP_vector_typeIjLj3EES9_
                                        ; -- End function
	.set _ZL13mul_mat_f_idsIfLi32ELi13ELi2EEvPKT_PKfPKiS6_S6_Pfiiiiiiiiiiiiii15HIP_vector_typeIjLj3EES9_.num_vgpr, max(3, .L_ZL14no_device_codePKciS0_iS0_.num_vgpr)
	.set _ZL13mul_mat_f_idsIfLi32ELi13ELi2EEvPKT_PKfPKiS6_S6_Pfiiiiiiiiiiiiii15HIP_vector_typeIjLj3EES9_.num_agpr, max(0, .L_ZL14no_device_codePKciS0_iS0_.num_agpr)
	.set _ZL13mul_mat_f_idsIfLi32ELi13ELi2EEvPKT_PKfPKiS6_S6_Pfiiiiiiiiiiiiii15HIP_vector_typeIjLj3EES9_.numbered_sgpr, max(33, .L_ZL14no_device_codePKciS0_iS0_.numbered_sgpr)
	.set _ZL13mul_mat_f_idsIfLi32ELi13ELi2EEvPKT_PKfPKiS6_S6_Pfiiiiiiiiiiiiii15HIP_vector_typeIjLj3EES9_.num_named_barrier, max(0, .L_ZL14no_device_codePKciS0_iS0_.num_named_barrier)
	.set _ZL13mul_mat_f_idsIfLi32ELi13ELi2EEvPKT_PKfPKiS6_S6_Pfiiiiiiiiiiiiii15HIP_vector_typeIjLj3EES9_.private_seg_size, 0+max(.L_ZL14no_device_codePKciS0_iS0_.private_seg_size)
	.set _ZL13mul_mat_f_idsIfLi32ELi13ELi2EEvPKT_PKfPKiS6_S6_Pfiiiiiiiiiiiiii15HIP_vector_typeIjLj3EES9_.uses_vcc, or(1, .L_ZL14no_device_codePKciS0_iS0_.uses_vcc)
	.set _ZL13mul_mat_f_idsIfLi32ELi13ELi2EEvPKT_PKfPKiS6_S6_Pfiiiiiiiiiiiiii15HIP_vector_typeIjLj3EES9_.uses_flat_scratch, or(0, .L_ZL14no_device_codePKciS0_iS0_.uses_flat_scratch)
	.set _ZL13mul_mat_f_idsIfLi32ELi13ELi2EEvPKT_PKfPKiS6_S6_Pfiiiiiiiiiiiiii15HIP_vector_typeIjLj3EES9_.has_dyn_sized_stack, or(0, .L_ZL14no_device_codePKciS0_iS0_.has_dyn_sized_stack)
	.set _ZL13mul_mat_f_idsIfLi32ELi13ELi2EEvPKT_PKfPKiS6_S6_Pfiiiiiiiiiiiiii15HIP_vector_typeIjLj3EES9_.has_recursion, or(0, .L_ZL14no_device_codePKciS0_iS0_.has_recursion)
	.set _ZL13mul_mat_f_idsIfLi32ELi13ELi2EEvPKT_PKfPKiS6_S6_Pfiiiiiiiiiiiiii15HIP_vector_typeIjLj3EES9_.has_indirect_call, or(0, .L_ZL14no_device_codePKciS0_iS0_.has_indirect_call)
	.section	.AMDGPU.csdata,"",@progbits
; Kernel info:
; codeLenInByte = 76
; TotalNumSgprs: 40
; NumVgprs: 38
; NumAgprs: 0
; TotalNumVgprs: 38
; ScratchSize: 16
; MemoryBound: 0
; FloatMode: 240
; IeeeMode: 1
; LDSByteSize: 0 bytes/workgroup (compile time only)
; SGPRBlocks: 4
; VGPRBlocks: 4
; NumSGPRsForWavesPerEU: 40
; NumVGPRsForWavesPerEU: 38
; AccumOffset: 40
; Occupancy: 8
; WaveLimiterHint : 1
; COMPUTE_PGM_RSRC2:SCRATCH_EN: 1
; COMPUTE_PGM_RSRC2:USER_SGPR: 2
; COMPUTE_PGM_RSRC2:TRAP_HANDLER: 0
; COMPUTE_PGM_RSRC2:TGID_X_EN: 1
; COMPUTE_PGM_RSRC2:TGID_Y_EN: 0
; COMPUTE_PGM_RSRC2:TGID_Z_EN: 0
; COMPUTE_PGM_RSRC2:TIDIG_COMP_CNT: 0
; COMPUTE_PGM_RSRC3_GFX90A:ACCUM_OFFSET: 9
; COMPUTE_PGM_RSRC3_GFX90A:TG_SPLIT: 0
	.section	.text._ZL9mul_mat_fIfLi32ELi13ELi2ELb1EEvPKT_PKfPKiPfiiiiiiiiiiiiiiii,"axG",@progbits,_ZL9mul_mat_fIfLi32ELi13ELi2ELb1EEvPKT_PKfPKiPfiiiiiiiiiiiiiiii,comdat
	.globl	_ZL9mul_mat_fIfLi32ELi13ELi2ELb1EEvPKT_PKfPKiPfiiiiiiiiiiiiiiii ; -- Begin function _ZL9mul_mat_fIfLi32ELi13ELi2ELb1EEvPKT_PKfPKiPfiiiiiiiiiiiiiiii
	.p2align	8
	.type	_ZL9mul_mat_fIfLi32ELi13ELi2ELb1EEvPKT_PKfPKiPfiiiiiiiiiiiiiiii,@function
_ZL9mul_mat_fIfLi32ELi13ELi2ELb1EEvPKT_PKfPKiPfiiiiiiiiiiiiiiii: ; @_ZL9mul_mat_fIfLi32ELi13ELi2ELb1EEvPKT_PKfPKiPfiiiiiiiiiiiiiiii
; %bb.0:
	s_add_u32 s8, s0, 0x60
	s_addc_u32 s9, s1, 0
	s_getpc_b64 s[0:1]
	s_add_u32 s0, s0, __FUNCTION__._ZL9mul_mat_fIfLi32ELi13ELi1ELb1EEvPKT_PKfPKiPfiiiiiiiiiiiiiiii@rel32@lo+4
	s_addc_u32 s1, s1, __FUNCTION__._ZL9mul_mat_fIfLi32ELi13ELi1ELb1EEvPKT_PKfPKiPfiiiiiiiiiiiiiiii@rel32@hi+12
	s_getpc_b64 s[2:3]
	s_add_u32 s2, s2, _ZL14no_device_codePKciS0_iS0_@rel32@lo+4
	s_addc_u32 s3, s3, _ZL14no_device_codePKciS0_iS0_@rel32@hi+12
	v_mov_b32_e32 v0, 64
	v_mov_b32_e32 v1, s0
	;; [unrolled: 1-line block ×3, first 2 shown]
	s_mov_b32 s32, 0
	s_swappc_b64 s[30:31], s[2:3]
	.section	.rodata,"a",@progbits
	.p2align	6, 0x0
	.amdhsa_kernel _ZL9mul_mat_fIfLi32ELi13ELi2ELb1EEvPKT_PKfPKiPfiiiiiiiiiiiiiiii
		.amdhsa_group_segment_fixed_size 0
		.amdhsa_private_segment_fixed_size 16
		.amdhsa_kernarg_size 352
		.amdhsa_user_sgpr_count 2
		.amdhsa_user_sgpr_dispatch_ptr 0
		.amdhsa_user_sgpr_queue_ptr 0
		.amdhsa_user_sgpr_kernarg_segment_ptr 1
		.amdhsa_user_sgpr_dispatch_id 0
		.amdhsa_user_sgpr_kernarg_preload_length 0
		.amdhsa_user_sgpr_kernarg_preload_offset 0
		.amdhsa_user_sgpr_private_segment_size 0
		.amdhsa_uses_dynamic_stack 0
		.amdhsa_enable_private_segment 1
		.amdhsa_system_sgpr_workgroup_id_x 1
		.amdhsa_system_sgpr_workgroup_id_y 0
		.amdhsa_system_sgpr_workgroup_id_z 0
		.amdhsa_system_sgpr_workgroup_info 0
		.amdhsa_system_vgpr_workitem_id 0
		.amdhsa_next_free_vgpr 38
		.amdhsa_next_free_sgpr 34
		.amdhsa_accum_offset 40
		.amdhsa_reserve_vcc 1
		.amdhsa_float_round_mode_32 0
		.amdhsa_float_round_mode_16_64 0
		.amdhsa_float_denorm_mode_32 3
		.amdhsa_float_denorm_mode_16_64 3
		.amdhsa_dx10_clamp 1
		.amdhsa_ieee_mode 1
		.amdhsa_fp16_overflow 0
		.amdhsa_tg_split 0
		.amdhsa_exception_fp_ieee_invalid_op 0
		.amdhsa_exception_fp_denorm_src 0
		.amdhsa_exception_fp_ieee_div_zero 0
		.amdhsa_exception_fp_ieee_overflow 0
		.amdhsa_exception_fp_ieee_underflow 0
		.amdhsa_exception_fp_ieee_inexact 0
		.amdhsa_exception_int_div_zero 0
	.end_amdhsa_kernel
	.section	.text._ZL9mul_mat_fIfLi32ELi13ELi2ELb1EEvPKT_PKfPKiPfiiiiiiiiiiiiiiii,"axG",@progbits,_ZL9mul_mat_fIfLi32ELi13ELi2ELb1EEvPKT_PKfPKiPfiiiiiiiiiiiiiiii,comdat
.Lfunc_end7:
	.size	_ZL9mul_mat_fIfLi32ELi13ELi2ELb1EEvPKT_PKfPKiPfiiiiiiiiiiiiiiii, .Lfunc_end7-_ZL9mul_mat_fIfLi32ELi13ELi2ELb1EEvPKT_PKfPKiPfiiiiiiiiiiiiiiii
                                        ; -- End function
	.set _ZL9mul_mat_fIfLi32ELi13ELi2ELb1EEvPKT_PKfPKiPfiiiiiiiiiiiiiiii.num_vgpr, max(3, .L_ZL14no_device_codePKciS0_iS0_.num_vgpr)
	.set _ZL9mul_mat_fIfLi32ELi13ELi2ELb1EEvPKT_PKfPKiPfiiiiiiiiiiiiiiii.num_agpr, max(0, .L_ZL14no_device_codePKciS0_iS0_.num_agpr)
	.set _ZL9mul_mat_fIfLi32ELi13ELi2ELb1EEvPKT_PKfPKiPfiiiiiiiiiiiiiiii.numbered_sgpr, max(33, .L_ZL14no_device_codePKciS0_iS0_.numbered_sgpr)
	.set _ZL9mul_mat_fIfLi32ELi13ELi2ELb1EEvPKT_PKfPKiPfiiiiiiiiiiiiiiii.num_named_barrier, max(0, .L_ZL14no_device_codePKciS0_iS0_.num_named_barrier)
	.set _ZL9mul_mat_fIfLi32ELi13ELi2ELb1EEvPKT_PKfPKiPfiiiiiiiiiiiiiiii.private_seg_size, 0+max(.L_ZL14no_device_codePKciS0_iS0_.private_seg_size)
	.set _ZL9mul_mat_fIfLi32ELi13ELi2ELb1EEvPKT_PKfPKiPfiiiiiiiiiiiiiiii.uses_vcc, or(1, .L_ZL14no_device_codePKciS0_iS0_.uses_vcc)
	.set _ZL9mul_mat_fIfLi32ELi13ELi2ELb1EEvPKT_PKfPKiPfiiiiiiiiiiiiiiii.uses_flat_scratch, or(0, .L_ZL14no_device_codePKciS0_iS0_.uses_flat_scratch)
	.set _ZL9mul_mat_fIfLi32ELi13ELi2ELb1EEvPKT_PKfPKiPfiiiiiiiiiiiiiiii.has_dyn_sized_stack, or(0, .L_ZL14no_device_codePKciS0_iS0_.has_dyn_sized_stack)
	.set _ZL9mul_mat_fIfLi32ELi13ELi2ELb1EEvPKT_PKfPKiPfiiiiiiiiiiiiiiii.has_recursion, or(0, .L_ZL14no_device_codePKciS0_iS0_.has_recursion)
	.set _ZL9mul_mat_fIfLi32ELi13ELi2ELb1EEvPKT_PKfPKiPfiiiiiiiiiiiiiiii.has_indirect_call, or(0, .L_ZL14no_device_codePKciS0_iS0_.has_indirect_call)
	.section	.AMDGPU.csdata,"",@progbits
; Kernel info:
; codeLenInByte = 72
; TotalNumSgprs: 40
; NumVgprs: 38
; NumAgprs: 0
; TotalNumVgprs: 38
; ScratchSize: 16
; MemoryBound: 0
; FloatMode: 240
; IeeeMode: 1
; LDSByteSize: 0 bytes/workgroup (compile time only)
; SGPRBlocks: 4
; VGPRBlocks: 4
; NumSGPRsForWavesPerEU: 40
; NumVGPRsForWavesPerEU: 38
; AccumOffset: 40
; Occupancy: 8
; WaveLimiterHint : 1
; COMPUTE_PGM_RSRC2:SCRATCH_EN: 1
; COMPUTE_PGM_RSRC2:USER_SGPR: 2
; COMPUTE_PGM_RSRC2:TRAP_HANDLER: 0
; COMPUTE_PGM_RSRC2:TGID_X_EN: 1
; COMPUTE_PGM_RSRC2:TGID_Y_EN: 0
; COMPUTE_PGM_RSRC2:TGID_Z_EN: 0
; COMPUTE_PGM_RSRC2:TIDIG_COMP_CNT: 0
; COMPUTE_PGM_RSRC3_GFX90A:ACCUM_OFFSET: 9
; COMPUTE_PGM_RSRC3_GFX90A:TG_SPLIT: 0
	.section	.text._ZL9mul_mat_fIfLi32ELi13ELi2ELb0EEvPKT_PKfPKiPfiiiiiiiiiiiiiiii,"axG",@progbits,_ZL9mul_mat_fIfLi32ELi13ELi2ELb0EEvPKT_PKfPKiPfiiiiiiiiiiiiiiii,comdat
	.globl	_ZL9mul_mat_fIfLi32ELi13ELi2ELb0EEvPKT_PKfPKiPfiiiiiiiiiiiiiiii ; -- Begin function _ZL9mul_mat_fIfLi32ELi13ELi2ELb0EEvPKT_PKfPKiPfiiiiiiiiiiiiiiii
	.p2align	8
	.type	_ZL9mul_mat_fIfLi32ELi13ELi2ELb0EEvPKT_PKfPKiPfiiiiiiiiiiiiiiii,@function
_ZL9mul_mat_fIfLi32ELi13ELi2ELb0EEvPKT_PKfPKiPfiiiiiiiiiiiiiiii: ; @_ZL9mul_mat_fIfLi32ELi13ELi2ELb0EEvPKT_PKfPKiPfiiiiiiiiiiiiiiii
; %bb.0:
	s_add_u32 s8, s0, 0x60
	s_addc_u32 s9, s1, 0
	s_getpc_b64 s[0:1]
	s_add_u32 s0, s0, __FUNCTION__._ZL9mul_mat_fIfLi32ELi13ELi1ELb1EEvPKT_PKfPKiPfiiiiiiiiiiiiiiii@rel32@lo+4
	s_addc_u32 s1, s1, __FUNCTION__._ZL9mul_mat_fIfLi32ELi13ELi1ELb1EEvPKT_PKfPKiPfiiiiiiiiiiiiiiii@rel32@hi+12
	s_getpc_b64 s[2:3]
	s_add_u32 s2, s2, _ZL14no_device_codePKciS0_iS0_@rel32@lo+4
	s_addc_u32 s3, s3, _ZL14no_device_codePKciS0_iS0_@rel32@hi+12
	v_mov_b32_e32 v0, 64
	v_mov_b32_e32 v1, s0
	;; [unrolled: 1-line block ×3, first 2 shown]
	s_mov_b32 s32, 0
	s_swappc_b64 s[30:31], s[2:3]
	.section	.rodata,"a",@progbits
	.p2align	6, 0x0
	.amdhsa_kernel _ZL9mul_mat_fIfLi32ELi13ELi2ELb0EEvPKT_PKfPKiPfiiiiiiiiiiiiiiii
		.amdhsa_group_segment_fixed_size 0
		.amdhsa_private_segment_fixed_size 16
		.amdhsa_kernarg_size 352
		.amdhsa_user_sgpr_count 2
		.amdhsa_user_sgpr_dispatch_ptr 0
		.amdhsa_user_sgpr_queue_ptr 0
		.amdhsa_user_sgpr_kernarg_segment_ptr 1
		.amdhsa_user_sgpr_dispatch_id 0
		.amdhsa_user_sgpr_kernarg_preload_length 0
		.amdhsa_user_sgpr_kernarg_preload_offset 0
		.amdhsa_user_sgpr_private_segment_size 0
		.amdhsa_uses_dynamic_stack 0
		.amdhsa_enable_private_segment 1
		.amdhsa_system_sgpr_workgroup_id_x 1
		.amdhsa_system_sgpr_workgroup_id_y 0
		.amdhsa_system_sgpr_workgroup_id_z 0
		.amdhsa_system_sgpr_workgroup_info 0
		.amdhsa_system_vgpr_workitem_id 0
		.amdhsa_next_free_vgpr 38
		.amdhsa_next_free_sgpr 34
		.amdhsa_accum_offset 40
		.amdhsa_reserve_vcc 1
		.amdhsa_float_round_mode_32 0
		.amdhsa_float_round_mode_16_64 0
		.amdhsa_float_denorm_mode_32 3
		.amdhsa_float_denorm_mode_16_64 3
		.amdhsa_dx10_clamp 1
		.amdhsa_ieee_mode 1
		.amdhsa_fp16_overflow 0
		.amdhsa_tg_split 0
		.amdhsa_exception_fp_ieee_invalid_op 0
		.amdhsa_exception_fp_denorm_src 0
		.amdhsa_exception_fp_ieee_div_zero 0
		.amdhsa_exception_fp_ieee_overflow 0
		.amdhsa_exception_fp_ieee_underflow 0
		.amdhsa_exception_fp_ieee_inexact 0
		.amdhsa_exception_int_div_zero 0
	.end_amdhsa_kernel
	.section	.text._ZL9mul_mat_fIfLi32ELi13ELi2ELb0EEvPKT_PKfPKiPfiiiiiiiiiiiiiiii,"axG",@progbits,_ZL9mul_mat_fIfLi32ELi13ELi2ELb0EEvPKT_PKfPKiPfiiiiiiiiiiiiiiii,comdat
.Lfunc_end8:
	.size	_ZL9mul_mat_fIfLi32ELi13ELi2ELb0EEvPKT_PKfPKiPfiiiiiiiiiiiiiiii, .Lfunc_end8-_ZL9mul_mat_fIfLi32ELi13ELi2ELb0EEvPKT_PKfPKiPfiiiiiiiiiiiiiiii
                                        ; -- End function
	.set _ZL9mul_mat_fIfLi32ELi13ELi2ELb0EEvPKT_PKfPKiPfiiiiiiiiiiiiiiii.num_vgpr, max(3, .L_ZL14no_device_codePKciS0_iS0_.num_vgpr)
	.set _ZL9mul_mat_fIfLi32ELi13ELi2ELb0EEvPKT_PKfPKiPfiiiiiiiiiiiiiiii.num_agpr, max(0, .L_ZL14no_device_codePKciS0_iS0_.num_agpr)
	.set _ZL9mul_mat_fIfLi32ELi13ELi2ELb0EEvPKT_PKfPKiPfiiiiiiiiiiiiiiii.numbered_sgpr, max(33, .L_ZL14no_device_codePKciS0_iS0_.numbered_sgpr)
	.set _ZL9mul_mat_fIfLi32ELi13ELi2ELb0EEvPKT_PKfPKiPfiiiiiiiiiiiiiiii.num_named_barrier, max(0, .L_ZL14no_device_codePKciS0_iS0_.num_named_barrier)
	.set _ZL9mul_mat_fIfLi32ELi13ELi2ELb0EEvPKT_PKfPKiPfiiiiiiiiiiiiiiii.private_seg_size, 0+max(.L_ZL14no_device_codePKciS0_iS0_.private_seg_size)
	.set _ZL9mul_mat_fIfLi32ELi13ELi2ELb0EEvPKT_PKfPKiPfiiiiiiiiiiiiiiii.uses_vcc, or(1, .L_ZL14no_device_codePKciS0_iS0_.uses_vcc)
	.set _ZL9mul_mat_fIfLi32ELi13ELi2ELb0EEvPKT_PKfPKiPfiiiiiiiiiiiiiiii.uses_flat_scratch, or(0, .L_ZL14no_device_codePKciS0_iS0_.uses_flat_scratch)
	.set _ZL9mul_mat_fIfLi32ELi13ELi2ELb0EEvPKT_PKfPKiPfiiiiiiiiiiiiiiii.has_dyn_sized_stack, or(0, .L_ZL14no_device_codePKciS0_iS0_.has_dyn_sized_stack)
	.set _ZL9mul_mat_fIfLi32ELi13ELi2ELb0EEvPKT_PKfPKiPfiiiiiiiiiiiiiiii.has_recursion, or(0, .L_ZL14no_device_codePKciS0_iS0_.has_recursion)
	.set _ZL9mul_mat_fIfLi32ELi13ELi2ELb0EEvPKT_PKfPKiPfiiiiiiiiiiiiiiii.has_indirect_call, or(0, .L_ZL14no_device_codePKciS0_iS0_.has_indirect_call)
	.section	.AMDGPU.csdata,"",@progbits
; Kernel info:
; codeLenInByte = 72
; TotalNumSgprs: 40
; NumVgprs: 38
; NumAgprs: 0
; TotalNumVgprs: 38
; ScratchSize: 16
; MemoryBound: 0
; FloatMode: 240
; IeeeMode: 1
; LDSByteSize: 0 bytes/workgroup (compile time only)
; SGPRBlocks: 4
; VGPRBlocks: 4
; NumSGPRsForWavesPerEU: 40
; NumVGPRsForWavesPerEU: 38
; AccumOffset: 40
; Occupancy: 8
; WaveLimiterHint : 1
; COMPUTE_PGM_RSRC2:SCRATCH_EN: 1
; COMPUTE_PGM_RSRC2:USER_SGPR: 2
; COMPUTE_PGM_RSRC2:TRAP_HANDLER: 0
; COMPUTE_PGM_RSRC2:TGID_X_EN: 1
; COMPUTE_PGM_RSRC2:TGID_Y_EN: 0
; COMPUTE_PGM_RSRC2:TGID_Z_EN: 0
; COMPUTE_PGM_RSRC2:TIDIG_COMP_CNT: 0
; COMPUTE_PGM_RSRC3_GFX90A:ACCUM_OFFSET: 9
; COMPUTE_PGM_RSRC3_GFX90A:TG_SPLIT: 0
	.section	.text._ZL13mul_mat_f_idsIfLi32ELi13ELi3EEvPKT_PKfPKiS6_S6_Pfiiiiiiiiiiiiii15HIP_vector_typeIjLj3EES9_,"axG",@progbits,_ZL13mul_mat_f_idsIfLi32ELi13ELi3EEvPKT_PKfPKiS6_S6_Pfiiiiiiiiiiiiii15HIP_vector_typeIjLj3EES9_,comdat
	.globl	_ZL13mul_mat_f_idsIfLi32ELi13ELi3EEvPKT_PKfPKiS6_S6_Pfiiiiiiiiiiiiii15HIP_vector_typeIjLj3EES9_ ; -- Begin function _ZL13mul_mat_f_idsIfLi32ELi13ELi3EEvPKT_PKfPKiS6_S6_Pfiiiiiiiiiiiiii15HIP_vector_typeIjLj3EES9_
	.p2align	8
	.type	_ZL13mul_mat_f_idsIfLi32ELi13ELi3EEvPKT_PKfPKiS6_S6_Pfiiiiiiiiiiiiii15HIP_vector_typeIjLj3EES9_,@function
_ZL13mul_mat_f_idsIfLi32ELi13ELi3EEvPKT_PKfPKiS6_S6_Pfiiiiiiiiiiiiii15HIP_vector_typeIjLj3EES9_: ; @_ZL13mul_mat_f_idsIfLi32ELi13ELi3EEvPKT_PKfPKiS6_S6_Pfiiiiiiiiiiiiii15HIP_vector_typeIjLj3EES9_
; %bb.0:
	s_add_u32 s8, s0, 0x80
	s_addc_u32 s9, s1, 0
	s_getpc_b64 s[0:1]
	s_add_u32 s0, s0, __FUNCTION__._ZL13mul_mat_f_idsIfLi32ELi13ELi1EEvPKT_PKfPKiS6_S6_Pfiiiiiiiiiiiiii15HIP_vector_typeIjLj3EES9_@rel32@lo+4
	s_addc_u32 s1, s1, __FUNCTION__._ZL13mul_mat_f_idsIfLi32ELi13ELi1EEvPKT_PKfPKiS6_S6_Pfiiiiiiiiiiiiii15HIP_vector_typeIjLj3EES9_@rel32@hi+12
	s_getpc_b64 s[2:3]
	s_add_u32 s2, s2, _ZL14no_device_codePKciS0_iS0_@rel32@lo+4
	s_addc_u32 s3, s3, _ZL14no_device_codePKciS0_iS0_@rel32@hi+12
	v_mov_b32_e32 v0, 0x13b
	v_mov_b32_e32 v1, s0
	;; [unrolled: 1-line block ×3, first 2 shown]
	s_mov_b32 s32, 0
	s_swappc_b64 s[30:31], s[2:3]
	.section	.rodata,"a",@progbits
	.p2align	6, 0x0
	.amdhsa_kernel _ZL13mul_mat_f_idsIfLi32ELi13ELi3EEvPKT_PKfPKiS6_S6_Pfiiiiiiiiiiiiii15HIP_vector_typeIjLj3EES9_
		.amdhsa_group_segment_fixed_size 0
		.amdhsa_private_segment_fixed_size 16
		.amdhsa_kernarg_size 384
		.amdhsa_user_sgpr_count 2
		.amdhsa_user_sgpr_dispatch_ptr 0
		.amdhsa_user_sgpr_queue_ptr 0
		.amdhsa_user_sgpr_kernarg_segment_ptr 1
		.amdhsa_user_sgpr_dispatch_id 0
		.amdhsa_user_sgpr_kernarg_preload_length 0
		.amdhsa_user_sgpr_kernarg_preload_offset 0
		.amdhsa_user_sgpr_private_segment_size 0
		.amdhsa_uses_dynamic_stack 0
		.amdhsa_enable_private_segment 1
		.amdhsa_system_sgpr_workgroup_id_x 1
		.amdhsa_system_sgpr_workgroup_id_y 0
		.amdhsa_system_sgpr_workgroup_id_z 0
		.amdhsa_system_sgpr_workgroup_info 0
		.amdhsa_system_vgpr_workitem_id 0
		.amdhsa_next_free_vgpr 38
		.amdhsa_next_free_sgpr 34
		.amdhsa_accum_offset 40
		.amdhsa_reserve_vcc 1
		.amdhsa_float_round_mode_32 0
		.amdhsa_float_round_mode_16_64 0
		.amdhsa_float_denorm_mode_32 3
		.amdhsa_float_denorm_mode_16_64 3
		.amdhsa_dx10_clamp 1
		.amdhsa_ieee_mode 1
		.amdhsa_fp16_overflow 0
		.amdhsa_tg_split 0
		.amdhsa_exception_fp_ieee_invalid_op 0
		.amdhsa_exception_fp_denorm_src 0
		.amdhsa_exception_fp_ieee_div_zero 0
		.amdhsa_exception_fp_ieee_overflow 0
		.amdhsa_exception_fp_ieee_underflow 0
		.amdhsa_exception_fp_ieee_inexact 0
		.amdhsa_exception_int_div_zero 0
	.end_amdhsa_kernel
	.section	.text._ZL13mul_mat_f_idsIfLi32ELi13ELi3EEvPKT_PKfPKiS6_S6_Pfiiiiiiiiiiiiii15HIP_vector_typeIjLj3EES9_,"axG",@progbits,_ZL13mul_mat_f_idsIfLi32ELi13ELi3EEvPKT_PKfPKiS6_S6_Pfiiiiiiiiiiiiii15HIP_vector_typeIjLj3EES9_,comdat
.Lfunc_end9:
	.size	_ZL13mul_mat_f_idsIfLi32ELi13ELi3EEvPKT_PKfPKiS6_S6_Pfiiiiiiiiiiiiii15HIP_vector_typeIjLj3EES9_, .Lfunc_end9-_ZL13mul_mat_f_idsIfLi32ELi13ELi3EEvPKT_PKfPKiS6_S6_Pfiiiiiiiiiiiiii15HIP_vector_typeIjLj3EES9_
                                        ; -- End function
	.set _ZL13mul_mat_f_idsIfLi32ELi13ELi3EEvPKT_PKfPKiS6_S6_Pfiiiiiiiiiiiiii15HIP_vector_typeIjLj3EES9_.num_vgpr, max(3, .L_ZL14no_device_codePKciS0_iS0_.num_vgpr)
	.set _ZL13mul_mat_f_idsIfLi32ELi13ELi3EEvPKT_PKfPKiS6_S6_Pfiiiiiiiiiiiiii15HIP_vector_typeIjLj3EES9_.num_agpr, max(0, .L_ZL14no_device_codePKciS0_iS0_.num_agpr)
	.set _ZL13mul_mat_f_idsIfLi32ELi13ELi3EEvPKT_PKfPKiS6_S6_Pfiiiiiiiiiiiiii15HIP_vector_typeIjLj3EES9_.numbered_sgpr, max(33, .L_ZL14no_device_codePKciS0_iS0_.numbered_sgpr)
	.set _ZL13mul_mat_f_idsIfLi32ELi13ELi3EEvPKT_PKfPKiS6_S6_Pfiiiiiiiiiiiiii15HIP_vector_typeIjLj3EES9_.num_named_barrier, max(0, .L_ZL14no_device_codePKciS0_iS0_.num_named_barrier)
	.set _ZL13mul_mat_f_idsIfLi32ELi13ELi3EEvPKT_PKfPKiS6_S6_Pfiiiiiiiiiiiiii15HIP_vector_typeIjLj3EES9_.private_seg_size, 0+max(.L_ZL14no_device_codePKciS0_iS0_.private_seg_size)
	.set _ZL13mul_mat_f_idsIfLi32ELi13ELi3EEvPKT_PKfPKiS6_S6_Pfiiiiiiiiiiiiii15HIP_vector_typeIjLj3EES9_.uses_vcc, or(1, .L_ZL14no_device_codePKciS0_iS0_.uses_vcc)
	.set _ZL13mul_mat_f_idsIfLi32ELi13ELi3EEvPKT_PKfPKiS6_S6_Pfiiiiiiiiiiiiii15HIP_vector_typeIjLj3EES9_.uses_flat_scratch, or(0, .L_ZL14no_device_codePKciS0_iS0_.uses_flat_scratch)
	.set _ZL13mul_mat_f_idsIfLi32ELi13ELi3EEvPKT_PKfPKiS6_S6_Pfiiiiiiiiiiiiii15HIP_vector_typeIjLj3EES9_.has_dyn_sized_stack, or(0, .L_ZL14no_device_codePKciS0_iS0_.has_dyn_sized_stack)
	.set _ZL13mul_mat_f_idsIfLi32ELi13ELi3EEvPKT_PKfPKiS6_S6_Pfiiiiiiiiiiiiii15HIP_vector_typeIjLj3EES9_.has_recursion, or(0, .L_ZL14no_device_codePKciS0_iS0_.has_recursion)
	.set _ZL13mul_mat_f_idsIfLi32ELi13ELi3EEvPKT_PKfPKiS6_S6_Pfiiiiiiiiiiiiii15HIP_vector_typeIjLj3EES9_.has_indirect_call, or(0, .L_ZL14no_device_codePKciS0_iS0_.has_indirect_call)
	.section	.AMDGPU.csdata,"",@progbits
; Kernel info:
; codeLenInByte = 76
; TotalNumSgprs: 40
; NumVgprs: 38
; NumAgprs: 0
; TotalNumVgprs: 38
; ScratchSize: 16
; MemoryBound: 0
; FloatMode: 240
; IeeeMode: 1
; LDSByteSize: 0 bytes/workgroup (compile time only)
; SGPRBlocks: 4
; VGPRBlocks: 4
; NumSGPRsForWavesPerEU: 40
; NumVGPRsForWavesPerEU: 38
; AccumOffset: 40
; Occupancy: 8
; WaveLimiterHint : 1
; COMPUTE_PGM_RSRC2:SCRATCH_EN: 1
; COMPUTE_PGM_RSRC2:USER_SGPR: 2
; COMPUTE_PGM_RSRC2:TRAP_HANDLER: 0
; COMPUTE_PGM_RSRC2:TGID_X_EN: 1
; COMPUTE_PGM_RSRC2:TGID_Y_EN: 0
; COMPUTE_PGM_RSRC2:TGID_Z_EN: 0
; COMPUTE_PGM_RSRC2:TIDIG_COMP_CNT: 0
; COMPUTE_PGM_RSRC3_GFX90A:ACCUM_OFFSET: 9
; COMPUTE_PGM_RSRC3_GFX90A:TG_SPLIT: 0
	.section	.text._ZL9mul_mat_fIfLi32ELi13ELi3ELb1EEvPKT_PKfPKiPfiiiiiiiiiiiiiiii,"axG",@progbits,_ZL9mul_mat_fIfLi32ELi13ELi3ELb1EEvPKT_PKfPKiPfiiiiiiiiiiiiiiii,comdat
	.globl	_ZL9mul_mat_fIfLi32ELi13ELi3ELb1EEvPKT_PKfPKiPfiiiiiiiiiiiiiiii ; -- Begin function _ZL9mul_mat_fIfLi32ELi13ELi3ELb1EEvPKT_PKfPKiPfiiiiiiiiiiiiiiii
	.p2align	8
	.type	_ZL9mul_mat_fIfLi32ELi13ELi3ELb1EEvPKT_PKfPKiPfiiiiiiiiiiiiiiii,@function
_ZL9mul_mat_fIfLi32ELi13ELi3ELb1EEvPKT_PKfPKiPfiiiiiiiiiiiiiiii: ; @_ZL9mul_mat_fIfLi32ELi13ELi3ELb1EEvPKT_PKfPKiPfiiiiiiiiiiiiiiii
; %bb.0:
	s_add_u32 s8, s0, 0x60
	s_addc_u32 s9, s1, 0
	s_getpc_b64 s[0:1]
	s_add_u32 s0, s0, __FUNCTION__._ZL9mul_mat_fIfLi32ELi13ELi1ELb1EEvPKT_PKfPKiPfiiiiiiiiiiiiiiii@rel32@lo+4
	s_addc_u32 s1, s1, __FUNCTION__._ZL9mul_mat_fIfLi32ELi13ELi1ELb1EEvPKT_PKfPKiPfiiiiiiiiiiiiiiii@rel32@hi+12
	s_getpc_b64 s[2:3]
	s_add_u32 s2, s2, _ZL14no_device_codePKciS0_iS0_@rel32@lo+4
	s_addc_u32 s3, s3, _ZL14no_device_codePKciS0_iS0_@rel32@hi+12
	v_mov_b32_e32 v0, 64
	v_mov_b32_e32 v1, s0
	;; [unrolled: 1-line block ×3, first 2 shown]
	s_mov_b32 s32, 0
	s_swappc_b64 s[30:31], s[2:3]
	.section	.rodata,"a",@progbits
	.p2align	6, 0x0
	.amdhsa_kernel _ZL9mul_mat_fIfLi32ELi13ELi3ELb1EEvPKT_PKfPKiPfiiiiiiiiiiiiiiii
		.amdhsa_group_segment_fixed_size 0
		.amdhsa_private_segment_fixed_size 16
		.amdhsa_kernarg_size 352
		.amdhsa_user_sgpr_count 2
		.amdhsa_user_sgpr_dispatch_ptr 0
		.amdhsa_user_sgpr_queue_ptr 0
		.amdhsa_user_sgpr_kernarg_segment_ptr 1
		.amdhsa_user_sgpr_dispatch_id 0
		.amdhsa_user_sgpr_kernarg_preload_length 0
		.amdhsa_user_sgpr_kernarg_preload_offset 0
		.amdhsa_user_sgpr_private_segment_size 0
		.amdhsa_uses_dynamic_stack 0
		.amdhsa_enable_private_segment 1
		.amdhsa_system_sgpr_workgroup_id_x 1
		.amdhsa_system_sgpr_workgroup_id_y 0
		.amdhsa_system_sgpr_workgroup_id_z 0
		.amdhsa_system_sgpr_workgroup_info 0
		.amdhsa_system_vgpr_workitem_id 0
		.amdhsa_next_free_vgpr 38
		.amdhsa_next_free_sgpr 34
		.amdhsa_accum_offset 40
		.amdhsa_reserve_vcc 1
		.amdhsa_float_round_mode_32 0
		.amdhsa_float_round_mode_16_64 0
		.amdhsa_float_denorm_mode_32 3
		.amdhsa_float_denorm_mode_16_64 3
		.amdhsa_dx10_clamp 1
		.amdhsa_ieee_mode 1
		.amdhsa_fp16_overflow 0
		.amdhsa_tg_split 0
		.amdhsa_exception_fp_ieee_invalid_op 0
		.amdhsa_exception_fp_denorm_src 0
		.amdhsa_exception_fp_ieee_div_zero 0
		.amdhsa_exception_fp_ieee_overflow 0
		.amdhsa_exception_fp_ieee_underflow 0
		.amdhsa_exception_fp_ieee_inexact 0
		.amdhsa_exception_int_div_zero 0
	.end_amdhsa_kernel
	.section	.text._ZL9mul_mat_fIfLi32ELi13ELi3ELb1EEvPKT_PKfPKiPfiiiiiiiiiiiiiiii,"axG",@progbits,_ZL9mul_mat_fIfLi32ELi13ELi3ELb1EEvPKT_PKfPKiPfiiiiiiiiiiiiiiii,comdat
.Lfunc_end10:
	.size	_ZL9mul_mat_fIfLi32ELi13ELi3ELb1EEvPKT_PKfPKiPfiiiiiiiiiiiiiiii, .Lfunc_end10-_ZL9mul_mat_fIfLi32ELi13ELi3ELb1EEvPKT_PKfPKiPfiiiiiiiiiiiiiiii
                                        ; -- End function
	.set _ZL9mul_mat_fIfLi32ELi13ELi3ELb1EEvPKT_PKfPKiPfiiiiiiiiiiiiiiii.num_vgpr, max(3, .L_ZL14no_device_codePKciS0_iS0_.num_vgpr)
	.set _ZL9mul_mat_fIfLi32ELi13ELi3ELb1EEvPKT_PKfPKiPfiiiiiiiiiiiiiiii.num_agpr, max(0, .L_ZL14no_device_codePKciS0_iS0_.num_agpr)
	.set _ZL9mul_mat_fIfLi32ELi13ELi3ELb1EEvPKT_PKfPKiPfiiiiiiiiiiiiiiii.numbered_sgpr, max(33, .L_ZL14no_device_codePKciS0_iS0_.numbered_sgpr)
	.set _ZL9mul_mat_fIfLi32ELi13ELi3ELb1EEvPKT_PKfPKiPfiiiiiiiiiiiiiiii.num_named_barrier, max(0, .L_ZL14no_device_codePKciS0_iS0_.num_named_barrier)
	.set _ZL9mul_mat_fIfLi32ELi13ELi3ELb1EEvPKT_PKfPKiPfiiiiiiiiiiiiiiii.private_seg_size, 0+max(.L_ZL14no_device_codePKciS0_iS0_.private_seg_size)
	.set _ZL9mul_mat_fIfLi32ELi13ELi3ELb1EEvPKT_PKfPKiPfiiiiiiiiiiiiiiii.uses_vcc, or(1, .L_ZL14no_device_codePKciS0_iS0_.uses_vcc)
	.set _ZL9mul_mat_fIfLi32ELi13ELi3ELb1EEvPKT_PKfPKiPfiiiiiiiiiiiiiiii.uses_flat_scratch, or(0, .L_ZL14no_device_codePKciS0_iS0_.uses_flat_scratch)
	.set _ZL9mul_mat_fIfLi32ELi13ELi3ELb1EEvPKT_PKfPKiPfiiiiiiiiiiiiiiii.has_dyn_sized_stack, or(0, .L_ZL14no_device_codePKciS0_iS0_.has_dyn_sized_stack)
	.set _ZL9mul_mat_fIfLi32ELi13ELi3ELb1EEvPKT_PKfPKiPfiiiiiiiiiiiiiiii.has_recursion, or(0, .L_ZL14no_device_codePKciS0_iS0_.has_recursion)
	.set _ZL9mul_mat_fIfLi32ELi13ELi3ELb1EEvPKT_PKfPKiPfiiiiiiiiiiiiiiii.has_indirect_call, or(0, .L_ZL14no_device_codePKciS0_iS0_.has_indirect_call)
	.section	.AMDGPU.csdata,"",@progbits
; Kernel info:
; codeLenInByte = 72
; TotalNumSgprs: 40
; NumVgprs: 38
; NumAgprs: 0
; TotalNumVgprs: 38
; ScratchSize: 16
; MemoryBound: 0
; FloatMode: 240
; IeeeMode: 1
; LDSByteSize: 0 bytes/workgroup (compile time only)
; SGPRBlocks: 4
; VGPRBlocks: 4
; NumSGPRsForWavesPerEU: 40
; NumVGPRsForWavesPerEU: 38
; AccumOffset: 40
; Occupancy: 8
; WaveLimiterHint : 1
; COMPUTE_PGM_RSRC2:SCRATCH_EN: 1
; COMPUTE_PGM_RSRC2:USER_SGPR: 2
; COMPUTE_PGM_RSRC2:TRAP_HANDLER: 0
; COMPUTE_PGM_RSRC2:TGID_X_EN: 1
; COMPUTE_PGM_RSRC2:TGID_Y_EN: 0
; COMPUTE_PGM_RSRC2:TGID_Z_EN: 0
; COMPUTE_PGM_RSRC2:TIDIG_COMP_CNT: 0
; COMPUTE_PGM_RSRC3_GFX90A:ACCUM_OFFSET: 9
; COMPUTE_PGM_RSRC3_GFX90A:TG_SPLIT: 0
	.section	.text._ZL9mul_mat_fIfLi32ELi13ELi3ELb0EEvPKT_PKfPKiPfiiiiiiiiiiiiiiii,"axG",@progbits,_ZL9mul_mat_fIfLi32ELi13ELi3ELb0EEvPKT_PKfPKiPfiiiiiiiiiiiiiiii,comdat
	.globl	_ZL9mul_mat_fIfLi32ELi13ELi3ELb0EEvPKT_PKfPKiPfiiiiiiiiiiiiiiii ; -- Begin function _ZL9mul_mat_fIfLi32ELi13ELi3ELb0EEvPKT_PKfPKiPfiiiiiiiiiiiiiiii
	.p2align	8
	.type	_ZL9mul_mat_fIfLi32ELi13ELi3ELb0EEvPKT_PKfPKiPfiiiiiiiiiiiiiiii,@function
_ZL9mul_mat_fIfLi32ELi13ELi3ELb0EEvPKT_PKfPKiPfiiiiiiiiiiiiiiii: ; @_ZL9mul_mat_fIfLi32ELi13ELi3ELb0EEvPKT_PKfPKiPfiiiiiiiiiiiiiiii
; %bb.0:
	s_add_u32 s8, s0, 0x60
	s_addc_u32 s9, s1, 0
	s_getpc_b64 s[0:1]
	s_add_u32 s0, s0, __FUNCTION__._ZL9mul_mat_fIfLi32ELi13ELi1ELb1EEvPKT_PKfPKiPfiiiiiiiiiiiiiiii@rel32@lo+4
	s_addc_u32 s1, s1, __FUNCTION__._ZL9mul_mat_fIfLi32ELi13ELi1ELb1EEvPKT_PKfPKiPfiiiiiiiiiiiiiiii@rel32@hi+12
	s_getpc_b64 s[2:3]
	s_add_u32 s2, s2, _ZL14no_device_codePKciS0_iS0_@rel32@lo+4
	s_addc_u32 s3, s3, _ZL14no_device_codePKciS0_iS0_@rel32@hi+12
	v_mov_b32_e32 v0, 64
	v_mov_b32_e32 v1, s0
	;; [unrolled: 1-line block ×3, first 2 shown]
	s_mov_b32 s32, 0
	s_swappc_b64 s[30:31], s[2:3]
	.section	.rodata,"a",@progbits
	.p2align	6, 0x0
	.amdhsa_kernel _ZL9mul_mat_fIfLi32ELi13ELi3ELb0EEvPKT_PKfPKiPfiiiiiiiiiiiiiiii
		.amdhsa_group_segment_fixed_size 0
		.amdhsa_private_segment_fixed_size 16
		.amdhsa_kernarg_size 352
		.amdhsa_user_sgpr_count 2
		.amdhsa_user_sgpr_dispatch_ptr 0
		.amdhsa_user_sgpr_queue_ptr 0
		.amdhsa_user_sgpr_kernarg_segment_ptr 1
		.amdhsa_user_sgpr_dispatch_id 0
		.amdhsa_user_sgpr_kernarg_preload_length 0
		.amdhsa_user_sgpr_kernarg_preload_offset 0
		.amdhsa_user_sgpr_private_segment_size 0
		.amdhsa_uses_dynamic_stack 0
		.amdhsa_enable_private_segment 1
		.amdhsa_system_sgpr_workgroup_id_x 1
		.amdhsa_system_sgpr_workgroup_id_y 0
		.amdhsa_system_sgpr_workgroup_id_z 0
		.amdhsa_system_sgpr_workgroup_info 0
		.amdhsa_system_vgpr_workitem_id 0
		.amdhsa_next_free_vgpr 38
		.amdhsa_next_free_sgpr 34
		.amdhsa_accum_offset 40
		.amdhsa_reserve_vcc 1
		.amdhsa_float_round_mode_32 0
		.amdhsa_float_round_mode_16_64 0
		.amdhsa_float_denorm_mode_32 3
		.amdhsa_float_denorm_mode_16_64 3
		.amdhsa_dx10_clamp 1
		.amdhsa_ieee_mode 1
		.amdhsa_fp16_overflow 0
		.amdhsa_tg_split 0
		.amdhsa_exception_fp_ieee_invalid_op 0
		.amdhsa_exception_fp_denorm_src 0
		.amdhsa_exception_fp_ieee_div_zero 0
		.amdhsa_exception_fp_ieee_overflow 0
		.amdhsa_exception_fp_ieee_underflow 0
		.amdhsa_exception_fp_ieee_inexact 0
		.amdhsa_exception_int_div_zero 0
	.end_amdhsa_kernel
	.section	.text._ZL9mul_mat_fIfLi32ELi13ELi3ELb0EEvPKT_PKfPKiPfiiiiiiiiiiiiiiii,"axG",@progbits,_ZL9mul_mat_fIfLi32ELi13ELi3ELb0EEvPKT_PKfPKiPfiiiiiiiiiiiiiiii,comdat
.Lfunc_end11:
	.size	_ZL9mul_mat_fIfLi32ELi13ELi3ELb0EEvPKT_PKfPKiPfiiiiiiiiiiiiiiii, .Lfunc_end11-_ZL9mul_mat_fIfLi32ELi13ELi3ELb0EEvPKT_PKfPKiPfiiiiiiiiiiiiiiii
                                        ; -- End function
	.set _ZL9mul_mat_fIfLi32ELi13ELi3ELb0EEvPKT_PKfPKiPfiiiiiiiiiiiiiiii.num_vgpr, max(3, .L_ZL14no_device_codePKciS0_iS0_.num_vgpr)
	.set _ZL9mul_mat_fIfLi32ELi13ELi3ELb0EEvPKT_PKfPKiPfiiiiiiiiiiiiiiii.num_agpr, max(0, .L_ZL14no_device_codePKciS0_iS0_.num_agpr)
	.set _ZL9mul_mat_fIfLi32ELi13ELi3ELb0EEvPKT_PKfPKiPfiiiiiiiiiiiiiiii.numbered_sgpr, max(33, .L_ZL14no_device_codePKciS0_iS0_.numbered_sgpr)
	.set _ZL9mul_mat_fIfLi32ELi13ELi3ELb0EEvPKT_PKfPKiPfiiiiiiiiiiiiiiii.num_named_barrier, max(0, .L_ZL14no_device_codePKciS0_iS0_.num_named_barrier)
	.set _ZL9mul_mat_fIfLi32ELi13ELi3ELb0EEvPKT_PKfPKiPfiiiiiiiiiiiiiiii.private_seg_size, 0+max(.L_ZL14no_device_codePKciS0_iS0_.private_seg_size)
	.set _ZL9mul_mat_fIfLi32ELi13ELi3ELb0EEvPKT_PKfPKiPfiiiiiiiiiiiiiiii.uses_vcc, or(1, .L_ZL14no_device_codePKciS0_iS0_.uses_vcc)
	.set _ZL9mul_mat_fIfLi32ELi13ELi3ELb0EEvPKT_PKfPKiPfiiiiiiiiiiiiiiii.uses_flat_scratch, or(0, .L_ZL14no_device_codePKciS0_iS0_.uses_flat_scratch)
	.set _ZL9mul_mat_fIfLi32ELi13ELi3ELb0EEvPKT_PKfPKiPfiiiiiiiiiiiiiiii.has_dyn_sized_stack, or(0, .L_ZL14no_device_codePKciS0_iS0_.has_dyn_sized_stack)
	.set _ZL9mul_mat_fIfLi32ELi13ELi3ELb0EEvPKT_PKfPKiPfiiiiiiiiiiiiiiii.has_recursion, or(0, .L_ZL14no_device_codePKciS0_iS0_.has_recursion)
	.set _ZL9mul_mat_fIfLi32ELi13ELi3ELb0EEvPKT_PKfPKiPfiiiiiiiiiiiiiiii.has_indirect_call, or(0, .L_ZL14no_device_codePKciS0_iS0_.has_indirect_call)
	.section	.AMDGPU.csdata,"",@progbits
; Kernel info:
; codeLenInByte = 72
; TotalNumSgprs: 40
; NumVgprs: 38
; NumAgprs: 0
; TotalNumVgprs: 38
; ScratchSize: 16
; MemoryBound: 0
; FloatMode: 240
; IeeeMode: 1
; LDSByteSize: 0 bytes/workgroup (compile time only)
; SGPRBlocks: 4
; VGPRBlocks: 4
; NumSGPRsForWavesPerEU: 40
; NumVGPRsForWavesPerEU: 38
; AccumOffset: 40
; Occupancy: 8
; WaveLimiterHint : 1
; COMPUTE_PGM_RSRC2:SCRATCH_EN: 1
; COMPUTE_PGM_RSRC2:USER_SGPR: 2
; COMPUTE_PGM_RSRC2:TRAP_HANDLER: 0
; COMPUTE_PGM_RSRC2:TGID_X_EN: 1
; COMPUTE_PGM_RSRC2:TGID_Y_EN: 0
; COMPUTE_PGM_RSRC2:TGID_Z_EN: 0
; COMPUTE_PGM_RSRC2:TIDIG_COMP_CNT: 0
; COMPUTE_PGM_RSRC3_GFX90A:ACCUM_OFFSET: 9
; COMPUTE_PGM_RSRC3_GFX90A:TG_SPLIT: 0
	.section	.text._ZL13mul_mat_f_idsIfLi32ELi13ELi4EEvPKT_PKfPKiS6_S6_Pfiiiiiiiiiiiiii15HIP_vector_typeIjLj3EES9_,"axG",@progbits,_ZL13mul_mat_f_idsIfLi32ELi13ELi4EEvPKT_PKfPKiS6_S6_Pfiiiiiiiiiiiiii15HIP_vector_typeIjLj3EES9_,comdat
	.globl	_ZL13mul_mat_f_idsIfLi32ELi13ELi4EEvPKT_PKfPKiS6_S6_Pfiiiiiiiiiiiiii15HIP_vector_typeIjLj3EES9_ ; -- Begin function _ZL13mul_mat_f_idsIfLi32ELi13ELi4EEvPKT_PKfPKiS6_S6_Pfiiiiiiiiiiiiii15HIP_vector_typeIjLj3EES9_
	.p2align	8
	.type	_ZL13mul_mat_f_idsIfLi32ELi13ELi4EEvPKT_PKfPKiS6_S6_Pfiiiiiiiiiiiiii15HIP_vector_typeIjLj3EES9_,@function
_ZL13mul_mat_f_idsIfLi32ELi13ELi4EEvPKT_PKfPKiS6_S6_Pfiiiiiiiiiiiiii15HIP_vector_typeIjLj3EES9_: ; @_ZL13mul_mat_f_idsIfLi32ELi13ELi4EEvPKT_PKfPKiS6_S6_Pfiiiiiiiiiiiiii15HIP_vector_typeIjLj3EES9_
; %bb.0:
	s_add_u32 s8, s0, 0x80
	s_addc_u32 s9, s1, 0
	s_getpc_b64 s[0:1]
	s_add_u32 s0, s0, __FUNCTION__._ZL13mul_mat_f_idsIfLi32ELi13ELi1EEvPKT_PKfPKiS6_S6_Pfiiiiiiiiiiiiii15HIP_vector_typeIjLj3EES9_@rel32@lo+4
	s_addc_u32 s1, s1, __FUNCTION__._ZL13mul_mat_f_idsIfLi32ELi13ELi1EEvPKT_PKfPKiS6_S6_Pfiiiiiiiiiiiiii15HIP_vector_typeIjLj3EES9_@rel32@hi+12
	s_getpc_b64 s[2:3]
	s_add_u32 s2, s2, _ZL14no_device_codePKciS0_iS0_@rel32@lo+4
	s_addc_u32 s3, s3, _ZL14no_device_codePKciS0_iS0_@rel32@hi+12
	v_mov_b32_e32 v0, 0x13b
	v_mov_b32_e32 v1, s0
	;; [unrolled: 1-line block ×3, first 2 shown]
	s_mov_b32 s32, 0
	s_swappc_b64 s[30:31], s[2:3]
	.section	.rodata,"a",@progbits
	.p2align	6, 0x0
	.amdhsa_kernel _ZL13mul_mat_f_idsIfLi32ELi13ELi4EEvPKT_PKfPKiS6_S6_Pfiiiiiiiiiiiiii15HIP_vector_typeIjLj3EES9_
		.amdhsa_group_segment_fixed_size 0
		.amdhsa_private_segment_fixed_size 16
		.amdhsa_kernarg_size 384
		.amdhsa_user_sgpr_count 2
		.amdhsa_user_sgpr_dispatch_ptr 0
		.amdhsa_user_sgpr_queue_ptr 0
		.amdhsa_user_sgpr_kernarg_segment_ptr 1
		.amdhsa_user_sgpr_dispatch_id 0
		.amdhsa_user_sgpr_kernarg_preload_length 0
		.amdhsa_user_sgpr_kernarg_preload_offset 0
		.amdhsa_user_sgpr_private_segment_size 0
		.amdhsa_uses_dynamic_stack 0
		.amdhsa_enable_private_segment 1
		.amdhsa_system_sgpr_workgroup_id_x 1
		.amdhsa_system_sgpr_workgroup_id_y 0
		.amdhsa_system_sgpr_workgroup_id_z 0
		.amdhsa_system_sgpr_workgroup_info 0
		.amdhsa_system_vgpr_workitem_id 0
		.amdhsa_next_free_vgpr 38
		.amdhsa_next_free_sgpr 34
		.amdhsa_accum_offset 40
		.amdhsa_reserve_vcc 1
		.amdhsa_float_round_mode_32 0
		.amdhsa_float_round_mode_16_64 0
		.amdhsa_float_denorm_mode_32 3
		.amdhsa_float_denorm_mode_16_64 3
		.amdhsa_dx10_clamp 1
		.amdhsa_ieee_mode 1
		.amdhsa_fp16_overflow 0
		.amdhsa_tg_split 0
		.amdhsa_exception_fp_ieee_invalid_op 0
		.amdhsa_exception_fp_denorm_src 0
		.amdhsa_exception_fp_ieee_div_zero 0
		.amdhsa_exception_fp_ieee_overflow 0
		.amdhsa_exception_fp_ieee_underflow 0
		.amdhsa_exception_fp_ieee_inexact 0
		.amdhsa_exception_int_div_zero 0
	.end_amdhsa_kernel
	.section	.text._ZL13mul_mat_f_idsIfLi32ELi13ELi4EEvPKT_PKfPKiS6_S6_Pfiiiiiiiiiiiiii15HIP_vector_typeIjLj3EES9_,"axG",@progbits,_ZL13mul_mat_f_idsIfLi32ELi13ELi4EEvPKT_PKfPKiS6_S6_Pfiiiiiiiiiiiiii15HIP_vector_typeIjLj3EES9_,comdat
.Lfunc_end12:
	.size	_ZL13mul_mat_f_idsIfLi32ELi13ELi4EEvPKT_PKfPKiS6_S6_Pfiiiiiiiiiiiiii15HIP_vector_typeIjLj3EES9_, .Lfunc_end12-_ZL13mul_mat_f_idsIfLi32ELi13ELi4EEvPKT_PKfPKiS6_S6_Pfiiiiiiiiiiiiii15HIP_vector_typeIjLj3EES9_
                                        ; -- End function
	.set _ZL13mul_mat_f_idsIfLi32ELi13ELi4EEvPKT_PKfPKiS6_S6_Pfiiiiiiiiiiiiii15HIP_vector_typeIjLj3EES9_.num_vgpr, max(3, .L_ZL14no_device_codePKciS0_iS0_.num_vgpr)
	.set _ZL13mul_mat_f_idsIfLi32ELi13ELi4EEvPKT_PKfPKiS6_S6_Pfiiiiiiiiiiiiii15HIP_vector_typeIjLj3EES9_.num_agpr, max(0, .L_ZL14no_device_codePKciS0_iS0_.num_agpr)
	.set _ZL13mul_mat_f_idsIfLi32ELi13ELi4EEvPKT_PKfPKiS6_S6_Pfiiiiiiiiiiiiii15HIP_vector_typeIjLj3EES9_.numbered_sgpr, max(33, .L_ZL14no_device_codePKciS0_iS0_.numbered_sgpr)
	.set _ZL13mul_mat_f_idsIfLi32ELi13ELi4EEvPKT_PKfPKiS6_S6_Pfiiiiiiiiiiiiii15HIP_vector_typeIjLj3EES9_.num_named_barrier, max(0, .L_ZL14no_device_codePKciS0_iS0_.num_named_barrier)
	.set _ZL13mul_mat_f_idsIfLi32ELi13ELi4EEvPKT_PKfPKiS6_S6_Pfiiiiiiiiiiiiii15HIP_vector_typeIjLj3EES9_.private_seg_size, 0+max(.L_ZL14no_device_codePKciS0_iS0_.private_seg_size)
	.set _ZL13mul_mat_f_idsIfLi32ELi13ELi4EEvPKT_PKfPKiS6_S6_Pfiiiiiiiiiiiiii15HIP_vector_typeIjLj3EES9_.uses_vcc, or(1, .L_ZL14no_device_codePKciS0_iS0_.uses_vcc)
	.set _ZL13mul_mat_f_idsIfLi32ELi13ELi4EEvPKT_PKfPKiS6_S6_Pfiiiiiiiiiiiiii15HIP_vector_typeIjLj3EES9_.uses_flat_scratch, or(0, .L_ZL14no_device_codePKciS0_iS0_.uses_flat_scratch)
	.set _ZL13mul_mat_f_idsIfLi32ELi13ELi4EEvPKT_PKfPKiS6_S6_Pfiiiiiiiiiiiiii15HIP_vector_typeIjLj3EES9_.has_dyn_sized_stack, or(0, .L_ZL14no_device_codePKciS0_iS0_.has_dyn_sized_stack)
	.set _ZL13mul_mat_f_idsIfLi32ELi13ELi4EEvPKT_PKfPKiS6_S6_Pfiiiiiiiiiiiiii15HIP_vector_typeIjLj3EES9_.has_recursion, or(0, .L_ZL14no_device_codePKciS0_iS0_.has_recursion)
	.set _ZL13mul_mat_f_idsIfLi32ELi13ELi4EEvPKT_PKfPKiS6_S6_Pfiiiiiiiiiiiiii15HIP_vector_typeIjLj3EES9_.has_indirect_call, or(0, .L_ZL14no_device_codePKciS0_iS0_.has_indirect_call)
	.section	.AMDGPU.csdata,"",@progbits
; Kernel info:
; codeLenInByte = 76
; TotalNumSgprs: 40
; NumVgprs: 38
; NumAgprs: 0
; TotalNumVgprs: 38
; ScratchSize: 16
; MemoryBound: 0
; FloatMode: 240
; IeeeMode: 1
; LDSByteSize: 0 bytes/workgroup (compile time only)
; SGPRBlocks: 4
; VGPRBlocks: 4
; NumSGPRsForWavesPerEU: 40
; NumVGPRsForWavesPerEU: 38
; AccumOffset: 40
; Occupancy: 8
; WaveLimiterHint : 1
; COMPUTE_PGM_RSRC2:SCRATCH_EN: 1
; COMPUTE_PGM_RSRC2:USER_SGPR: 2
; COMPUTE_PGM_RSRC2:TRAP_HANDLER: 0
; COMPUTE_PGM_RSRC2:TGID_X_EN: 1
; COMPUTE_PGM_RSRC2:TGID_Y_EN: 0
; COMPUTE_PGM_RSRC2:TGID_Z_EN: 0
; COMPUTE_PGM_RSRC2:TIDIG_COMP_CNT: 0
; COMPUTE_PGM_RSRC3_GFX90A:ACCUM_OFFSET: 9
; COMPUTE_PGM_RSRC3_GFX90A:TG_SPLIT: 0
	.section	.text._ZL9mul_mat_fIfLi32ELi13ELi4ELb1EEvPKT_PKfPKiPfiiiiiiiiiiiiiiii,"axG",@progbits,_ZL9mul_mat_fIfLi32ELi13ELi4ELb1EEvPKT_PKfPKiPfiiiiiiiiiiiiiiii,comdat
	.globl	_ZL9mul_mat_fIfLi32ELi13ELi4ELb1EEvPKT_PKfPKiPfiiiiiiiiiiiiiiii ; -- Begin function _ZL9mul_mat_fIfLi32ELi13ELi4ELb1EEvPKT_PKfPKiPfiiiiiiiiiiiiiiii
	.p2align	8
	.type	_ZL9mul_mat_fIfLi32ELi13ELi4ELb1EEvPKT_PKfPKiPfiiiiiiiiiiiiiiii,@function
_ZL9mul_mat_fIfLi32ELi13ELi4ELb1EEvPKT_PKfPKiPfiiiiiiiiiiiiiiii: ; @_ZL9mul_mat_fIfLi32ELi13ELi4ELb1EEvPKT_PKfPKiPfiiiiiiiiiiiiiiii
; %bb.0:
	s_add_u32 s8, s0, 0x60
	s_addc_u32 s9, s1, 0
	s_getpc_b64 s[0:1]
	s_add_u32 s0, s0, __FUNCTION__._ZL9mul_mat_fIfLi32ELi13ELi1ELb1EEvPKT_PKfPKiPfiiiiiiiiiiiiiiii@rel32@lo+4
	s_addc_u32 s1, s1, __FUNCTION__._ZL9mul_mat_fIfLi32ELi13ELi1ELb1EEvPKT_PKfPKiPfiiiiiiiiiiiiiiii@rel32@hi+12
	s_getpc_b64 s[2:3]
	s_add_u32 s2, s2, _ZL14no_device_codePKciS0_iS0_@rel32@lo+4
	s_addc_u32 s3, s3, _ZL14no_device_codePKciS0_iS0_@rel32@hi+12
	v_mov_b32_e32 v0, 64
	v_mov_b32_e32 v1, s0
	;; [unrolled: 1-line block ×3, first 2 shown]
	s_mov_b32 s32, 0
	s_swappc_b64 s[30:31], s[2:3]
	.section	.rodata,"a",@progbits
	.p2align	6, 0x0
	.amdhsa_kernel _ZL9mul_mat_fIfLi32ELi13ELi4ELb1EEvPKT_PKfPKiPfiiiiiiiiiiiiiiii
		.amdhsa_group_segment_fixed_size 0
		.amdhsa_private_segment_fixed_size 16
		.amdhsa_kernarg_size 352
		.amdhsa_user_sgpr_count 2
		.amdhsa_user_sgpr_dispatch_ptr 0
		.amdhsa_user_sgpr_queue_ptr 0
		.amdhsa_user_sgpr_kernarg_segment_ptr 1
		.amdhsa_user_sgpr_dispatch_id 0
		.amdhsa_user_sgpr_kernarg_preload_length 0
		.amdhsa_user_sgpr_kernarg_preload_offset 0
		.amdhsa_user_sgpr_private_segment_size 0
		.amdhsa_uses_dynamic_stack 0
		.amdhsa_enable_private_segment 1
		.amdhsa_system_sgpr_workgroup_id_x 1
		.amdhsa_system_sgpr_workgroup_id_y 0
		.amdhsa_system_sgpr_workgroup_id_z 0
		.amdhsa_system_sgpr_workgroup_info 0
		.amdhsa_system_vgpr_workitem_id 0
		.amdhsa_next_free_vgpr 38
		.amdhsa_next_free_sgpr 34
		.amdhsa_accum_offset 40
		.amdhsa_reserve_vcc 1
		.amdhsa_float_round_mode_32 0
		.amdhsa_float_round_mode_16_64 0
		.amdhsa_float_denorm_mode_32 3
		.amdhsa_float_denorm_mode_16_64 3
		.amdhsa_dx10_clamp 1
		.amdhsa_ieee_mode 1
		.amdhsa_fp16_overflow 0
		.amdhsa_tg_split 0
		.amdhsa_exception_fp_ieee_invalid_op 0
		.amdhsa_exception_fp_denorm_src 0
		.amdhsa_exception_fp_ieee_div_zero 0
		.amdhsa_exception_fp_ieee_overflow 0
		.amdhsa_exception_fp_ieee_underflow 0
		.amdhsa_exception_fp_ieee_inexact 0
		.amdhsa_exception_int_div_zero 0
	.end_amdhsa_kernel
	.section	.text._ZL9mul_mat_fIfLi32ELi13ELi4ELb1EEvPKT_PKfPKiPfiiiiiiiiiiiiiiii,"axG",@progbits,_ZL9mul_mat_fIfLi32ELi13ELi4ELb1EEvPKT_PKfPKiPfiiiiiiiiiiiiiiii,comdat
.Lfunc_end13:
	.size	_ZL9mul_mat_fIfLi32ELi13ELi4ELb1EEvPKT_PKfPKiPfiiiiiiiiiiiiiiii, .Lfunc_end13-_ZL9mul_mat_fIfLi32ELi13ELi4ELb1EEvPKT_PKfPKiPfiiiiiiiiiiiiiiii
                                        ; -- End function
	.set _ZL9mul_mat_fIfLi32ELi13ELi4ELb1EEvPKT_PKfPKiPfiiiiiiiiiiiiiiii.num_vgpr, max(3, .L_ZL14no_device_codePKciS0_iS0_.num_vgpr)
	.set _ZL9mul_mat_fIfLi32ELi13ELi4ELb1EEvPKT_PKfPKiPfiiiiiiiiiiiiiiii.num_agpr, max(0, .L_ZL14no_device_codePKciS0_iS0_.num_agpr)
	.set _ZL9mul_mat_fIfLi32ELi13ELi4ELb1EEvPKT_PKfPKiPfiiiiiiiiiiiiiiii.numbered_sgpr, max(33, .L_ZL14no_device_codePKciS0_iS0_.numbered_sgpr)
	.set _ZL9mul_mat_fIfLi32ELi13ELi4ELb1EEvPKT_PKfPKiPfiiiiiiiiiiiiiiii.num_named_barrier, max(0, .L_ZL14no_device_codePKciS0_iS0_.num_named_barrier)
	.set _ZL9mul_mat_fIfLi32ELi13ELi4ELb1EEvPKT_PKfPKiPfiiiiiiiiiiiiiiii.private_seg_size, 0+max(.L_ZL14no_device_codePKciS0_iS0_.private_seg_size)
	.set _ZL9mul_mat_fIfLi32ELi13ELi4ELb1EEvPKT_PKfPKiPfiiiiiiiiiiiiiiii.uses_vcc, or(1, .L_ZL14no_device_codePKciS0_iS0_.uses_vcc)
	.set _ZL9mul_mat_fIfLi32ELi13ELi4ELb1EEvPKT_PKfPKiPfiiiiiiiiiiiiiiii.uses_flat_scratch, or(0, .L_ZL14no_device_codePKciS0_iS0_.uses_flat_scratch)
	.set _ZL9mul_mat_fIfLi32ELi13ELi4ELb1EEvPKT_PKfPKiPfiiiiiiiiiiiiiiii.has_dyn_sized_stack, or(0, .L_ZL14no_device_codePKciS0_iS0_.has_dyn_sized_stack)
	.set _ZL9mul_mat_fIfLi32ELi13ELi4ELb1EEvPKT_PKfPKiPfiiiiiiiiiiiiiiii.has_recursion, or(0, .L_ZL14no_device_codePKciS0_iS0_.has_recursion)
	.set _ZL9mul_mat_fIfLi32ELi13ELi4ELb1EEvPKT_PKfPKiPfiiiiiiiiiiiiiiii.has_indirect_call, or(0, .L_ZL14no_device_codePKciS0_iS0_.has_indirect_call)
	.section	.AMDGPU.csdata,"",@progbits
; Kernel info:
; codeLenInByte = 72
; TotalNumSgprs: 40
; NumVgprs: 38
; NumAgprs: 0
; TotalNumVgprs: 38
; ScratchSize: 16
; MemoryBound: 0
; FloatMode: 240
; IeeeMode: 1
; LDSByteSize: 0 bytes/workgroup (compile time only)
; SGPRBlocks: 4
; VGPRBlocks: 4
; NumSGPRsForWavesPerEU: 40
; NumVGPRsForWavesPerEU: 38
; AccumOffset: 40
; Occupancy: 8
; WaveLimiterHint : 1
; COMPUTE_PGM_RSRC2:SCRATCH_EN: 1
; COMPUTE_PGM_RSRC2:USER_SGPR: 2
; COMPUTE_PGM_RSRC2:TRAP_HANDLER: 0
; COMPUTE_PGM_RSRC2:TGID_X_EN: 1
; COMPUTE_PGM_RSRC2:TGID_Y_EN: 0
; COMPUTE_PGM_RSRC2:TGID_Z_EN: 0
; COMPUTE_PGM_RSRC2:TIDIG_COMP_CNT: 0
; COMPUTE_PGM_RSRC3_GFX90A:ACCUM_OFFSET: 9
; COMPUTE_PGM_RSRC3_GFX90A:TG_SPLIT: 0
	.section	.text._ZL9mul_mat_fIfLi32ELi13ELi4ELb0EEvPKT_PKfPKiPfiiiiiiiiiiiiiiii,"axG",@progbits,_ZL9mul_mat_fIfLi32ELi13ELi4ELb0EEvPKT_PKfPKiPfiiiiiiiiiiiiiiii,comdat
	.globl	_ZL9mul_mat_fIfLi32ELi13ELi4ELb0EEvPKT_PKfPKiPfiiiiiiiiiiiiiiii ; -- Begin function _ZL9mul_mat_fIfLi32ELi13ELi4ELb0EEvPKT_PKfPKiPfiiiiiiiiiiiiiiii
	.p2align	8
	.type	_ZL9mul_mat_fIfLi32ELi13ELi4ELb0EEvPKT_PKfPKiPfiiiiiiiiiiiiiiii,@function
_ZL9mul_mat_fIfLi32ELi13ELi4ELb0EEvPKT_PKfPKiPfiiiiiiiiiiiiiiii: ; @_ZL9mul_mat_fIfLi32ELi13ELi4ELb0EEvPKT_PKfPKiPfiiiiiiiiiiiiiiii
; %bb.0:
	s_add_u32 s8, s0, 0x60
	s_addc_u32 s9, s1, 0
	s_getpc_b64 s[0:1]
	s_add_u32 s0, s0, __FUNCTION__._ZL9mul_mat_fIfLi32ELi13ELi1ELb1EEvPKT_PKfPKiPfiiiiiiiiiiiiiiii@rel32@lo+4
	s_addc_u32 s1, s1, __FUNCTION__._ZL9mul_mat_fIfLi32ELi13ELi1ELb1EEvPKT_PKfPKiPfiiiiiiiiiiiiiiii@rel32@hi+12
	s_getpc_b64 s[2:3]
	s_add_u32 s2, s2, _ZL14no_device_codePKciS0_iS0_@rel32@lo+4
	s_addc_u32 s3, s3, _ZL14no_device_codePKciS0_iS0_@rel32@hi+12
	v_mov_b32_e32 v0, 64
	v_mov_b32_e32 v1, s0
	;; [unrolled: 1-line block ×3, first 2 shown]
	s_mov_b32 s32, 0
	s_swappc_b64 s[30:31], s[2:3]
	.section	.rodata,"a",@progbits
	.p2align	6, 0x0
	.amdhsa_kernel _ZL9mul_mat_fIfLi32ELi13ELi4ELb0EEvPKT_PKfPKiPfiiiiiiiiiiiiiiii
		.amdhsa_group_segment_fixed_size 0
		.amdhsa_private_segment_fixed_size 16
		.amdhsa_kernarg_size 352
		.amdhsa_user_sgpr_count 2
		.amdhsa_user_sgpr_dispatch_ptr 0
		.amdhsa_user_sgpr_queue_ptr 0
		.amdhsa_user_sgpr_kernarg_segment_ptr 1
		.amdhsa_user_sgpr_dispatch_id 0
		.amdhsa_user_sgpr_kernarg_preload_length 0
		.amdhsa_user_sgpr_kernarg_preload_offset 0
		.amdhsa_user_sgpr_private_segment_size 0
		.amdhsa_uses_dynamic_stack 0
		.amdhsa_enable_private_segment 1
		.amdhsa_system_sgpr_workgroup_id_x 1
		.amdhsa_system_sgpr_workgroup_id_y 0
		.amdhsa_system_sgpr_workgroup_id_z 0
		.amdhsa_system_sgpr_workgroup_info 0
		.amdhsa_system_vgpr_workitem_id 0
		.amdhsa_next_free_vgpr 38
		.amdhsa_next_free_sgpr 34
		.amdhsa_accum_offset 40
		.amdhsa_reserve_vcc 1
		.amdhsa_float_round_mode_32 0
		.amdhsa_float_round_mode_16_64 0
		.amdhsa_float_denorm_mode_32 3
		.amdhsa_float_denorm_mode_16_64 3
		.amdhsa_dx10_clamp 1
		.amdhsa_ieee_mode 1
		.amdhsa_fp16_overflow 0
		.amdhsa_tg_split 0
		.amdhsa_exception_fp_ieee_invalid_op 0
		.amdhsa_exception_fp_denorm_src 0
		.amdhsa_exception_fp_ieee_div_zero 0
		.amdhsa_exception_fp_ieee_overflow 0
		.amdhsa_exception_fp_ieee_underflow 0
		.amdhsa_exception_fp_ieee_inexact 0
		.amdhsa_exception_int_div_zero 0
	.end_amdhsa_kernel
	.section	.text._ZL9mul_mat_fIfLi32ELi13ELi4ELb0EEvPKT_PKfPKiPfiiiiiiiiiiiiiiii,"axG",@progbits,_ZL9mul_mat_fIfLi32ELi13ELi4ELb0EEvPKT_PKfPKiPfiiiiiiiiiiiiiiii,comdat
.Lfunc_end14:
	.size	_ZL9mul_mat_fIfLi32ELi13ELi4ELb0EEvPKT_PKfPKiPfiiiiiiiiiiiiiiii, .Lfunc_end14-_ZL9mul_mat_fIfLi32ELi13ELi4ELb0EEvPKT_PKfPKiPfiiiiiiiiiiiiiiii
                                        ; -- End function
	.set _ZL9mul_mat_fIfLi32ELi13ELi4ELb0EEvPKT_PKfPKiPfiiiiiiiiiiiiiiii.num_vgpr, max(3, .L_ZL14no_device_codePKciS0_iS0_.num_vgpr)
	.set _ZL9mul_mat_fIfLi32ELi13ELi4ELb0EEvPKT_PKfPKiPfiiiiiiiiiiiiiiii.num_agpr, max(0, .L_ZL14no_device_codePKciS0_iS0_.num_agpr)
	.set _ZL9mul_mat_fIfLi32ELi13ELi4ELb0EEvPKT_PKfPKiPfiiiiiiiiiiiiiiii.numbered_sgpr, max(33, .L_ZL14no_device_codePKciS0_iS0_.numbered_sgpr)
	.set _ZL9mul_mat_fIfLi32ELi13ELi4ELb0EEvPKT_PKfPKiPfiiiiiiiiiiiiiiii.num_named_barrier, max(0, .L_ZL14no_device_codePKciS0_iS0_.num_named_barrier)
	.set _ZL9mul_mat_fIfLi32ELi13ELi4ELb0EEvPKT_PKfPKiPfiiiiiiiiiiiiiiii.private_seg_size, 0+max(.L_ZL14no_device_codePKciS0_iS0_.private_seg_size)
	.set _ZL9mul_mat_fIfLi32ELi13ELi4ELb0EEvPKT_PKfPKiPfiiiiiiiiiiiiiiii.uses_vcc, or(1, .L_ZL14no_device_codePKciS0_iS0_.uses_vcc)
	.set _ZL9mul_mat_fIfLi32ELi13ELi4ELb0EEvPKT_PKfPKiPfiiiiiiiiiiiiiiii.uses_flat_scratch, or(0, .L_ZL14no_device_codePKciS0_iS0_.uses_flat_scratch)
	.set _ZL9mul_mat_fIfLi32ELi13ELi4ELb0EEvPKT_PKfPKiPfiiiiiiiiiiiiiiii.has_dyn_sized_stack, or(0, .L_ZL14no_device_codePKciS0_iS0_.has_dyn_sized_stack)
	.set _ZL9mul_mat_fIfLi32ELi13ELi4ELb0EEvPKT_PKfPKiPfiiiiiiiiiiiiiiii.has_recursion, or(0, .L_ZL14no_device_codePKciS0_iS0_.has_recursion)
	.set _ZL9mul_mat_fIfLi32ELi13ELi4ELb0EEvPKT_PKfPKiPfiiiiiiiiiiiiiiii.has_indirect_call, or(0, .L_ZL14no_device_codePKciS0_iS0_.has_indirect_call)
	.section	.AMDGPU.csdata,"",@progbits
; Kernel info:
; codeLenInByte = 72
; TotalNumSgprs: 40
; NumVgprs: 38
; NumAgprs: 0
; TotalNumVgprs: 38
; ScratchSize: 16
; MemoryBound: 0
; FloatMode: 240
; IeeeMode: 1
; LDSByteSize: 0 bytes/workgroup (compile time only)
; SGPRBlocks: 4
; VGPRBlocks: 4
; NumSGPRsForWavesPerEU: 40
; NumVGPRsForWavesPerEU: 38
; AccumOffset: 40
; Occupancy: 8
; WaveLimiterHint : 1
; COMPUTE_PGM_RSRC2:SCRATCH_EN: 1
; COMPUTE_PGM_RSRC2:USER_SGPR: 2
; COMPUTE_PGM_RSRC2:TRAP_HANDLER: 0
; COMPUTE_PGM_RSRC2:TGID_X_EN: 1
; COMPUTE_PGM_RSRC2:TGID_Y_EN: 0
; COMPUTE_PGM_RSRC2:TGID_Z_EN: 0
; COMPUTE_PGM_RSRC2:TIDIG_COMP_CNT: 0
; COMPUTE_PGM_RSRC3_GFX90A:ACCUM_OFFSET: 9
; COMPUTE_PGM_RSRC3_GFX90A:TG_SPLIT: 0
	.section	.text._ZL13mul_mat_f_idsIfLi32ELi13ELi5EEvPKT_PKfPKiS6_S6_Pfiiiiiiiiiiiiii15HIP_vector_typeIjLj3EES9_,"axG",@progbits,_ZL13mul_mat_f_idsIfLi32ELi13ELi5EEvPKT_PKfPKiS6_S6_Pfiiiiiiiiiiiiii15HIP_vector_typeIjLj3EES9_,comdat
	.globl	_ZL13mul_mat_f_idsIfLi32ELi13ELi5EEvPKT_PKfPKiS6_S6_Pfiiiiiiiiiiiiii15HIP_vector_typeIjLj3EES9_ ; -- Begin function _ZL13mul_mat_f_idsIfLi32ELi13ELi5EEvPKT_PKfPKiS6_S6_Pfiiiiiiiiiiiiii15HIP_vector_typeIjLj3EES9_
	.p2align	8
	.type	_ZL13mul_mat_f_idsIfLi32ELi13ELi5EEvPKT_PKfPKiS6_S6_Pfiiiiiiiiiiiiii15HIP_vector_typeIjLj3EES9_,@function
_ZL13mul_mat_f_idsIfLi32ELi13ELi5EEvPKT_PKfPKiS6_S6_Pfiiiiiiiiiiiiii15HIP_vector_typeIjLj3EES9_: ; @_ZL13mul_mat_f_idsIfLi32ELi13ELi5EEvPKT_PKfPKiS6_S6_Pfiiiiiiiiiiiiii15HIP_vector_typeIjLj3EES9_
; %bb.0:
	s_add_u32 s8, s0, 0x80
	s_addc_u32 s9, s1, 0
	s_getpc_b64 s[0:1]
	s_add_u32 s0, s0, __FUNCTION__._ZL13mul_mat_f_idsIfLi32ELi13ELi1EEvPKT_PKfPKiS6_S6_Pfiiiiiiiiiiiiii15HIP_vector_typeIjLj3EES9_@rel32@lo+4
	s_addc_u32 s1, s1, __FUNCTION__._ZL13mul_mat_f_idsIfLi32ELi13ELi1EEvPKT_PKfPKiS6_S6_Pfiiiiiiiiiiiiii15HIP_vector_typeIjLj3EES9_@rel32@hi+12
	s_getpc_b64 s[2:3]
	s_add_u32 s2, s2, _ZL14no_device_codePKciS0_iS0_@rel32@lo+4
	s_addc_u32 s3, s3, _ZL14no_device_codePKciS0_iS0_@rel32@hi+12
	v_mov_b32_e32 v0, 0x13b
	v_mov_b32_e32 v1, s0
	;; [unrolled: 1-line block ×3, first 2 shown]
	s_mov_b32 s32, 0
	s_swappc_b64 s[30:31], s[2:3]
	.section	.rodata,"a",@progbits
	.p2align	6, 0x0
	.amdhsa_kernel _ZL13mul_mat_f_idsIfLi32ELi13ELi5EEvPKT_PKfPKiS6_S6_Pfiiiiiiiiiiiiii15HIP_vector_typeIjLj3EES9_
		.amdhsa_group_segment_fixed_size 0
		.amdhsa_private_segment_fixed_size 16
		.amdhsa_kernarg_size 384
		.amdhsa_user_sgpr_count 2
		.amdhsa_user_sgpr_dispatch_ptr 0
		.amdhsa_user_sgpr_queue_ptr 0
		.amdhsa_user_sgpr_kernarg_segment_ptr 1
		.amdhsa_user_sgpr_dispatch_id 0
		.amdhsa_user_sgpr_kernarg_preload_length 0
		.amdhsa_user_sgpr_kernarg_preload_offset 0
		.amdhsa_user_sgpr_private_segment_size 0
		.amdhsa_uses_dynamic_stack 0
		.amdhsa_enable_private_segment 1
		.amdhsa_system_sgpr_workgroup_id_x 1
		.amdhsa_system_sgpr_workgroup_id_y 0
		.amdhsa_system_sgpr_workgroup_id_z 0
		.amdhsa_system_sgpr_workgroup_info 0
		.amdhsa_system_vgpr_workitem_id 0
		.amdhsa_next_free_vgpr 38
		.amdhsa_next_free_sgpr 34
		.amdhsa_accum_offset 40
		.amdhsa_reserve_vcc 1
		.amdhsa_float_round_mode_32 0
		.amdhsa_float_round_mode_16_64 0
		.amdhsa_float_denorm_mode_32 3
		.amdhsa_float_denorm_mode_16_64 3
		.amdhsa_dx10_clamp 1
		.amdhsa_ieee_mode 1
		.amdhsa_fp16_overflow 0
		.amdhsa_tg_split 0
		.amdhsa_exception_fp_ieee_invalid_op 0
		.amdhsa_exception_fp_denorm_src 0
		.amdhsa_exception_fp_ieee_div_zero 0
		.amdhsa_exception_fp_ieee_overflow 0
		.amdhsa_exception_fp_ieee_underflow 0
		.amdhsa_exception_fp_ieee_inexact 0
		.amdhsa_exception_int_div_zero 0
	.end_amdhsa_kernel
	.section	.text._ZL13mul_mat_f_idsIfLi32ELi13ELi5EEvPKT_PKfPKiS6_S6_Pfiiiiiiiiiiiiii15HIP_vector_typeIjLj3EES9_,"axG",@progbits,_ZL13mul_mat_f_idsIfLi32ELi13ELi5EEvPKT_PKfPKiS6_S6_Pfiiiiiiiiiiiiii15HIP_vector_typeIjLj3EES9_,comdat
.Lfunc_end15:
	.size	_ZL13mul_mat_f_idsIfLi32ELi13ELi5EEvPKT_PKfPKiS6_S6_Pfiiiiiiiiiiiiii15HIP_vector_typeIjLj3EES9_, .Lfunc_end15-_ZL13mul_mat_f_idsIfLi32ELi13ELi5EEvPKT_PKfPKiS6_S6_Pfiiiiiiiiiiiiii15HIP_vector_typeIjLj3EES9_
                                        ; -- End function
	.set _ZL13mul_mat_f_idsIfLi32ELi13ELi5EEvPKT_PKfPKiS6_S6_Pfiiiiiiiiiiiiii15HIP_vector_typeIjLj3EES9_.num_vgpr, max(3, .L_ZL14no_device_codePKciS0_iS0_.num_vgpr)
	.set _ZL13mul_mat_f_idsIfLi32ELi13ELi5EEvPKT_PKfPKiS6_S6_Pfiiiiiiiiiiiiii15HIP_vector_typeIjLj3EES9_.num_agpr, max(0, .L_ZL14no_device_codePKciS0_iS0_.num_agpr)
	.set _ZL13mul_mat_f_idsIfLi32ELi13ELi5EEvPKT_PKfPKiS6_S6_Pfiiiiiiiiiiiiii15HIP_vector_typeIjLj3EES9_.numbered_sgpr, max(33, .L_ZL14no_device_codePKciS0_iS0_.numbered_sgpr)
	.set _ZL13mul_mat_f_idsIfLi32ELi13ELi5EEvPKT_PKfPKiS6_S6_Pfiiiiiiiiiiiiii15HIP_vector_typeIjLj3EES9_.num_named_barrier, max(0, .L_ZL14no_device_codePKciS0_iS0_.num_named_barrier)
	.set _ZL13mul_mat_f_idsIfLi32ELi13ELi5EEvPKT_PKfPKiS6_S6_Pfiiiiiiiiiiiiii15HIP_vector_typeIjLj3EES9_.private_seg_size, 0+max(.L_ZL14no_device_codePKciS0_iS0_.private_seg_size)
	.set _ZL13mul_mat_f_idsIfLi32ELi13ELi5EEvPKT_PKfPKiS6_S6_Pfiiiiiiiiiiiiii15HIP_vector_typeIjLj3EES9_.uses_vcc, or(1, .L_ZL14no_device_codePKciS0_iS0_.uses_vcc)
	.set _ZL13mul_mat_f_idsIfLi32ELi13ELi5EEvPKT_PKfPKiS6_S6_Pfiiiiiiiiiiiiii15HIP_vector_typeIjLj3EES9_.uses_flat_scratch, or(0, .L_ZL14no_device_codePKciS0_iS0_.uses_flat_scratch)
	.set _ZL13mul_mat_f_idsIfLi32ELi13ELi5EEvPKT_PKfPKiS6_S6_Pfiiiiiiiiiiiiii15HIP_vector_typeIjLj3EES9_.has_dyn_sized_stack, or(0, .L_ZL14no_device_codePKciS0_iS0_.has_dyn_sized_stack)
	.set _ZL13mul_mat_f_idsIfLi32ELi13ELi5EEvPKT_PKfPKiS6_S6_Pfiiiiiiiiiiiiii15HIP_vector_typeIjLj3EES9_.has_recursion, or(0, .L_ZL14no_device_codePKciS0_iS0_.has_recursion)
	.set _ZL13mul_mat_f_idsIfLi32ELi13ELi5EEvPKT_PKfPKiS6_S6_Pfiiiiiiiiiiiiii15HIP_vector_typeIjLj3EES9_.has_indirect_call, or(0, .L_ZL14no_device_codePKciS0_iS0_.has_indirect_call)
	.section	.AMDGPU.csdata,"",@progbits
; Kernel info:
; codeLenInByte = 76
; TotalNumSgprs: 40
; NumVgprs: 38
; NumAgprs: 0
; TotalNumVgprs: 38
; ScratchSize: 16
; MemoryBound: 0
; FloatMode: 240
; IeeeMode: 1
; LDSByteSize: 0 bytes/workgroup (compile time only)
; SGPRBlocks: 4
; VGPRBlocks: 4
; NumSGPRsForWavesPerEU: 40
; NumVGPRsForWavesPerEU: 38
; AccumOffset: 40
; Occupancy: 8
; WaveLimiterHint : 1
; COMPUTE_PGM_RSRC2:SCRATCH_EN: 1
; COMPUTE_PGM_RSRC2:USER_SGPR: 2
; COMPUTE_PGM_RSRC2:TRAP_HANDLER: 0
; COMPUTE_PGM_RSRC2:TGID_X_EN: 1
; COMPUTE_PGM_RSRC2:TGID_Y_EN: 0
; COMPUTE_PGM_RSRC2:TGID_Z_EN: 0
; COMPUTE_PGM_RSRC2:TIDIG_COMP_CNT: 0
; COMPUTE_PGM_RSRC3_GFX90A:ACCUM_OFFSET: 9
; COMPUTE_PGM_RSRC3_GFX90A:TG_SPLIT: 0
	.section	.text._ZL9mul_mat_fIfLi32ELi13ELi5ELb1EEvPKT_PKfPKiPfiiiiiiiiiiiiiiii,"axG",@progbits,_ZL9mul_mat_fIfLi32ELi13ELi5ELb1EEvPKT_PKfPKiPfiiiiiiiiiiiiiiii,comdat
	.globl	_ZL9mul_mat_fIfLi32ELi13ELi5ELb1EEvPKT_PKfPKiPfiiiiiiiiiiiiiiii ; -- Begin function _ZL9mul_mat_fIfLi32ELi13ELi5ELb1EEvPKT_PKfPKiPfiiiiiiiiiiiiiiii
	.p2align	8
	.type	_ZL9mul_mat_fIfLi32ELi13ELi5ELb1EEvPKT_PKfPKiPfiiiiiiiiiiiiiiii,@function
_ZL9mul_mat_fIfLi32ELi13ELi5ELb1EEvPKT_PKfPKiPfiiiiiiiiiiiiiiii: ; @_ZL9mul_mat_fIfLi32ELi13ELi5ELb1EEvPKT_PKfPKiPfiiiiiiiiiiiiiiii
; %bb.0:
	s_add_u32 s8, s0, 0x60
	s_addc_u32 s9, s1, 0
	s_getpc_b64 s[0:1]
	s_add_u32 s0, s0, __FUNCTION__._ZL9mul_mat_fIfLi32ELi13ELi1ELb1EEvPKT_PKfPKiPfiiiiiiiiiiiiiiii@rel32@lo+4
	s_addc_u32 s1, s1, __FUNCTION__._ZL9mul_mat_fIfLi32ELi13ELi1ELb1EEvPKT_PKfPKiPfiiiiiiiiiiiiiiii@rel32@hi+12
	s_getpc_b64 s[2:3]
	s_add_u32 s2, s2, _ZL14no_device_codePKciS0_iS0_@rel32@lo+4
	s_addc_u32 s3, s3, _ZL14no_device_codePKciS0_iS0_@rel32@hi+12
	v_mov_b32_e32 v0, 64
	v_mov_b32_e32 v1, s0
	;; [unrolled: 1-line block ×3, first 2 shown]
	s_mov_b32 s32, 0
	s_swappc_b64 s[30:31], s[2:3]
	.section	.rodata,"a",@progbits
	.p2align	6, 0x0
	.amdhsa_kernel _ZL9mul_mat_fIfLi32ELi13ELi5ELb1EEvPKT_PKfPKiPfiiiiiiiiiiiiiiii
		.amdhsa_group_segment_fixed_size 0
		.amdhsa_private_segment_fixed_size 16
		.amdhsa_kernarg_size 352
		.amdhsa_user_sgpr_count 2
		.amdhsa_user_sgpr_dispatch_ptr 0
		.amdhsa_user_sgpr_queue_ptr 0
		.amdhsa_user_sgpr_kernarg_segment_ptr 1
		.amdhsa_user_sgpr_dispatch_id 0
		.amdhsa_user_sgpr_kernarg_preload_length 0
		.amdhsa_user_sgpr_kernarg_preload_offset 0
		.amdhsa_user_sgpr_private_segment_size 0
		.amdhsa_uses_dynamic_stack 0
		.amdhsa_enable_private_segment 1
		.amdhsa_system_sgpr_workgroup_id_x 1
		.amdhsa_system_sgpr_workgroup_id_y 0
		.amdhsa_system_sgpr_workgroup_id_z 0
		.amdhsa_system_sgpr_workgroup_info 0
		.amdhsa_system_vgpr_workitem_id 0
		.amdhsa_next_free_vgpr 38
		.amdhsa_next_free_sgpr 34
		.amdhsa_accum_offset 40
		.amdhsa_reserve_vcc 1
		.amdhsa_float_round_mode_32 0
		.amdhsa_float_round_mode_16_64 0
		.amdhsa_float_denorm_mode_32 3
		.amdhsa_float_denorm_mode_16_64 3
		.amdhsa_dx10_clamp 1
		.amdhsa_ieee_mode 1
		.amdhsa_fp16_overflow 0
		.amdhsa_tg_split 0
		.amdhsa_exception_fp_ieee_invalid_op 0
		.amdhsa_exception_fp_denorm_src 0
		.amdhsa_exception_fp_ieee_div_zero 0
		.amdhsa_exception_fp_ieee_overflow 0
		.amdhsa_exception_fp_ieee_underflow 0
		.amdhsa_exception_fp_ieee_inexact 0
		.amdhsa_exception_int_div_zero 0
	.end_amdhsa_kernel
	.section	.text._ZL9mul_mat_fIfLi32ELi13ELi5ELb1EEvPKT_PKfPKiPfiiiiiiiiiiiiiiii,"axG",@progbits,_ZL9mul_mat_fIfLi32ELi13ELi5ELb1EEvPKT_PKfPKiPfiiiiiiiiiiiiiiii,comdat
.Lfunc_end16:
	.size	_ZL9mul_mat_fIfLi32ELi13ELi5ELb1EEvPKT_PKfPKiPfiiiiiiiiiiiiiiii, .Lfunc_end16-_ZL9mul_mat_fIfLi32ELi13ELi5ELb1EEvPKT_PKfPKiPfiiiiiiiiiiiiiiii
                                        ; -- End function
	.set _ZL9mul_mat_fIfLi32ELi13ELi5ELb1EEvPKT_PKfPKiPfiiiiiiiiiiiiiiii.num_vgpr, max(3, .L_ZL14no_device_codePKciS0_iS0_.num_vgpr)
	.set _ZL9mul_mat_fIfLi32ELi13ELi5ELb1EEvPKT_PKfPKiPfiiiiiiiiiiiiiiii.num_agpr, max(0, .L_ZL14no_device_codePKciS0_iS0_.num_agpr)
	.set _ZL9mul_mat_fIfLi32ELi13ELi5ELb1EEvPKT_PKfPKiPfiiiiiiiiiiiiiiii.numbered_sgpr, max(33, .L_ZL14no_device_codePKciS0_iS0_.numbered_sgpr)
	.set _ZL9mul_mat_fIfLi32ELi13ELi5ELb1EEvPKT_PKfPKiPfiiiiiiiiiiiiiiii.num_named_barrier, max(0, .L_ZL14no_device_codePKciS0_iS0_.num_named_barrier)
	.set _ZL9mul_mat_fIfLi32ELi13ELi5ELb1EEvPKT_PKfPKiPfiiiiiiiiiiiiiiii.private_seg_size, 0+max(.L_ZL14no_device_codePKciS0_iS0_.private_seg_size)
	.set _ZL9mul_mat_fIfLi32ELi13ELi5ELb1EEvPKT_PKfPKiPfiiiiiiiiiiiiiiii.uses_vcc, or(1, .L_ZL14no_device_codePKciS0_iS0_.uses_vcc)
	.set _ZL9mul_mat_fIfLi32ELi13ELi5ELb1EEvPKT_PKfPKiPfiiiiiiiiiiiiiiii.uses_flat_scratch, or(0, .L_ZL14no_device_codePKciS0_iS0_.uses_flat_scratch)
	.set _ZL9mul_mat_fIfLi32ELi13ELi5ELb1EEvPKT_PKfPKiPfiiiiiiiiiiiiiiii.has_dyn_sized_stack, or(0, .L_ZL14no_device_codePKciS0_iS0_.has_dyn_sized_stack)
	.set _ZL9mul_mat_fIfLi32ELi13ELi5ELb1EEvPKT_PKfPKiPfiiiiiiiiiiiiiiii.has_recursion, or(0, .L_ZL14no_device_codePKciS0_iS0_.has_recursion)
	.set _ZL9mul_mat_fIfLi32ELi13ELi5ELb1EEvPKT_PKfPKiPfiiiiiiiiiiiiiiii.has_indirect_call, or(0, .L_ZL14no_device_codePKciS0_iS0_.has_indirect_call)
	.section	.AMDGPU.csdata,"",@progbits
; Kernel info:
; codeLenInByte = 72
; TotalNumSgprs: 40
; NumVgprs: 38
; NumAgprs: 0
; TotalNumVgprs: 38
; ScratchSize: 16
; MemoryBound: 0
; FloatMode: 240
; IeeeMode: 1
; LDSByteSize: 0 bytes/workgroup (compile time only)
; SGPRBlocks: 4
; VGPRBlocks: 4
; NumSGPRsForWavesPerEU: 40
; NumVGPRsForWavesPerEU: 38
; AccumOffset: 40
; Occupancy: 8
; WaveLimiterHint : 1
; COMPUTE_PGM_RSRC2:SCRATCH_EN: 1
; COMPUTE_PGM_RSRC2:USER_SGPR: 2
; COMPUTE_PGM_RSRC2:TRAP_HANDLER: 0
; COMPUTE_PGM_RSRC2:TGID_X_EN: 1
; COMPUTE_PGM_RSRC2:TGID_Y_EN: 0
; COMPUTE_PGM_RSRC2:TGID_Z_EN: 0
; COMPUTE_PGM_RSRC2:TIDIG_COMP_CNT: 0
; COMPUTE_PGM_RSRC3_GFX90A:ACCUM_OFFSET: 9
; COMPUTE_PGM_RSRC3_GFX90A:TG_SPLIT: 0
	.section	.text._ZL9mul_mat_fIfLi32ELi13ELi5ELb0EEvPKT_PKfPKiPfiiiiiiiiiiiiiiii,"axG",@progbits,_ZL9mul_mat_fIfLi32ELi13ELi5ELb0EEvPKT_PKfPKiPfiiiiiiiiiiiiiiii,comdat
	.globl	_ZL9mul_mat_fIfLi32ELi13ELi5ELb0EEvPKT_PKfPKiPfiiiiiiiiiiiiiiii ; -- Begin function _ZL9mul_mat_fIfLi32ELi13ELi5ELb0EEvPKT_PKfPKiPfiiiiiiiiiiiiiiii
	.p2align	8
	.type	_ZL9mul_mat_fIfLi32ELi13ELi5ELb0EEvPKT_PKfPKiPfiiiiiiiiiiiiiiii,@function
_ZL9mul_mat_fIfLi32ELi13ELi5ELb0EEvPKT_PKfPKiPfiiiiiiiiiiiiiiii: ; @_ZL9mul_mat_fIfLi32ELi13ELi5ELb0EEvPKT_PKfPKiPfiiiiiiiiiiiiiiii
; %bb.0:
	s_add_u32 s8, s0, 0x60
	s_addc_u32 s9, s1, 0
	s_getpc_b64 s[0:1]
	s_add_u32 s0, s0, __FUNCTION__._ZL9mul_mat_fIfLi32ELi13ELi1ELb1EEvPKT_PKfPKiPfiiiiiiiiiiiiiiii@rel32@lo+4
	s_addc_u32 s1, s1, __FUNCTION__._ZL9mul_mat_fIfLi32ELi13ELi1ELb1EEvPKT_PKfPKiPfiiiiiiiiiiiiiiii@rel32@hi+12
	s_getpc_b64 s[2:3]
	s_add_u32 s2, s2, _ZL14no_device_codePKciS0_iS0_@rel32@lo+4
	s_addc_u32 s3, s3, _ZL14no_device_codePKciS0_iS0_@rel32@hi+12
	v_mov_b32_e32 v0, 64
	v_mov_b32_e32 v1, s0
	;; [unrolled: 1-line block ×3, first 2 shown]
	s_mov_b32 s32, 0
	s_swappc_b64 s[30:31], s[2:3]
	.section	.rodata,"a",@progbits
	.p2align	6, 0x0
	.amdhsa_kernel _ZL9mul_mat_fIfLi32ELi13ELi5ELb0EEvPKT_PKfPKiPfiiiiiiiiiiiiiiii
		.amdhsa_group_segment_fixed_size 0
		.amdhsa_private_segment_fixed_size 16
		.amdhsa_kernarg_size 352
		.amdhsa_user_sgpr_count 2
		.amdhsa_user_sgpr_dispatch_ptr 0
		.amdhsa_user_sgpr_queue_ptr 0
		.amdhsa_user_sgpr_kernarg_segment_ptr 1
		.amdhsa_user_sgpr_dispatch_id 0
		.amdhsa_user_sgpr_kernarg_preload_length 0
		.amdhsa_user_sgpr_kernarg_preload_offset 0
		.amdhsa_user_sgpr_private_segment_size 0
		.amdhsa_uses_dynamic_stack 0
		.amdhsa_enable_private_segment 1
		.amdhsa_system_sgpr_workgroup_id_x 1
		.amdhsa_system_sgpr_workgroup_id_y 0
		.amdhsa_system_sgpr_workgroup_id_z 0
		.amdhsa_system_sgpr_workgroup_info 0
		.amdhsa_system_vgpr_workitem_id 0
		.amdhsa_next_free_vgpr 38
		.amdhsa_next_free_sgpr 34
		.amdhsa_accum_offset 40
		.amdhsa_reserve_vcc 1
		.amdhsa_float_round_mode_32 0
		.amdhsa_float_round_mode_16_64 0
		.amdhsa_float_denorm_mode_32 3
		.amdhsa_float_denorm_mode_16_64 3
		.amdhsa_dx10_clamp 1
		.amdhsa_ieee_mode 1
		.amdhsa_fp16_overflow 0
		.amdhsa_tg_split 0
		.amdhsa_exception_fp_ieee_invalid_op 0
		.amdhsa_exception_fp_denorm_src 0
		.amdhsa_exception_fp_ieee_div_zero 0
		.amdhsa_exception_fp_ieee_overflow 0
		.amdhsa_exception_fp_ieee_underflow 0
		.amdhsa_exception_fp_ieee_inexact 0
		.amdhsa_exception_int_div_zero 0
	.end_amdhsa_kernel
	.section	.text._ZL9mul_mat_fIfLi32ELi13ELi5ELb0EEvPKT_PKfPKiPfiiiiiiiiiiiiiiii,"axG",@progbits,_ZL9mul_mat_fIfLi32ELi13ELi5ELb0EEvPKT_PKfPKiPfiiiiiiiiiiiiiiii,comdat
.Lfunc_end17:
	.size	_ZL9mul_mat_fIfLi32ELi13ELi5ELb0EEvPKT_PKfPKiPfiiiiiiiiiiiiiiii, .Lfunc_end17-_ZL9mul_mat_fIfLi32ELi13ELi5ELb0EEvPKT_PKfPKiPfiiiiiiiiiiiiiiii
                                        ; -- End function
	.set _ZL9mul_mat_fIfLi32ELi13ELi5ELb0EEvPKT_PKfPKiPfiiiiiiiiiiiiiiii.num_vgpr, max(3, .L_ZL14no_device_codePKciS0_iS0_.num_vgpr)
	.set _ZL9mul_mat_fIfLi32ELi13ELi5ELb0EEvPKT_PKfPKiPfiiiiiiiiiiiiiiii.num_agpr, max(0, .L_ZL14no_device_codePKciS0_iS0_.num_agpr)
	.set _ZL9mul_mat_fIfLi32ELi13ELi5ELb0EEvPKT_PKfPKiPfiiiiiiiiiiiiiiii.numbered_sgpr, max(33, .L_ZL14no_device_codePKciS0_iS0_.numbered_sgpr)
	.set _ZL9mul_mat_fIfLi32ELi13ELi5ELb0EEvPKT_PKfPKiPfiiiiiiiiiiiiiiii.num_named_barrier, max(0, .L_ZL14no_device_codePKciS0_iS0_.num_named_barrier)
	.set _ZL9mul_mat_fIfLi32ELi13ELi5ELb0EEvPKT_PKfPKiPfiiiiiiiiiiiiiiii.private_seg_size, 0+max(.L_ZL14no_device_codePKciS0_iS0_.private_seg_size)
	.set _ZL9mul_mat_fIfLi32ELi13ELi5ELb0EEvPKT_PKfPKiPfiiiiiiiiiiiiiiii.uses_vcc, or(1, .L_ZL14no_device_codePKciS0_iS0_.uses_vcc)
	.set _ZL9mul_mat_fIfLi32ELi13ELi5ELb0EEvPKT_PKfPKiPfiiiiiiiiiiiiiiii.uses_flat_scratch, or(0, .L_ZL14no_device_codePKciS0_iS0_.uses_flat_scratch)
	.set _ZL9mul_mat_fIfLi32ELi13ELi5ELb0EEvPKT_PKfPKiPfiiiiiiiiiiiiiiii.has_dyn_sized_stack, or(0, .L_ZL14no_device_codePKciS0_iS0_.has_dyn_sized_stack)
	.set _ZL9mul_mat_fIfLi32ELi13ELi5ELb0EEvPKT_PKfPKiPfiiiiiiiiiiiiiiii.has_recursion, or(0, .L_ZL14no_device_codePKciS0_iS0_.has_recursion)
	.set _ZL9mul_mat_fIfLi32ELi13ELi5ELb0EEvPKT_PKfPKiPfiiiiiiiiiiiiiiii.has_indirect_call, or(0, .L_ZL14no_device_codePKciS0_iS0_.has_indirect_call)
	.section	.AMDGPU.csdata,"",@progbits
; Kernel info:
; codeLenInByte = 72
; TotalNumSgprs: 40
; NumVgprs: 38
; NumAgprs: 0
; TotalNumVgprs: 38
; ScratchSize: 16
; MemoryBound: 0
; FloatMode: 240
; IeeeMode: 1
; LDSByteSize: 0 bytes/workgroup (compile time only)
; SGPRBlocks: 4
; VGPRBlocks: 4
; NumSGPRsForWavesPerEU: 40
; NumVGPRsForWavesPerEU: 38
; AccumOffset: 40
; Occupancy: 8
; WaveLimiterHint : 1
; COMPUTE_PGM_RSRC2:SCRATCH_EN: 1
; COMPUTE_PGM_RSRC2:USER_SGPR: 2
; COMPUTE_PGM_RSRC2:TRAP_HANDLER: 0
; COMPUTE_PGM_RSRC2:TGID_X_EN: 1
; COMPUTE_PGM_RSRC2:TGID_Y_EN: 0
; COMPUTE_PGM_RSRC2:TGID_Z_EN: 0
; COMPUTE_PGM_RSRC2:TIDIG_COMP_CNT: 0
; COMPUTE_PGM_RSRC3_GFX90A:ACCUM_OFFSET: 9
; COMPUTE_PGM_RSRC3_GFX90A:TG_SPLIT: 0
	.section	.text._ZL13mul_mat_f_idsIfLi32ELi13ELi6EEvPKT_PKfPKiS6_S6_Pfiiiiiiiiiiiiii15HIP_vector_typeIjLj3EES9_,"axG",@progbits,_ZL13mul_mat_f_idsIfLi32ELi13ELi6EEvPKT_PKfPKiS6_S6_Pfiiiiiiiiiiiiii15HIP_vector_typeIjLj3EES9_,comdat
	.globl	_ZL13mul_mat_f_idsIfLi32ELi13ELi6EEvPKT_PKfPKiS6_S6_Pfiiiiiiiiiiiiii15HIP_vector_typeIjLj3EES9_ ; -- Begin function _ZL13mul_mat_f_idsIfLi32ELi13ELi6EEvPKT_PKfPKiS6_S6_Pfiiiiiiiiiiiiii15HIP_vector_typeIjLj3EES9_
	.p2align	8
	.type	_ZL13mul_mat_f_idsIfLi32ELi13ELi6EEvPKT_PKfPKiS6_S6_Pfiiiiiiiiiiiiii15HIP_vector_typeIjLj3EES9_,@function
_ZL13mul_mat_f_idsIfLi32ELi13ELi6EEvPKT_PKfPKiS6_S6_Pfiiiiiiiiiiiiii15HIP_vector_typeIjLj3EES9_: ; @_ZL13mul_mat_f_idsIfLi32ELi13ELi6EEvPKT_PKfPKiS6_S6_Pfiiiiiiiiiiiiii15HIP_vector_typeIjLj3EES9_
; %bb.0:
	s_add_u32 s8, s0, 0x80
	s_addc_u32 s9, s1, 0
	s_getpc_b64 s[0:1]
	s_add_u32 s0, s0, __FUNCTION__._ZL13mul_mat_f_idsIfLi32ELi13ELi1EEvPKT_PKfPKiS6_S6_Pfiiiiiiiiiiiiii15HIP_vector_typeIjLj3EES9_@rel32@lo+4
	s_addc_u32 s1, s1, __FUNCTION__._ZL13mul_mat_f_idsIfLi32ELi13ELi1EEvPKT_PKfPKiS6_S6_Pfiiiiiiiiiiiiii15HIP_vector_typeIjLj3EES9_@rel32@hi+12
	s_getpc_b64 s[2:3]
	s_add_u32 s2, s2, _ZL14no_device_codePKciS0_iS0_@rel32@lo+4
	s_addc_u32 s3, s3, _ZL14no_device_codePKciS0_iS0_@rel32@hi+12
	v_mov_b32_e32 v0, 0x13b
	v_mov_b32_e32 v1, s0
	;; [unrolled: 1-line block ×3, first 2 shown]
	s_mov_b32 s32, 0
	s_swappc_b64 s[30:31], s[2:3]
	.section	.rodata,"a",@progbits
	.p2align	6, 0x0
	.amdhsa_kernel _ZL13mul_mat_f_idsIfLi32ELi13ELi6EEvPKT_PKfPKiS6_S6_Pfiiiiiiiiiiiiii15HIP_vector_typeIjLj3EES9_
		.amdhsa_group_segment_fixed_size 0
		.amdhsa_private_segment_fixed_size 16
		.amdhsa_kernarg_size 384
		.amdhsa_user_sgpr_count 2
		.amdhsa_user_sgpr_dispatch_ptr 0
		.amdhsa_user_sgpr_queue_ptr 0
		.amdhsa_user_sgpr_kernarg_segment_ptr 1
		.amdhsa_user_sgpr_dispatch_id 0
		.amdhsa_user_sgpr_kernarg_preload_length 0
		.amdhsa_user_sgpr_kernarg_preload_offset 0
		.amdhsa_user_sgpr_private_segment_size 0
		.amdhsa_uses_dynamic_stack 0
		.amdhsa_enable_private_segment 1
		.amdhsa_system_sgpr_workgroup_id_x 1
		.amdhsa_system_sgpr_workgroup_id_y 0
		.amdhsa_system_sgpr_workgroup_id_z 0
		.amdhsa_system_sgpr_workgroup_info 0
		.amdhsa_system_vgpr_workitem_id 0
		.amdhsa_next_free_vgpr 38
		.amdhsa_next_free_sgpr 34
		.amdhsa_accum_offset 40
		.amdhsa_reserve_vcc 1
		.amdhsa_float_round_mode_32 0
		.amdhsa_float_round_mode_16_64 0
		.amdhsa_float_denorm_mode_32 3
		.amdhsa_float_denorm_mode_16_64 3
		.amdhsa_dx10_clamp 1
		.amdhsa_ieee_mode 1
		.amdhsa_fp16_overflow 0
		.amdhsa_tg_split 0
		.amdhsa_exception_fp_ieee_invalid_op 0
		.amdhsa_exception_fp_denorm_src 0
		.amdhsa_exception_fp_ieee_div_zero 0
		.amdhsa_exception_fp_ieee_overflow 0
		.amdhsa_exception_fp_ieee_underflow 0
		.amdhsa_exception_fp_ieee_inexact 0
		.amdhsa_exception_int_div_zero 0
	.end_amdhsa_kernel
	.section	.text._ZL13mul_mat_f_idsIfLi32ELi13ELi6EEvPKT_PKfPKiS6_S6_Pfiiiiiiiiiiiiii15HIP_vector_typeIjLj3EES9_,"axG",@progbits,_ZL13mul_mat_f_idsIfLi32ELi13ELi6EEvPKT_PKfPKiS6_S6_Pfiiiiiiiiiiiiii15HIP_vector_typeIjLj3EES9_,comdat
.Lfunc_end18:
	.size	_ZL13mul_mat_f_idsIfLi32ELi13ELi6EEvPKT_PKfPKiS6_S6_Pfiiiiiiiiiiiiii15HIP_vector_typeIjLj3EES9_, .Lfunc_end18-_ZL13mul_mat_f_idsIfLi32ELi13ELi6EEvPKT_PKfPKiS6_S6_Pfiiiiiiiiiiiiii15HIP_vector_typeIjLj3EES9_
                                        ; -- End function
	.set _ZL13mul_mat_f_idsIfLi32ELi13ELi6EEvPKT_PKfPKiS6_S6_Pfiiiiiiiiiiiiii15HIP_vector_typeIjLj3EES9_.num_vgpr, max(3, .L_ZL14no_device_codePKciS0_iS0_.num_vgpr)
	.set _ZL13mul_mat_f_idsIfLi32ELi13ELi6EEvPKT_PKfPKiS6_S6_Pfiiiiiiiiiiiiii15HIP_vector_typeIjLj3EES9_.num_agpr, max(0, .L_ZL14no_device_codePKciS0_iS0_.num_agpr)
	.set _ZL13mul_mat_f_idsIfLi32ELi13ELi6EEvPKT_PKfPKiS6_S6_Pfiiiiiiiiiiiiii15HIP_vector_typeIjLj3EES9_.numbered_sgpr, max(33, .L_ZL14no_device_codePKciS0_iS0_.numbered_sgpr)
	.set _ZL13mul_mat_f_idsIfLi32ELi13ELi6EEvPKT_PKfPKiS6_S6_Pfiiiiiiiiiiiiii15HIP_vector_typeIjLj3EES9_.num_named_barrier, max(0, .L_ZL14no_device_codePKciS0_iS0_.num_named_barrier)
	.set _ZL13mul_mat_f_idsIfLi32ELi13ELi6EEvPKT_PKfPKiS6_S6_Pfiiiiiiiiiiiiii15HIP_vector_typeIjLj3EES9_.private_seg_size, 0+max(.L_ZL14no_device_codePKciS0_iS0_.private_seg_size)
	.set _ZL13mul_mat_f_idsIfLi32ELi13ELi6EEvPKT_PKfPKiS6_S6_Pfiiiiiiiiiiiiii15HIP_vector_typeIjLj3EES9_.uses_vcc, or(1, .L_ZL14no_device_codePKciS0_iS0_.uses_vcc)
	.set _ZL13mul_mat_f_idsIfLi32ELi13ELi6EEvPKT_PKfPKiS6_S6_Pfiiiiiiiiiiiiii15HIP_vector_typeIjLj3EES9_.uses_flat_scratch, or(0, .L_ZL14no_device_codePKciS0_iS0_.uses_flat_scratch)
	.set _ZL13mul_mat_f_idsIfLi32ELi13ELi6EEvPKT_PKfPKiS6_S6_Pfiiiiiiiiiiiiii15HIP_vector_typeIjLj3EES9_.has_dyn_sized_stack, or(0, .L_ZL14no_device_codePKciS0_iS0_.has_dyn_sized_stack)
	.set _ZL13mul_mat_f_idsIfLi32ELi13ELi6EEvPKT_PKfPKiS6_S6_Pfiiiiiiiiiiiiii15HIP_vector_typeIjLj3EES9_.has_recursion, or(0, .L_ZL14no_device_codePKciS0_iS0_.has_recursion)
	.set _ZL13mul_mat_f_idsIfLi32ELi13ELi6EEvPKT_PKfPKiS6_S6_Pfiiiiiiiiiiiiii15HIP_vector_typeIjLj3EES9_.has_indirect_call, or(0, .L_ZL14no_device_codePKciS0_iS0_.has_indirect_call)
	.section	.AMDGPU.csdata,"",@progbits
; Kernel info:
; codeLenInByte = 76
; TotalNumSgprs: 40
; NumVgprs: 38
; NumAgprs: 0
; TotalNumVgprs: 38
; ScratchSize: 16
; MemoryBound: 0
; FloatMode: 240
; IeeeMode: 1
; LDSByteSize: 0 bytes/workgroup (compile time only)
; SGPRBlocks: 4
; VGPRBlocks: 4
; NumSGPRsForWavesPerEU: 40
; NumVGPRsForWavesPerEU: 38
; AccumOffset: 40
; Occupancy: 8
; WaveLimiterHint : 1
; COMPUTE_PGM_RSRC2:SCRATCH_EN: 1
; COMPUTE_PGM_RSRC2:USER_SGPR: 2
; COMPUTE_PGM_RSRC2:TRAP_HANDLER: 0
; COMPUTE_PGM_RSRC2:TGID_X_EN: 1
; COMPUTE_PGM_RSRC2:TGID_Y_EN: 0
; COMPUTE_PGM_RSRC2:TGID_Z_EN: 0
; COMPUTE_PGM_RSRC2:TIDIG_COMP_CNT: 0
; COMPUTE_PGM_RSRC3_GFX90A:ACCUM_OFFSET: 9
; COMPUTE_PGM_RSRC3_GFX90A:TG_SPLIT: 0
	.section	.text._ZL9mul_mat_fIfLi32ELi13ELi6ELb1EEvPKT_PKfPKiPfiiiiiiiiiiiiiiii,"axG",@progbits,_ZL9mul_mat_fIfLi32ELi13ELi6ELb1EEvPKT_PKfPKiPfiiiiiiiiiiiiiiii,comdat
	.globl	_ZL9mul_mat_fIfLi32ELi13ELi6ELb1EEvPKT_PKfPKiPfiiiiiiiiiiiiiiii ; -- Begin function _ZL9mul_mat_fIfLi32ELi13ELi6ELb1EEvPKT_PKfPKiPfiiiiiiiiiiiiiiii
	.p2align	8
	.type	_ZL9mul_mat_fIfLi32ELi13ELi6ELb1EEvPKT_PKfPKiPfiiiiiiiiiiiiiiii,@function
_ZL9mul_mat_fIfLi32ELi13ELi6ELb1EEvPKT_PKfPKiPfiiiiiiiiiiiiiiii: ; @_ZL9mul_mat_fIfLi32ELi13ELi6ELb1EEvPKT_PKfPKiPfiiiiiiiiiiiiiiii
; %bb.0:
	s_add_u32 s8, s0, 0x60
	s_addc_u32 s9, s1, 0
	s_getpc_b64 s[0:1]
	s_add_u32 s0, s0, __FUNCTION__._ZL9mul_mat_fIfLi32ELi13ELi1ELb1EEvPKT_PKfPKiPfiiiiiiiiiiiiiiii@rel32@lo+4
	s_addc_u32 s1, s1, __FUNCTION__._ZL9mul_mat_fIfLi32ELi13ELi1ELb1EEvPKT_PKfPKiPfiiiiiiiiiiiiiiii@rel32@hi+12
	s_getpc_b64 s[2:3]
	s_add_u32 s2, s2, _ZL14no_device_codePKciS0_iS0_@rel32@lo+4
	s_addc_u32 s3, s3, _ZL14no_device_codePKciS0_iS0_@rel32@hi+12
	v_mov_b32_e32 v0, 64
	v_mov_b32_e32 v1, s0
	;; [unrolled: 1-line block ×3, first 2 shown]
	s_mov_b32 s32, 0
	s_swappc_b64 s[30:31], s[2:3]
	.section	.rodata,"a",@progbits
	.p2align	6, 0x0
	.amdhsa_kernel _ZL9mul_mat_fIfLi32ELi13ELi6ELb1EEvPKT_PKfPKiPfiiiiiiiiiiiiiiii
		.amdhsa_group_segment_fixed_size 0
		.amdhsa_private_segment_fixed_size 16
		.amdhsa_kernarg_size 352
		.amdhsa_user_sgpr_count 2
		.amdhsa_user_sgpr_dispatch_ptr 0
		.amdhsa_user_sgpr_queue_ptr 0
		.amdhsa_user_sgpr_kernarg_segment_ptr 1
		.amdhsa_user_sgpr_dispatch_id 0
		.amdhsa_user_sgpr_kernarg_preload_length 0
		.amdhsa_user_sgpr_kernarg_preload_offset 0
		.amdhsa_user_sgpr_private_segment_size 0
		.amdhsa_uses_dynamic_stack 0
		.amdhsa_enable_private_segment 1
		.amdhsa_system_sgpr_workgroup_id_x 1
		.amdhsa_system_sgpr_workgroup_id_y 0
		.amdhsa_system_sgpr_workgroup_id_z 0
		.amdhsa_system_sgpr_workgroup_info 0
		.amdhsa_system_vgpr_workitem_id 0
		.amdhsa_next_free_vgpr 38
		.amdhsa_next_free_sgpr 34
		.amdhsa_accum_offset 40
		.amdhsa_reserve_vcc 1
		.amdhsa_float_round_mode_32 0
		.amdhsa_float_round_mode_16_64 0
		.amdhsa_float_denorm_mode_32 3
		.amdhsa_float_denorm_mode_16_64 3
		.amdhsa_dx10_clamp 1
		.amdhsa_ieee_mode 1
		.amdhsa_fp16_overflow 0
		.amdhsa_tg_split 0
		.amdhsa_exception_fp_ieee_invalid_op 0
		.amdhsa_exception_fp_denorm_src 0
		.amdhsa_exception_fp_ieee_div_zero 0
		.amdhsa_exception_fp_ieee_overflow 0
		.amdhsa_exception_fp_ieee_underflow 0
		.amdhsa_exception_fp_ieee_inexact 0
		.amdhsa_exception_int_div_zero 0
	.end_amdhsa_kernel
	.section	.text._ZL9mul_mat_fIfLi32ELi13ELi6ELb1EEvPKT_PKfPKiPfiiiiiiiiiiiiiiii,"axG",@progbits,_ZL9mul_mat_fIfLi32ELi13ELi6ELb1EEvPKT_PKfPKiPfiiiiiiiiiiiiiiii,comdat
.Lfunc_end19:
	.size	_ZL9mul_mat_fIfLi32ELi13ELi6ELb1EEvPKT_PKfPKiPfiiiiiiiiiiiiiiii, .Lfunc_end19-_ZL9mul_mat_fIfLi32ELi13ELi6ELb1EEvPKT_PKfPKiPfiiiiiiiiiiiiiiii
                                        ; -- End function
	.set _ZL9mul_mat_fIfLi32ELi13ELi6ELb1EEvPKT_PKfPKiPfiiiiiiiiiiiiiiii.num_vgpr, max(3, .L_ZL14no_device_codePKciS0_iS0_.num_vgpr)
	.set _ZL9mul_mat_fIfLi32ELi13ELi6ELb1EEvPKT_PKfPKiPfiiiiiiiiiiiiiiii.num_agpr, max(0, .L_ZL14no_device_codePKciS0_iS0_.num_agpr)
	.set _ZL9mul_mat_fIfLi32ELi13ELi6ELb1EEvPKT_PKfPKiPfiiiiiiiiiiiiiiii.numbered_sgpr, max(33, .L_ZL14no_device_codePKciS0_iS0_.numbered_sgpr)
	.set _ZL9mul_mat_fIfLi32ELi13ELi6ELb1EEvPKT_PKfPKiPfiiiiiiiiiiiiiiii.num_named_barrier, max(0, .L_ZL14no_device_codePKciS0_iS0_.num_named_barrier)
	.set _ZL9mul_mat_fIfLi32ELi13ELi6ELb1EEvPKT_PKfPKiPfiiiiiiiiiiiiiiii.private_seg_size, 0+max(.L_ZL14no_device_codePKciS0_iS0_.private_seg_size)
	.set _ZL9mul_mat_fIfLi32ELi13ELi6ELb1EEvPKT_PKfPKiPfiiiiiiiiiiiiiiii.uses_vcc, or(1, .L_ZL14no_device_codePKciS0_iS0_.uses_vcc)
	.set _ZL9mul_mat_fIfLi32ELi13ELi6ELb1EEvPKT_PKfPKiPfiiiiiiiiiiiiiiii.uses_flat_scratch, or(0, .L_ZL14no_device_codePKciS0_iS0_.uses_flat_scratch)
	.set _ZL9mul_mat_fIfLi32ELi13ELi6ELb1EEvPKT_PKfPKiPfiiiiiiiiiiiiiiii.has_dyn_sized_stack, or(0, .L_ZL14no_device_codePKciS0_iS0_.has_dyn_sized_stack)
	.set _ZL9mul_mat_fIfLi32ELi13ELi6ELb1EEvPKT_PKfPKiPfiiiiiiiiiiiiiiii.has_recursion, or(0, .L_ZL14no_device_codePKciS0_iS0_.has_recursion)
	.set _ZL9mul_mat_fIfLi32ELi13ELi6ELb1EEvPKT_PKfPKiPfiiiiiiiiiiiiiiii.has_indirect_call, or(0, .L_ZL14no_device_codePKciS0_iS0_.has_indirect_call)
	.section	.AMDGPU.csdata,"",@progbits
; Kernel info:
; codeLenInByte = 72
; TotalNumSgprs: 40
; NumVgprs: 38
; NumAgprs: 0
; TotalNumVgprs: 38
; ScratchSize: 16
; MemoryBound: 0
; FloatMode: 240
; IeeeMode: 1
; LDSByteSize: 0 bytes/workgroup (compile time only)
; SGPRBlocks: 4
; VGPRBlocks: 4
; NumSGPRsForWavesPerEU: 40
; NumVGPRsForWavesPerEU: 38
; AccumOffset: 40
; Occupancy: 8
; WaveLimiterHint : 1
; COMPUTE_PGM_RSRC2:SCRATCH_EN: 1
; COMPUTE_PGM_RSRC2:USER_SGPR: 2
; COMPUTE_PGM_RSRC2:TRAP_HANDLER: 0
; COMPUTE_PGM_RSRC2:TGID_X_EN: 1
; COMPUTE_PGM_RSRC2:TGID_Y_EN: 0
; COMPUTE_PGM_RSRC2:TGID_Z_EN: 0
; COMPUTE_PGM_RSRC2:TIDIG_COMP_CNT: 0
; COMPUTE_PGM_RSRC3_GFX90A:ACCUM_OFFSET: 9
; COMPUTE_PGM_RSRC3_GFX90A:TG_SPLIT: 0
	.section	.text._ZL9mul_mat_fIfLi32ELi13ELi6ELb0EEvPKT_PKfPKiPfiiiiiiiiiiiiiiii,"axG",@progbits,_ZL9mul_mat_fIfLi32ELi13ELi6ELb0EEvPKT_PKfPKiPfiiiiiiiiiiiiiiii,comdat
	.globl	_ZL9mul_mat_fIfLi32ELi13ELi6ELb0EEvPKT_PKfPKiPfiiiiiiiiiiiiiiii ; -- Begin function _ZL9mul_mat_fIfLi32ELi13ELi6ELb0EEvPKT_PKfPKiPfiiiiiiiiiiiiiiii
	.p2align	8
	.type	_ZL9mul_mat_fIfLi32ELi13ELi6ELb0EEvPKT_PKfPKiPfiiiiiiiiiiiiiiii,@function
_ZL9mul_mat_fIfLi32ELi13ELi6ELb0EEvPKT_PKfPKiPfiiiiiiiiiiiiiiii: ; @_ZL9mul_mat_fIfLi32ELi13ELi6ELb0EEvPKT_PKfPKiPfiiiiiiiiiiiiiiii
; %bb.0:
	s_add_u32 s8, s0, 0x60
	s_addc_u32 s9, s1, 0
	s_getpc_b64 s[0:1]
	s_add_u32 s0, s0, __FUNCTION__._ZL9mul_mat_fIfLi32ELi13ELi1ELb1EEvPKT_PKfPKiPfiiiiiiiiiiiiiiii@rel32@lo+4
	s_addc_u32 s1, s1, __FUNCTION__._ZL9mul_mat_fIfLi32ELi13ELi1ELb1EEvPKT_PKfPKiPfiiiiiiiiiiiiiiii@rel32@hi+12
	s_getpc_b64 s[2:3]
	s_add_u32 s2, s2, _ZL14no_device_codePKciS0_iS0_@rel32@lo+4
	s_addc_u32 s3, s3, _ZL14no_device_codePKciS0_iS0_@rel32@hi+12
	v_mov_b32_e32 v0, 64
	v_mov_b32_e32 v1, s0
	;; [unrolled: 1-line block ×3, first 2 shown]
	s_mov_b32 s32, 0
	s_swappc_b64 s[30:31], s[2:3]
	.section	.rodata,"a",@progbits
	.p2align	6, 0x0
	.amdhsa_kernel _ZL9mul_mat_fIfLi32ELi13ELi6ELb0EEvPKT_PKfPKiPfiiiiiiiiiiiiiiii
		.amdhsa_group_segment_fixed_size 0
		.amdhsa_private_segment_fixed_size 16
		.amdhsa_kernarg_size 352
		.amdhsa_user_sgpr_count 2
		.amdhsa_user_sgpr_dispatch_ptr 0
		.amdhsa_user_sgpr_queue_ptr 0
		.amdhsa_user_sgpr_kernarg_segment_ptr 1
		.amdhsa_user_sgpr_dispatch_id 0
		.amdhsa_user_sgpr_kernarg_preload_length 0
		.amdhsa_user_sgpr_kernarg_preload_offset 0
		.amdhsa_user_sgpr_private_segment_size 0
		.amdhsa_uses_dynamic_stack 0
		.amdhsa_enable_private_segment 1
		.amdhsa_system_sgpr_workgroup_id_x 1
		.amdhsa_system_sgpr_workgroup_id_y 0
		.amdhsa_system_sgpr_workgroup_id_z 0
		.amdhsa_system_sgpr_workgroup_info 0
		.amdhsa_system_vgpr_workitem_id 0
		.amdhsa_next_free_vgpr 38
		.amdhsa_next_free_sgpr 34
		.amdhsa_accum_offset 40
		.amdhsa_reserve_vcc 1
		.amdhsa_float_round_mode_32 0
		.amdhsa_float_round_mode_16_64 0
		.amdhsa_float_denorm_mode_32 3
		.amdhsa_float_denorm_mode_16_64 3
		.amdhsa_dx10_clamp 1
		.amdhsa_ieee_mode 1
		.amdhsa_fp16_overflow 0
		.amdhsa_tg_split 0
		.amdhsa_exception_fp_ieee_invalid_op 0
		.amdhsa_exception_fp_denorm_src 0
		.amdhsa_exception_fp_ieee_div_zero 0
		.amdhsa_exception_fp_ieee_overflow 0
		.amdhsa_exception_fp_ieee_underflow 0
		.amdhsa_exception_fp_ieee_inexact 0
		.amdhsa_exception_int_div_zero 0
	.end_amdhsa_kernel
	.section	.text._ZL9mul_mat_fIfLi32ELi13ELi6ELb0EEvPKT_PKfPKiPfiiiiiiiiiiiiiiii,"axG",@progbits,_ZL9mul_mat_fIfLi32ELi13ELi6ELb0EEvPKT_PKfPKiPfiiiiiiiiiiiiiiii,comdat
.Lfunc_end20:
	.size	_ZL9mul_mat_fIfLi32ELi13ELi6ELb0EEvPKT_PKfPKiPfiiiiiiiiiiiiiiii, .Lfunc_end20-_ZL9mul_mat_fIfLi32ELi13ELi6ELb0EEvPKT_PKfPKiPfiiiiiiiiiiiiiiii
                                        ; -- End function
	.set _ZL9mul_mat_fIfLi32ELi13ELi6ELb0EEvPKT_PKfPKiPfiiiiiiiiiiiiiiii.num_vgpr, max(3, .L_ZL14no_device_codePKciS0_iS0_.num_vgpr)
	.set _ZL9mul_mat_fIfLi32ELi13ELi6ELb0EEvPKT_PKfPKiPfiiiiiiiiiiiiiiii.num_agpr, max(0, .L_ZL14no_device_codePKciS0_iS0_.num_agpr)
	.set _ZL9mul_mat_fIfLi32ELi13ELi6ELb0EEvPKT_PKfPKiPfiiiiiiiiiiiiiiii.numbered_sgpr, max(33, .L_ZL14no_device_codePKciS0_iS0_.numbered_sgpr)
	.set _ZL9mul_mat_fIfLi32ELi13ELi6ELb0EEvPKT_PKfPKiPfiiiiiiiiiiiiiiii.num_named_barrier, max(0, .L_ZL14no_device_codePKciS0_iS0_.num_named_barrier)
	.set _ZL9mul_mat_fIfLi32ELi13ELi6ELb0EEvPKT_PKfPKiPfiiiiiiiiiiiiiiii.private_seg_size, 0+max(.L_ZL14no_device_codePKciS0_iS0_.private_seg_size)
	.set _ZL9mul_mat_fIfLi32ELi13ELi6ELb0EEvPKT_PKfPKiPfiiiiiiiiiiiiiiii.uses_vcc, or(1, .L_ZL14no_device_codePKciS0_iS0_.uses_vcc)
	.set _ZL9mul_mat_fIfLi32ELi13ELi6ELb0EEvPKT_PKfPKiPfiiiiiiiiiiiiiiii.uses_flat_scratch, or(0, .L_ZL14no_device_codePKciS0_iS0_.uses_flat_scratch)
	.set _ZL9mul_mat_fIfLi32ELi13ELi6ELb0EEvPKT_PKfPKiPfiiiiiiiiiiiiiiii.has_dyn_sized_stack, or(0, .L_ZL14no_device_codePKciS0_iS0_.has_dyn_sized_stack)
	.set _ZL9mul_mat_fIfLi32ELi13ELi6ELb0EEvPKT_PKfPKiPfiiiiiiiiiiiiiiii.has_recursion, or(0, .L_ZL14no_device_codePKciS0_iS0_.has_recursion)
	.set _ZL9mul_mat_fIfLi32ELi13ELi6ELb0EEvPKT_PKfPKiPfiiiiiiiiiiiiiiii.has_indirect_call, or(0, .L_ZL14no_device_codePKciS0_iS0_.has_indirect_call)
	.section	.AMDGPU.csdata,"",@progbits
; Kernel info:
; codeLenInByte = 72
; TotalNumSgprs: 40
; NumVgprs: 38
; NumAgprs: 0
; TotalNumVgprs: 38
; ScratchSize: 16
; MemoryBound: 0
; FloatMode: 240
; IeeeMode: 1
; LDSByteSize: 0 bytes/workgroup (compile time only)
; SGPRBlocks: 4
; VGPRBlocks: 4
; NumSGPRsForWavesPerEU: 40
; NumVGPRsForWavesPerEU: 38
; AccumOffset: 40
; Occupancy: 8
; WaveLimiterHint : 1
; COMPUTE_PGM_RSRC2:SCRATCH_EN: 1
; COMPUTE_PGM_RSRC2:USER_SGPR: 2
; COMPUTE_PGM_RSRC2:TRAP_HANDLER: 0
; COMPUTE_PGM_RSRC2:TGID_X_EN: 1
; COMPUTE_PGM_RSRC2:TGID_Y_EN: 0
; COMPUTE_PGM_RSRC2:TGID_Z_EN: 0
; COMPUTE_PGM_RSRC2:TIDIG_COMP_CNT: 0
; COMPUTE_PGM_RSRC3_GFX90A:ACCUM_OFFSET: 9
; COMPUTE_PGM_RSRC3_GFX90A:TG_SPLIT: 0
	.section	.text._ZL13mul_mat_f_idsIfLi32ELi13ELi7EEvPKT_PKfPKiS6_S6_Pfiiiiiiiiiiiiii15HIP_vector_typeIjLj3EES9_,"axG",@progbits,_ZL13mul_mat_f_idsIfLi32ELi13ELi7EEvPKT_PKfPKiS6_S6_Pfiiiiiiiiiiiiii15HIP_vector_typeIjLj3EES9_,comdat
	.globl	_ZL13mul_mat_f_idsIfLi32ELi13ELi7EEvPKT_PKfPKiS6_S6_Pfiiiiiiiiiiiiii15HIP_vector_typeIjLj3EES9_ ; -- Begin function _ZL13mul_mat_f_idsIfLi32ELi13ELi7EEvPKT_PKfPKiS6_S6_Pfiiiiiiiiiiiiii15HIP_vector_typeIjLj3EES9_
	.p2align	8
	.type	_ZL13mul_mat_f_idsIfLi32ELi13ELi7EEvPKT_PKfPKiS6_S6_Pfiiiiiiiiiiiiii15HIP_vector_typeIjLj3EES9_,@function
_ZL13mul_mat_f_idsIfLi32ELi13ELi7EEvPKT_PKfPKiS6_S6_Pfiiiiiiiiiiiiii15HIP_vector_typeIjLj3EES9_: ; @_ZL13mul_mat_f_idsIfLi32ELi13ELi7EEvPKT_PKfPKiS6_S6_Pfiiiiiiiiiiiiii15HIP_vector_typeIjLj3EES9_
; %bb.0:
	s_add_u32 s8, s0, 0x80
	s_addc_u32 s9, s1, 0
	s_getpc_b64 s[0:1]
	s_add_u32 s0, s0, __FUNCTION__._ZL13mul_mat_f_idsIfLi32ELi13ELi1EEvPKT_PKfPKiS6_S6_Pfiiiiiiiiiiiiii15HIP_vector_typeIjLj3EES9_@rel32@lo+4
	s_addc_u32 s1, s1, __FUNCTION__._ZL13mul_mat_f_idsIfLi32ELi13ELi1EEvPKT_PKfPKiS6_S6_Pfiiiiiiiiiiiiii15HIP_vector_typeIjLj3EES9_@rel32@hi+12
	s_getpc_b64 s[2:3]
	s_add_u32 s2, s2, _ZL14no_device_codePKciS0_iS0_@rel32@lo+4
	s_addc_u32 s3, s3, _ZL14no_device_codePKciS0_iS0_@rel32@hi+12
	v_mov_b32_e32 v0, 0x13b
	v_mov_b32_e32 v1, s0
	;; [unrolled: 1-line block ×3, first 2 shown]
	s_mov_b32 s32, 0
	s_swappc_b64 s[30:31], s[2:3]
	.section	.rodata,"a",@progbits
	.p2align	6, 0x0
	.amdhsa_kernel _ZL13mul_mat_f_idsIfLi32ELi13ELi7EEvPKT_PKfPKiS6_S6_Pfiiiiiiiiiiiiii15HIP_vector_typeIjLj3EES9_
		.amdhsa_group_segment_fixed_size 0
		.amdhsa_private_segment_fixed_size 16
		.amdhsa_kernarg_size 384
		.amdhsa_user_sgpr_count 2
		.amdhsa_user_sgpr_dispatch_ptr 0
		.amdhsa_user_sgpr_queue_ptr 0
		.amdhsa_user_sgpr_kernarg_segment_ptr 1
		.amdhsa_user_sgpr_dispatch_id 0
		.amdhsa_user_sgpr_kernarg_preload_length 0
		.amdhsa_user_sgpr_kernarg_preload_offset 0
		.amdhsa_user_sgpr_private_segment_size 0
		.amdhsa_uses_dynamic_stack 0
		.amdhsa_enable_private_segment 1
		.amdhsa_system_sgpr_workgroup_id_x 1
		.amdhsa_system_sgpr_workgroup_id_y 0
		.amdhsa_system_sgpr_workgroup_id_z 0
		.amdhsa_system_sgpr_workgroup_info 0
		.amdhsa_system_vgpr_workitem_id 0
		.amdhsa_next_free_vgpr 38
		.amdhsa_next_free_sgpr 34
		.amdhsa_accum_offset 40
		.amdhsa_reserve_vcc 1
		.amdhsa_float_round_mode_32 0
		.amdhsa_float_round_mode_16_64 0
		.amdhsa_float_denorm_mode_32 3
		.amdhsa_float_denorm_mode_16_64 3
		.amdhsa_dx10_clamp 1
		.amdhsa_ieee_mode 1
		.amdhsa_fp16_overflow 0
		.amdhsa_tg_split 0
		.amdhsa_exception_fp_ieee_invalid_op 0
		.amdhsa_exception_fp_denorm_src 0
		.amdhsa_exception_fp_ieee_div_zero 0
		.amdhsa_exception_fp_ieee_overflow 0
		.amdhsa_exception_fp_ieee_underflow 0
		.amdhsa_exception_fp_ieee_inexact 0
		.amdhsa_exception_int_div_zero 0
	.end_amdhsa_kernel
	.section	.text._ZL13mul_mat_f_idsIfLi32ELi13ELi7EEvPKT_PKfPKiS6_S6_Pfiiiiiiiiiiiiii15HIP_vector_typeIjLj3EES9_,"axG",@progbits,_ZL13mul_mat_f_idsIfLi32ELi13ELi7EEvPKT_PKfPKiS6_S6_Pfiiiiiiiiiiiiii15HIP_vector_typeIjLj3EES9_,comdat
.Lfunc_end21:
	.size	_ZL13mul_mat_f_idsIfLi32ELi13ELi7EEvPKT_PKfPKiS6_S6_Pfiiiiiiiiiiiiii15HIP_vector_typeIjLj3EES9_, .Lfunc_end21-_ZL13mul_mat_f_idsIfLi32ELi13ELi7EEvPKT_PKfPKiS6_S6_Pfiiiiiiiiiiiiii15HIP_vector_typeIjLj3EES9_
                                        ; -- End function
	.set _ZL13mul_mat_f_idsIfLi32ELi13ELi7EEvPKT_PKfPKiS6_S6_Pfiiiiiiiiiiiiii15HIP_vector_typeIjLj3EES9_.num_vgpr, max(3, .L_ZL14no_device_codePKciS0_iS0_.num_vgpr)
	.set _ZL13mul_mat_f_idsIfLi32ELi13ELi7EEvPKT_PKfPKiS6_S6_Pfiiiiiiiiiiiiii15HIP_vector_typeIjLj3EES9_.num_agpr, max(0, .L_ZL14no_device_codePKciS0_iS0_.num_agpr)
	.set _ZL13mul_mat_f_idsIfLi32ELi13ELi7EEvPKT_PKfPKiS6_S6_Pfiiiiiiiiiiiiii15HIP_vector_typeIjLj3EES9_.numbered_sgpr, max(33, .L_ZL14no_device_codePKciS0_iS0_.numbered_sgpr)
	.set _ZL13mul_mat_f_idsIfLi32ELi13ELi7EEvPKT_PKfPKiS6_S6_Pfiiiiiiiiiiiiii15HIP_vector_typeIjLj3EES9_.num_named_barrier, max(0, .L_ZL14no_device_codePKciS0_iS0_.num_named_barrier)
	.set _ZL13mul_mat_f_idsIfLi32ELi13ELi7EEvPKT_PKfPKiS6_S6_Pfiiiiiiiiiiiiii15HIP_vector_typeIjLj3EES9_.private_seg_size, 0+max(.L_ZL14no_device_codePKciS0_iS0_.private_seg_size)
	.set _ZL13mul_mat_f_idsIfLi32ELi13ELi7EEvPKT_PKfPKiS6_S6_Pfiiiiiiiiiiiiii15HIP_vector_typeIjLj3EES9_.uses_vcc, or(1, .L_ZL14no_device_codePKciS0_iS0_.uses_vcc)
	.set _ZL13mul_mat_f_idsIfLi32ELi13ELi7EEvPKT_PKfPKiS6_S6_Pfiiiiiiiiiiiiii15HIP_vector_typeIjLj3EES9_.uses_flat_scratch, or(0, .L_ZL14no_device_codePKciS0_iS0_.uses_flat_scratch)
	.set _ZL13mul_mat_f_idsIfLi32ELi13ELi7EEvPKT_PKfPKiS6_S6_Pfiiiiiiiiiiiiii15HIP_vector_typeIjLj3EES9_.has_dyn_sized_stack, or(0, .L_ZL14no_device_codePKciS0_iS0_.has_dyn_sized_stack)
	.set _ZL13mul_mat_f_idsIfLi32ELi13ELi7EEvPKT_PKfPKiS6_S6_Pfiiiiiiiiiiiiii15HIP_vector_typeIjLj3EES9_.has_recursion, or(0, .L_ZL14no_device_codePKciS0_iS0_.has_recursion)
	.set _ZL13mul_mat_f_idsIfLi32ELi13ELi7EEvPKT_PKfPKiS6_S6_Pfiiiiiiiiiiiiii15HIP_vector_typeIjLj3EES9_.has_indirect_call, or(0, .L_ZL14no_device_codePKciS0_iS0_.has_indirect_call)
	.section	.AMDGPU.csdata,"",@progbits
; Kernel info:
; codeLenInByte = 76
; TotalNumSgprs: 40
; NumVgprs: 38
; NumAgprs: 0
; TotalNumVgprs: 38
; ScratchSize: 16
; MemoryBound: 0
; FloatMode: 240
; IeeeMode: 1
; LDSByteSize: 0 bytes/workgroup (compile time only)
; SGPRBlocks: 4
; VGPRBlocks: 4
; NumSGPRsForWavesPerEU: 40
; NumVGPRsForWavesPerEU: 38
; AccumOffset: 40
; Occupancy: 8
; WaveLimiterHint : 1
; COMPUTE_PGM_RSRC2:SCRATCH_EN: 1
; COMPUTE_PGM_RSRC2:USER_SGPR: 2
; COMPUTE_PGM_RSRC2:TRAP_HANDLER: 0
; COMPUTE_PGM_RSRC2:TGID_X_EN: 1
; COMPUTE_PGM_RSRC2:TGID_Y_EN: 0
; COMPUTE_PGM_RSRC2:TGID_Z_EN: 0
; COMPUTE_PGM_RSRC2:TIDIG_COMP_CNT: 0
; COMPUTE_PGM_RSRC3_GFX90A:ACCUM_OFFSET: 9
; COMPUTE_PGM_RSRC3_GFX90A:TG_SPLIT: 0
	.section	.text._ZL9mul_mat_fIfLi32ELi13ELi7ELb1EEvPKT_PKfPKiPfiiiiiiiiiiiiiiii,"axG",@progbits,_ZL9mul_mat_fIfLi32ELi13ELi7ELb1EEvPKT_PKfPKiPfiiiiiiiiiiiiiiii,comdat
	.globl	_ZL9mul_mat_fIfLi32ELi13ELi7ELb1EEvPKT_PKfPKiPfiiiiiiiiiiiiiiii ; -- Begin function _ZL9mul_mat_fIfLi32ELi13ELi7ELb1EEvPKT_PKfPKiPfiiiiiiiiiiiiiiii
	.p2align	8
	.type	_ZL9mul_mat_fIfLi32ELi13ELi7ELb1EEvPKT_PKfPKiPfiiiiiiiiiiiiiiii,@function
_ZL9mul_mat_fIfLi32ELi13ELi7ELb1EEvPKT_PKfPKiPfiiiiiiiiiiiiiiii: ; @_ZL9mul_mat_fIfLi32ELi13ELi7ELb1EEvPKT_PKfPKiPfiiiiiiiiiiiiiiii
; %bb.0:
	s_add_u32 s8, s0, 0x60
	s_addc_u32 s9, s1, 0
	s_getpc_b64 s[0:1]
	s_add_u32 s0, s0, __FUNCTION__._ZL9mul_mat_fIfLi32ELi13ELi1ELb1EEvPKT_PKfPKiPfiiiiiiiiiiiiiiii@rel32@lo+4
	s_addc_u32 s1, s1, __FUNCTION__._ZL9mul_mat_fIfLi32ELi13ELi1ELb1EEvPKT_PKfPKiPfiiiiiiiiiiiiiiii@rel32@hi+12
	s_getpc_b64 s[2:3]
	s_add_u32 s2, s2, _ZL14no_device_codePKciS0_iS0_@rel32@lo+4
	s_addc_u32 s3, s3, _ZL14no_device_codePKciS0_iS0_@rel32@hi+12
	v_mov_b32_e32 v0, 64
	v_mov_b32_e32 v1, s0
	;; [unrolled: 1-line block ×3, first 2 shown]
	s_mov_b32 s32, 0
	s_swappc_b64 s[30:31], s[2:3]
	.section	.rodata,"a",@progbits
	.p2align	6, 0x0
	.amdhsa_kernel _ZL9mul_mat_fIfLi32ELi13ELi7ELb1EEvPKT_PKfPKiPfiiiiiiiiiiiiiiii
		.amdhsa_group_segment_fixed_size 0
		.amdhsa_private_segment_fixed_size 16
		.amdhsa_kernarg_size 352
		.amdhsa_user_sgpr_count 2
		.amdhsa_user_sgpr_dispatch_ptr 0
		.amdhsa_user_sgpr_queue_ptr 0
		.amdhsa_user_sgpr_kernarg_segment_ptr 1
		.amdhsa_user_sgpr_dispatch_id 0
		.amdhsa_user_sgpr_kernarg_preload_length 0
		.amdhsa_user_sgpr_kernarg_preload_offset 0
		.amdhsa_user_sgpr_private_segment_size 0
		.amdhsa_uses_dynamic_stack 0
		.amdhsa_enable_private_segment 1
		.amdhsa_system_sgpr_workgroup_id_x 1
		.amdhsa_system_sgpr_workgroup_id_y 0
		.amdhsa_system_sgpr_workgroup_id_z 0
		.amdhsa_system_sgpr_workgroup_info 0
		.amdhsa_system_vgpr_workitem_id 0
		.amdhsa_next_free_vgpr 38
		.amdhsa_next_free_sgpr 34
		.amdhsa_accum_offset 40
		.amdhsa_reserve_vcc 1
		.amdhsa_float_round_mode_32 0
		.amdhsa_float_round_mode_16_64 0
		.amdhsa_float_denorm_mode_32 3
		.amdhsa_float_denorm_mode_16_64 3
		.amdhsa_dx10_clamp 1
		.amdhsa_ieee_mode 1
		.amdhsa_fp16_overflow 0
		.amdhsa_tg_split 0
		.amdhsa_exception_fp_ieee_invalid_op 0
		.amdhsa_exception_fp_denorm_src 0
		.amdhsa_exception_fp_ieee_div_zero 0
		.amdhsa_exception_fp_ieee_overflow 0
		.amdhsa_exception_fp_ieee_underflow 0
		.amdhsa_exception_fp_ieee_inexact 0
		.amdhsa_exception_int_div_zero 0
	.end_amdhsa_kernel
	.section	.text._ZL9mul_mat_fIfLi32ELi13ELi7ELb1EEvPKT_PKfPKiPfiiiiiiiiiiiiiiii,"axG",@progbits,_ZL9mul_mat_fIfLi32ELi13ELi7ELb1EEvPKT_PKfPKiPfiiiiiiiiiiiiiiii,comdat
.Lfunc_end22:
	.size	_ZL9mul_mat_fIfLi32ELi13ELi7ELb1EEvPKT_PKfPKiPfiiiiiiiiiiiiiiii, .Lfunc_end22-_ZL9mul_mat_fIfLi32ELi13ELi7ELb1EEvPKT_PKfPKiPfiiiiiiiiiiiiiiii
                                        ; -- End function
	.set _ZL9mul_mat_fIfLi32ELi13ELi7ELb1EEvPKT_PKfPKiPfiiiiiiiiiiiiiiii.num_vgpr, max(3, .L_ZL14no_device_codePKciS0_iS0_.num_vgpr)
	.set _ZL9mul_mat_fIfLi32ELi13ELi7ELb1EEvPKT_PKfPKiPfiiiiiiiiiiiiiiii.num_agpr, max(0, .L_ZL14no_device_codePKciS0_iS0_.num_agpr)
	.set _ZL9mul_mat_fIfLi32ELi13ELi7ELb1EEvPKT_PKfPKiPfiiiiiiiiiiiiiiii.numbered_sgpr, max(33, .L_ZL14no_device_codePKciS0_iS0_.numbered_sgpr)
	.set _ZL9mul_mat_fIfLi32ELi13ELi7ELb1EEvPKT_PKfPKiPfiiiiiiiiiiiiiiii.num_named_barrier, max(0, .L_ZL14no_device_codePKciS0_iS0_.num_named_barrier)
	.set _ZL9mul_mat_fIfLi32ELi13ELi7ELb1EEvPKT_PKfPKiPfiiiiiiiiiiiiiiii.private_seg_size, 0+max(.L_ZL14no_device_codePKciS0_iS0_.private_seg_size)
	.set _ZL9mul_mat_fIfLi32ELi13ELi7ELb1EEvPKT_PKfPKiPfiiiiiiiiiiiiiiii.uses_vcc, or(1, .L_ZL14no_device_codePKciS0_iS0_.uses_vcc)
	.set _ZL9mul_mat_fIfLi32ELi13ELi7ELb1EEvPKT_PKfPKiPfiiiiiiiiiiiiiiii.uses_flat_scratch, or(0, .L_ZL14no_device_codePKciS0_iS0_.uses_flat_scratch)
	.set _ZL9mul_mat_fIfLi32ELi13ELi7ELb1EEvPKT_PKfPKiPfiiiiiiiiiiiiiiii.has_dyn_sized_stack, or(0, .L_ZL14no_device_codePKciS0_iS0_.has_dyn_sized_stack)
	.set _ZL9mul_mat_fIfLi32ELi13ELi7ELb1EEvPKT_PKfPKiPfiiiiiiiiiiiiiiii.has_recursion, or(0, .L_ZL14no_device_codePKciS0_iS0_.has_recursion)
	.set _ZL9mul_mat_fIfLi32ELi13ELi7ELb1EEvPKT_PKfPKiPfiiiiiiiiiiiiiiii.has_indirect_call, or(0, .L_ZL14no_device_codePKciS0_iS0_.has_indirect_call)
	.section	.AMDGPU.csdata,"",@progbits
; Kernel info:
; codeLenInByte = 72
; TotalNumSgprs: 40
; NumVgprs: 38
; NumAgprs: 0
; TotalNumVgprs: 38
; ScratchSize: 16
; MemoryBound: 0
; FloatMode: 240
; IeeeMode: 1
; LDSByteSize: 0 bytes/workgroup (compile time only)
; SGPRBlocks: 4
; VGPRBlocks: 4
; NumSGPRsForWavesPerEU: 40
; NumVGPRsForWavesPerEU: 38
; AccumOffset: 40
; Occupancy: 8
; WaveLimiterHint : 1
; COMPUTE_PGM_RSRC2:SCRATCH_EN: 1
; COMPUTE_PGM_RSRC2:USER_SGPR: 2
; COMPUTE_PGM_RSRC2:TRAP_HANDLER: 0
; COMPUTE_PGM_RSRC2:TGID_X_EN: 1
; COMPUTE_PGM_RSRC2:TGID_Y_EN: 0
; COMPUTE_PGM_RSRC2:TGID_Z_EN: 0
; COMPUTE_PGM_RSRC2:TIDIG_COMP_CNT: 0
; COMPUTE_PGM_RSRC3_GFX90A:ACCUM_OFFSET: 9
; COMPUTE_PGM_RSRC3_GFX90A:TG_SPLIT: 0
	.section	.text._ZL9mul_mat_fIfLi32ELi13ELi7ELb0EEvPKT_PKfPKiPfiiiiiiiiiiiiiiii,"axG",@progbits,_ZL9mul_mat_fIfLi32ELi13ELi7ELb0EEvPKT_PKfPKiPfiiiiiiiiiiiiiiii,comdat
	.globl	_ZL9mul_mat_fIfLi32ELi13ELi7ELb0EEvPKT_PKfPKiPfiiiiiiiiiiiiiiii ; -- Begin function _ZL9mul_mat_fIfLi32ELi13ELi7ELb0EEvPKT_PKfPKiPfiiiiiiiiiiiiiiii
	.p2align	8
	.type	_ZL9mul_mat_fIfLi32ELi13ELi7ELb0EEvPKT_PKfPKiPfiiiiiiiiiiiiiiii,@function
_ZL9mul_mat_fIfLi32ELi13ELi7ELb0EEvPKT_PKfPKiPfiiiiiiiiiiiiiiii: ; @_ZL9mul_mat_fIfLi32ELi13ELi7ELb0EEvPKT_PKfPKiPfiiiiiiiiiiiiiiii
; %bb.0:
	s_add_u32 s8, s0, 0x60
	s_addc_u32 s9, s1, 0
	s_getpc_b64 s[0:1]
	s_add_u32 s0, s0, __FUNCTION__._ZL9mul_mat_fIfLi32ELi13ELi1ELb1EEvPKT_PKfPKiPfiiiiiiiiiiiiiiii@rel32@lo+4
	s_addc_u32 s1, s1, __FUNCTION__._ZL9mul_mat_fIfLi32ELi13ELi1ELb1EEvPKT_PKfPKiPfiiiiiiiiiiiiiiii@rel32@hi+12
	s_getpc_b64 s[2:3]
	s_add_u32 s2, s2, _ZL14no_device_codePKciS0_iS0_@rel32@lo+4
	s_addc_u32 s3, s3, _ZL14no_device_codePKciS0_iS0_@rel32@hi+12
	v_mov_b32_e32 v0, 64
	v_mov_b32_e32 v1, s0
	;; [unrolled: 1-line block ×3, first 2 shown]
	s_mov_b32 s32, 0
	s_swappc_b64 s[30:31], s[2:3]
	.section	.rodata,"a",@progbits
	.p2align	6, 0x0
	.amdhsa_kernel _ZL9mul_mat_fIfLi32ELi13ELi7ELb0EEvPKT_PKfPKiPfiiiiiiiiiiiiiiii
		.amdhsa_group_segment_fixed_size 0
		.amdhsa_private_segment_fixed_size 16
		.amdhsa_kernarg_size 352
		.amdhsa_user_sgpr_count 2
		.amdhsa_user_sgpr_dispatch_ptr 0
		.amdhsa_user_sgpr_queue_ptr 0
		.amdhsa_user_sgpr_kernarg_segment_ptr 1
		.amdhsa_user_sgpr_dispatch_id 0
		.amdhsa_user_sgpr_kernarg_preload_length 0
		.amdhsa_user_sgpr_kernarg_preload_offset 0
		.amdhsa_user_sgpr_private_segment_size 0
		.amdhsa_uses_dynamic_stack 0
		.amdhsa_enable_private_segment 1
		.amdhsa_system_sgpr_workgroup_id_x 1
		.amdhsa_system_sgpr_workgroup_id_y 0
		.amdhsa_system_sgpr_workgroup_id_z 0
		.amdhsa_system_sgpr_workgroup_info 0
		.amdhsa_system_vgpr_workitem_id 0
		.amdhsa_next_free_vgpr 38
		.amdhsa_next_free_sgpr 34
		.amdhsa_accum_offset 40
		.amdhsa_reserve_vcc 1
		.amdhsa_float_round_mode_32 0
		.amdhsa_float_round_mode_16_64 0
		.amdhsa_float_denorm_mode_32 3
		.amdhsa_float_denorm_mode_16_64 3
		.amdhsa_dx10_clamp 1
		.amdhsa_ieee_mode 1
		.amdhsa_fp16_overflow 0
		.amdhsa_tg_split 0
		.amdhsa_exception_fp_ieee_invalid_op 0
		.amdhsa_exception_fp_denorm_src 0
		.amdhsa_exception_fp_ieee_div_zero 0
		.amdhsa_exception_fp_ieee_overflow 0
		.amdhsa_exception_fp_ieee_underflow 0
		.amdhsa_exception_fp_ieee_inexact 0
		.amdhsa_exception_int_div_zero 0
	.end_amdhsa_kernel
	.section	.text._ZL9mul_mat_fIfLi32ELi13ELi7ELb0EEvPKT_PKfPKiPfiiiiiiiiiiiiiiii,"axG",@progbits,_ZL9mul_mat_fIfLi32ELi13ELi7ELb0EEvPKT_PKfPKiPfiiiiiiiiiiiiiiii,comdat
.Lfunc_end23:
	.size	_ZL9mul_mat_fIfLi32ELi13ELi7ELb0EEvPKT_PKfPKiPfiiiiiiiiiiiiiiii, .Lfunc_end23-_ZL9mul_mat_fIfLi32ELi13ELi7ELb0EEvPKT_PKfPKiPfiiiiiiiiiiiiiiii
                                        ; -- End function
	.set _ZL9mul_mat_fIfLi32ELi13ELi7ELb0EEvPKT_PKfPKiPfiiiiiiiiiiiiiiii.num_vgpr, max(3, .L_ZL14no_device_codePKciS0_iS0_.num_vgpr)
	.set _ZL9mul_mat_fIfLi32ELi13ELi7ELb0EEvPKT_PKfPKiPfiiiiiiiiiiiiiiii.num_agpr, max(0, .L_ZL14no_device_codePKciS0_iS0_.num_agpr)
	.set _ZL9mul_mat_fIfLi32ELi13ELi7ELb0EEvPKT_PKfPKiPfiiiiiiiiiiiiiiii.numbered_sgpr, max(33, .L_ZL14no_device_codePKciS0_iS0_.numbered_sgpr)
	.set _ZL9mul_mat_fIfLi32ELi13ELi7ELb0EEvPKT_PKfPKiPfiiiiiiiiiiiiiiii.num_named_barrier, max(0, .L_ZL14no_device_codePKciS0_iS0_.num_named_barrier)
	.set _ZL9mul_mat_fIfLi32ELi13ELi7ELb0EEvPKT_PKfPKiPfiiiiiiiiiiiiiiii.private_seg_size, 0+max(.L_ZL14no_device_codePKciS0_iS0_.private_seg_size)
	.set _ZL9mul_mat_fIfLi32ELi13ELi7ELb0EEvPKT_PKfPKiPfiiiiiiiiiiiiiiii.uses_vcc, or(1, .L_ZL14no_device_codePKciS0_iS0_.uses_vcc)
	.set _ZL9mul_mat_fIfLi32ELi13ELi7ELb0EEvPKT_PKfPKiPfiiiiiiiiiiiiiiii.uses_flat_scratch, or(0, .L_ZL14no_device_codePKciS0_iS0_.uses_flat_scratch)
	.set _ZL9mul_mat_fIfLi32ELi13ELi7ELb0EEvPKT_PKfPKiPfiiiiiiiiiiiiiiii.has_dyn_sized_stack, or(0, .L_ZL14no_device_codePKciS0_iS0_.has_dyn_sized_stack)
	.set _ZL9mul_mat_fIfLi32ELi13ELi7ELb0EEvPKT_PKfPKiPfiiiiiiiiiiiiiiii.has_recursion, or(0, .L_ZL14no_device_codePKciS0_iS0_.has_recursion)
	.set _ZL9mul_mat_fIfLi32ELi13ELi7ELb0EEvPKT_PKfPKiPfiiiiiiiiiiiiiiii.has_indirect_call, or(0, .L_ZL14no_device_codePKciS0_iS0_.has_indirect_call)
	.section	.AMDGPU.csdata,"",@progbits
; Kernel info:
; codeLenInByte = 72
; TotalNumSgprs: 40
; NumVgprs: 38
; NumAgprs: 0
; TotalNumVgprs: 38
; ScratchSize: 16
; MemoryBound: 0
; FloatMode: 240
; IeeeMode: 1
; LDSByteSize: 0 bytes/workgroup (compile time only)
; SGPRBlocks: 4
; VGPRBlocks: 4
; NumSGPRsForWavesPerEU: 40
; NumVGPRsForWavesPerEU: 38
; AccumOffset: 40
; Occupancy: 8
; WaveLimiterHint : 1
; COMPUTE_PGM_RSRC2:SCRATCH_EN: 1
; COMPUTE_PGM_RSRC2:USER_SGPR: 2
; COMPUTE_PGM_RSRC2:TRAP_HANDLER: 0
; COMPUTE_PGM_RSRC2:TGID_X_EN: 1
; COMPUTE_PGM_RSRC2:TGID_Y_EN: 0
; COMPUTE_PGM_RSRC2:TGID_Z_EN: 0
; COMPUTE_PGM_RSRC2:TIDIG_COMP_CNT: 0
; COMPUTE_PGM_RSRC3_GFX90A:ACCUM_OFFSET: 9
; COMPUTE_PGM_RSRC3_GFX90A:TG_SPLIT: 0
	.section	.text._ZL13mul_mat_f_idsIfLi32ELi13ELi8EEvPKT_PKfPKiS6_S6_Pfiiiiiiiiiiiiii15HIP_vector_typeIjLj3EES9_,"axG",@progbits,_ZL13mul_mat_f_idsIfLi32ELi13ELi8EEvPKT_PKfPKiS6_S6_Pfiiiiiiiiiiiiii15HIP_vector_typeIjLj3EES9_,comdat
	.globl	_ZL13mul_mat_f_idsIfLi32ELi13ELi8EEvPKT_PKfPKiS6_S6_Pfiiiiiiiiiiiiii15HIP_vector_typeIjLj3EES9_ ; -- Begin function _ZL13mul_mat_f_idsIfLi32ELi13ELi8EEvPKT_PKfPKiS6_S6_Pfiiiiiiiiiiiiii15HIP_vector_typeIjLj3EES9_
	.p2align	8
	.type	_ZL13mul_mat_f_idsIfLi32ELi13ELi8EEvPKT_PKfPKiS6_S6_Pfiiiiiiiiiiiiii15HIP_vector_typeIjLj3EES9_,@function
_ZL13mul_mat_f_idsIfLi32ELi13ELi8EEvPKT_PKfPKiS6_S6_Pfiiiiiiiiiiiiii15HIP_vector_typeIjLj3EES9_: ; @_ZL13mul_mat_f_idsIfLi32ELi13ELi8EEvPKT_PKfPKiS6_S6_Pfiiiiiiiiiiiiii15HIP_vector_typeIjLj3EES9_
; %bb.0:
	s_add_u32 s8, s0, 0x80
	s_addc_u32 s9, s1, 0
	s_getpc_b64 s[0:1]
	s_add_u32 s0, s0, __FUNCTION__._ZL13mul_mat_f_idsIfLi32ELi13ELi1EEvPKT_PKfPKiS6_S6_Pfiiiiiiiiiiiiii15HIP_vector_typeIjLj3EES9_@rel32@lo+4
	s_addc_u32 s1, s1, __FUNCTION__._ZL13mul_mat_f_idsIfLi32ELi13ELi1EEvPKT_PKfPKiS6_S6_Pfiiiiiiiiiiiiii15HIP_vector_typeIjLj3EES9_@rel32@hi+12
	s_getpc_b64 s[2:3]
	s_add_u32 s2, s2, _ZL14no_device_codePKciS0_iS0_@rel32@lo+4
	s_addc_u32 s3, s3, _ZL14no_device_codePKciS0_iS0_@rel32@hi+12
	v_mov_b32_e32 v0, 0x13b
	v_mov_b32_e32 v1, s0
	v_mov_b32_e32 v2, s1
	s_mov_b32 s32, 0
	s_swappc_b64 s[30:31], s[2:3]
	.section	.rodata,"a",@progbits
	.p2align	6, 0x0
	.amdhsa_kernel _ZL13mul_mat_f_idsIfLi32ELi13ELi8EEvPKT_PKfPKiS6_S6_Pfiiiiiiiiiiiiii15HIP_vector_typeIjLj3EES9_
		.amdhsa_group_segment_fixed_size 0
		.amdhsa_private_segment_fixed_size 16
		.amdhsa_kernarg_size 384
		.amdhsa_user_sgpr_count 2
		.amdhsa_user_sgpr_dispatch_ptr 0
		.amdhsa_user_sgpr_queue_ptr 0
		.amdhsa_user_sgpr_kernarg_segment_ptr 1
		.amdhsa_user_sgpr_dispatch_id 0
		.amdhsa_user_sgpr_kernarg_preload_length 0
		.amdhsa_user_sgpr_kernarg_preload_offset 0
		.amdhsa_user_sgpr_private_segment_size 0
		.amdhsa_uses_dynamic_stack 0
		.amdhsa_enable_private_segment 1
		.amdhsa_system_sgpr_workgroup_id_x 1
		.amdhsa_system_sgpr_workgroup_id_y 0
		.amdhsa_system_sgpr_workgroup_id_z 0
		.amdhsa_system_sgpr_workgroup_info 0
		.amdhsa_system_vgpr_workitem_id 0
		.amdhsa_next_free_vgpr 38
		.amdhsa_next_free_sgpr 34
		.amdhsa_accum_offset 40
		.amdhsa_reserve_vcc 1
		.amdhsa_float_round_mode_32 0
		.amdhsa_float_round_mode_16_64 0
		.amdhsa_float_denorm_mode_32 3
		.amdhsa_float_denorm_mode_16_64 3
		.amdhsa_dx10_clamp 1
		.amdhsa_ieee_mode 1
		.amdhsa_fp16_overflow 0
		.amdhsa_tg_split 0
		.amdhsa_exception_fp_ieee_invalid_op 0
		.amdhsa_exception_fp_denorm_src 0
		.amdhsa_exception_fp_ieee_div_zero 0
		.amdhsa_exception_fp_ieee_overflow 0
		.amdhsa_exception_fp_ieee_underflow 0
		.amdhsa_exception_fp_ieee_inexact 0
		.amdhsa_exception_int_div_zero 0
	.end_amdhsa_kernel
	.section	.text._ZL13mul_mat_f_idsIfLi32ELi13ELi8EEvPKT_PKfPKiS6_S6_Pfiiiiiiiiiiiiii15HIP_vector_typeIjLj3EES9_,"axG",@progbits,_ZL13mul_mat_f_idsIfLi32ELi13ELi8EEvPKT_PKfPKiS6_S6_Pfiiiiiiiiiiiiii15HIP_vector_typeIjLj3EES9_,comdat
.Lfunc_end24:
	.size	_ZL13mul_mat_f_idsIfLi32ELi13ELi8EEvPKT_PKfPKiS6_S6_Pfiiiiiiiiiiiiii15HIP_vector_typeIjLj3EES9_, .Lfunc_end24-_ZL13mul_mat_f_idsIfLi32ELi13ELi8EEvPKT_PKfPKiS6_S6_Pfiiiiiiiiiiiiii15HIP_vector_typeIjLj3EES9_
                                        ; -- End function
	.set _ZL13mul_mat_f_idsIfLi32ELi13ELi8EEvPKT_PKfPKiS6_S6_Pfiiiiiiiiiiiiii15HIP_vector_typeIjLj3EES9_.num_vgpr, max(3, .L_ZL14no_device_codePKciS0_iS0_.num_vgpr)
	.set _ZL13mul_mat_f_idsIfLi32ELi13ELi8EEvPKT_PKfPKiS6_S6_Pfiiiiiiiiiiiiii15HIP_vector_typeIjLj3EES9_.num_agpr, max(0, .L_ZL14no_device_codePKciS0_iS0_.num_agpr)
	.set _ZL13mul_mat_f_idsIfLi32ELi13ELi8EEvPKT_PKfPKiS6_S6_Pfiiiiiiiiiiiiii15HIP_vector_typeIjLj3EES9_.numbered_sgpr, max(33, .L_ZL14no_device_codePKciS0_iS0_.numbered_sgpr)
	.set _ZL13mul_mat_f_idsIfLi32ELi13ELi8EEvPKT_PKfPKiS6_S6_Pfiiiiiiiiiiiiii15HIP_vector_typeIjLj3EES9_.num_named_barrier, max(0, .L_ZL14no_device_codePKciS0_iS0_.num_named_barrier)
	.set _ZL13mul_mat_f_idsIfLi32ELi13ELi8EEvPKT_PKfPKiS6_S6_Pfiiiiiiiiiiiiii15HIP_vector_typeIjLj3EES9_.private_seg_size, 0+max(.L_ZL14no_device_codePKciS0_iS0_.private_seg_size)
	.set _ZL13mul_mat_f_idsIfLi32ELi13ELi8EEvPKT_PKfPKiS6_S6_Pfiiiiiiiiiiiiii15HIP_vector_typeIjLj3EES9_.uses_vcc, or(1, .L_ZL14no_device_codePKciS0_iS0_.uses_vcc)
	.set _ZL13mul_mat_f_idsIfLi32ELi13ELi8EEvPKT_PKfPKiS6_S6_Pfiiiiiiiiiiiiii15HIP_vector_typeIjLj3EES9_.uses_flat_scratch, or(0, .L_ZL14no_device_codePKciS0_iS0_.uses_flat_scratch)
	.set _ZL13mul_mat_f_idsIfLi32ELi13ELi8EEvPKT_PKfPKiS6_S6_Pfiiiiiiiiiiiiii15HIP_vector_typeIjLj3EES9_.has_dyn_sized_stack, or(0, .L_ZL14no_device_codePKciS0_iS0_.has_dyn_sized_stack)
	.set _ZL13mul_mat_f_idsIfLi32ELi13ELi8EEvPKT_PKfPKiS6_S6_Pfiiiiiiiiiiiiii15HIP_vector_typeIjLj3EES9_.has_recursion, or(0, .L_ZL14no_device_codePKciS0_iS0_.has_recursion)
	.set _ZL13mul_mat_f_idsIfLi32ELi13ELi8EEvPKT_PKfPKiS6_S6_Pfiiiiiiiiiiiiii15HIP_vector_typeIjLj3EES9_.has_indirect_call, or(0, .L_ZL14no_device_codePKciS0_iS0_.has_indirect_call)
	.section	.AMDGPU.csdata,"",@progbits
; Kernel info:
; codeLenInByte = 76
; TotalNumSgprs: 40
; NumVgprs: 38
; NumAgprs: 0
; TotalNumVgprs: 38
; ScratchSize: 16
; MemoryBound: 0
; FloatMode: 240
; IeeeMode: 1
; LDSByteSize: 0 bytes/workgroup (compile time only)
; SGPRBlocks: 4
; VGPRBlocks: 4
; NumSGPRsForWavesPerEU: 40
; NumVGPRsForWavesPerEU: 38
; AccumOffset: 40
; Occupancy: 8
; WaveLimiterHint : 1
; COMPUTE_PGM_RSRC2:SCRATCH_EN: 1
; COMPUTE_PGM_RSRC2:USER_SGPR: 2
; COMPUTE_PGM_RSRC2:TRAP_HANDLER: 0
; COMPUTE_PGM_RSRC2:TGID_X_EN: 1
; COMPUTE_PGM_RSRC2:TGID_Y_EN: 0
; COMPUTE_PGM_RSRC2:TGID_Z_EN: 0
; COMPUTE_PGM_RSRC2:TIDIG_COMP_CNT: 0
; COMPUTE_PGM_RSRC3_GFX90A:ACCUM_OFFSET: 9
; COMPUTE_PGM_RSRC3_GFX90A:TG_SPLIT: 0
	.section	.text._ZL9mul_mat_fIfLi32ELi13ELi8ELb1EEvPKT_PKfPKiPfiiiiiiiiiiiiiiii,"axG",@progbits,_ZL9mul_mat_fIfLi32ELi13ELi8ELb1EEvPKT_PKfPKiPfiiiiiiiiiiiiiiii,comdat
	.globl	_ZL9mul_mat_fIfLi32ELi13ELi8ELb1EEvPKT_PKfPKiPfiiiiiiiiiiiiiiii ; -- Begin function _ZL9mul_mat_fIfLi32ELi13ELi8ELb1EEvPKT_PKfPKiPfiiiiiiiiiiiiiiii
	.p2align	8
	.type	_ZL9mul_mat_fIfLi32ELi13ELi8ELb1EEvPKT_PKfPKiPfiiiiiiiiiiiiiiii,@function
_ZL9mul_mat_fIfLi32ELi13ELi8ELb1EEvPKT_PKfPKiPfiiiiiiiiiiiiiiii: ; @_ZL9mul_mat_fIfLi32ELi13ELi8ELb1EEvPKT_PKfPKiPfiiiiiiiiiiiiiiii
; %bb.0:
	s_add_u32 s8, s0, 0x60
	s_addc_u32 s9, s1, 0
	s_getpc_b64 s[0:1]
	s_add_u32 s0, s0, __FUNCTION__._ZL9mul_mat_fIfLi32ELi13ELi1ELb1EEvPKT_PKfPKiPfiiiiiiiiiiiiiiii@rel32@lo+4
	s_addc_u32 s1, s1, __FUNCTION__._ZL9mul_mat_fIfLi32ELi13ELi1ELb1EEvPKT_PKfPKiPfiiiiiiiiiiiiiiii@rel32@hi+12
	s_getpc_b64 s[2:3]
	s_add_u32 s2, s2, _ZL14no_device_codePKciS0_iS0_@rel32@lo+4
	s_addc_u32 s3, s3, _ZL14no_device_codePKciS0_iS0_@rel32@hi+12
	v_mov_b32_e32 v0, 64
	v_mov_b32_e32 v1, s0
	v_mov_b32_e32 v2, s1
	s_mov_b32 s32, 0
	s_swappc_b64 s[30:31], s[2:3]
	.section	.rodata,"a",@progbits
	.p2align	6, 0x0
	.amdhsa_kernel _ZL9mul_mat_fIfLi32ELi13ELi8ELb1EEvPKT_PKfPKiPfiiiiiiiiiiiiiiii
		.amdhsa_group_segment_fixed_size 0
		.amdhsa_private_segment_fixed_size 16
		.amdhsa_kernarg_size 352
		.amdhsa_user_sgpr_count 2
		.amdhsa_user_sgpr_dispatch_ptr 0
		.amdhsa_user_sgpr_queue_ptr 0
		.amdhsa_user_sgpr_kernarg_segment_ptr 1
		.amdhsa_user_sgpr_dispatch_id 0
		.amdhsa_user_sgpr_kernarg_preload_length 0
		.amdhsa_user_sgpr_kernarg_preload_offset 0
		.amdhsa_user_sgpr_private_segment_size 0
		.amdhsa_uses_dynamic_stack 0
		.amdhsa_enable_private_segment 1
		.amdhsa_system_sgpr_workgroup_id_x 1
		.amdhsa_system_sgpr_workgroup_id_y 0
		.amdhsa_system_sgpr_workgroup_id_z 0
		.amdhsa_system_sgpr_workgroup_info 0
		.amdhsa_system_vgpr_workitem_id 0
		.amdhsa_next_free_vgpr 38
		.amdhsa_next_free_sgpr 34
		.amdhsa_accum_offset 40
		.amdhsa_reserve_vcc 1
		.amdhsa_float_round_mode_32 0
		.amdhsa_float_round_mode_16_64 0
		.amdhsa_float_denorm_mode_32 3
		.amdhsa_float_denorm_mode_16_64 3
		.amdhsa_dx10_clamp 1
		.amdhsa_ieee_mode 1
		.amdhsa_fp16_overflow 0
		.amdhsa_tg_split 0
		.amdhsa_exception_fp_ieee_invalid_op 0
		.amdhsa_exception_fp_denorm_src 0
		.amdhsa_exception_fp_ieee_div_zero 0
		.amdhsa_exception_fp_ieee_overflow 0
		.amdhsa_exception_fp_ieee_underflow 0
		.amdhsa_exception_fp_ieee_inexact 0
		.amdhsa_exception_int_div_zero 0
	.end_amdhsa_kernel
	.section	.text._ZL9mul_mat_fIfLi32ELi13ELi8ELb1EEvPKT_PKfPKiPfiiiiiiiiiiiiiiii,"axG",@progbits,_ZL9mul_mat_fIfLi32ELi13ELi8ELb1EEvPKT_PKfPKiPfiiiiiiiiiiiiiiii,comdat
.Lfunc_end25:
	.size	_ZL9mul_mat_fIfLi32ELi13ELi8ELb1EEvPKT_PKfPKiPfiiiiiiiiiiiiiiii, .Lfunc_end25-_ZL9mul_mat_fIfLi32ELi13ELi8ELb1EEvPKT_PKfPKiPfiiiiiiiiiiiiiiii
                                        ; -- End function
	.set _ZL9mul_mat_fIfLi32ELi13ELi8ELb1EEvPKT_PKfPKiPfiiiiiiiiiiiiiiii.num_vgpr, max(3, .L_ZL14no_device_codePKciS0_iS0_.num_vgpr)
	.set _ZL9mul_mat_fIfLi32ELi13ELi8ELb1EEvPKT_PKfPKiPfiiiiiiiiiiiiiiii.num_agpr, max(0, .L_ZL14no_device_codePKciS0_iS0_.num_agpr)
	.set _ZL9mul_mat_fIfLi32ELi13ELi8ELb1EEvPKT_PKfPKiPfiiiiiiiiiiiiiiii.numbered_sgpr, max(33, .L_ZL14no_device_codePKciS0_iS0_.numbered_sgpr)
	.set _ZL9mul_mat_fIfLi32ELi13ELi8ELb1EEvPKT_PKfPKiPfiiiiiiiiiiiiiiii.num_named_barrier, max(0, .L_ZL14no_device_codePKciS0_iS0_.num_named_barrier)
	.set _ZL9mul_mat_fIfLi32ELi13ELi8ELb1EEvPKT_PKfPKiPfiiiiiiiiiiiiiiii.private_seg_size, 0+max(.L_ZL14no_device_codePKciS0_iS0_.private_seg_size)
	.set _ZL9mul_mat_fIfLi32ELi13ELi8ELb1EEvPKT_PKfPKiPfiiiiiiiiiiiiiiii.uses_vcc, or(1, .L_ZL14no_device_codePKciS0_iS0_.uses_vcc)
	.set _ZL9mul_mat_fIfLi32ELi13ELi8ELb1EEvPKT_PKfPKiPfiiiiiiiiiiiiiiii.uses_flat_scratch, or(0, .L_ZL14no_device_codePKciS0_iS0_.uses_flat_scratch)
	.set _ZL9mul_mat_fIfLi32ELi13ELi8ELb1EEvPKT_PKfPKiPfiiiiiiiiiiiiiiii.has_dyn_sized_stack, or(0, .L_ZL14no_device_codePKciS0_iS0_.has_dyn_sized_stack)
	.set _ZL9mul_mat_fIfLi32ELi13ELi8ELb1EEvPKT_PKfPKiPfiiiiiiiiiiiiiiii.has_recursion, or(0, .L_ZL14no_device_codePKciS0_iS0_.has_recursion)
	.set _ZL9mul_mat_fIfLi32ELi13ELi8ELb1EEvPKT_PKfPKiPfiiiiiiiiiiiiiiii.has_indirect_call, or(0, .L_ZL14no_device_codePKciS0_iS0_.has_indirect_call)
	.section	.AMDGPU.csdata,"",@progbits
; Kernel info:
; codeLenInByte = 72
; TotalNumSgprs: 40
; NumVgprs: 38
; NumAgprs: 0
; TotalNumVgprs: 38
; ScratchSize: 16
; MemoryBound: 0
; FloatMode: 240
; IeeeMode: 1
; LDSByteSize: 0 bytes/workgroup (compile time only)
; SGPRBlocks: 4
; VGPRBlocks: 4
; NumSGPRsForWavesPerEU: 40
; NumVGPRsForWavesPerEU: 38
; AccumOffset: 40
; Occupancy: 8
; WaveLimiterHint : 1
; COMPUTE_PGM_RSRC2:SCRATCH_EN: 1
; COMPUTE_PGM_RSRC2:USER_SGPR: 2
; COMPUTE_PGM_RSRC2:TRAP_HANDLER: 0
; COMPUTE_PGM_RSRC2:TGID_X_EN: 1
; COMPUTE_PGM_RSRC2:TGID_Y_EN: 0
; COMPUTE_PGM_RSRC2:TGID_Z_EN: 0
; COMPUTE_PGM_RSRC2:TIDIG_COMP_CNT: 0
; COMPUTE_PGM_RSRC3_GFX90A:ACCUM_OFFSET: 9
; COMPUTE_PGM_RSRC3_GFX90A:TG_SPLIT: 0
	.section	.text._ZL9mul_mat_fIfLi32ELi13ELi8ELb0EEvPKT_PKfPKiPfiiiiiiiiiiiiiiii,"axG",@progbits,_ZL9mul_mat_fIfLi32ELi13ELi8ELb0EEvPKT_PKfPKiPfiiiiiiiiiiiiiiii,comdat
	.globl	_ZL9mul_mat_fIfLi32ELi13ELi8ELb0EEvPKT_PKfPKiPfiiiiiiiiiiiiiiii ; -- Begin function _ZL9mul_mat_fIfLi32ELi13ELi8ELb0EEvPKT_PKfPKiPfiiiiiiiiiiiiiiii
	.p2align	8
	.type	_ZL9mul_mat_fIfLi32ELi13ELi8ELb0EEvPKT_PKfPKiPfiiiiiiiiiiiiiiii,@function
_ZL9mul_mat_fIfLi32ELi13ELi8ELb0EEvPKT_PKfPKiPfiiiiiiiiiiiiiiii: ; @_ZL9mul_mat_fIfLi32ELi13ELi8ELb0EEvPKT_PKfPKiPfiiiiiiiiiiiiiiii
; %bb.0:
	s_add_u32 s8, s0, 0x60
	s_addc_u32 s9, s1, 0
	s_getpc_b64 s[0:1]
	s_add_u32 s0, s0, __FUNCTION__._ZL9mul_mat_fIfLi32ELi13ELi1ELb1EEvPKT_PKfPKiPfiiiiiiiiiiiiiiii@rel32@lo+4
	s_addc_u32 s1, s1, __FUNCTION__._ZL9mul_mat_fIfLi32ELi13ELi1ELb1EEvPKT_PKfPKiPfiiiiiiiiiiiiiiii@rel32@hi+12
	s_getpc_b64 s[2:3]
	s_add_u32 s2, s2, _ZL14no_device_codePKciS0_iS0_@rel32@lo+4
	s_addc_u32 s3, s3, _ZL14no_device_codePKciS0_iS0_@rel32@hi+12
	v_mov_b32_e32 v0, 64
	v_mov_b32_e32 v1, s0
	;; [unrolled: 1-line block ×3, first 2 shown]
	s_mov_b32 s32, 0
	s_swappc_b64 s[30:31], s[2:3]
	.section	.rodata,"a",@progbits
	.p2align	6, 0x0
	.amdhsa_kernel _ZL9mul_mat_fIfLi32ELi13ELi8ELb0EEvPKT_PKfPKiPfiiiiiiiiiiiiiiii
		.amdhsa_group_segment_fixed_size 0
		.amdhsa_private_segment_fixed_size 16
		.amdhsa_kernarg_size 352
		.amdhsa_user_sgpr_count 2
		.amdhsa_user_sgpr_dispatch_ptr 0
		.amdhsa_user_sgpr_queue_ptr 0
		.amdhsa_user_sgpr_kernarg_segment_ptr 1
		.amdhsa_user_sgpr_dispatch_id 0
		.amdhsa_user_sgpr_kernarg_preload_length 0
		.amdhsa_user_sgpr_kernarg_preload_offset 0
		.amdhsa_user_sgpr_private_segment_size 0
		.amdhsa_uses_dynamic_stack 0
		.amdhsa_enable_private_segment 1
		.amdhsa_system_sgpr_workgroup_id_x 1
		.amdhsa_system_sgpr_workgroup_id_y 0
		.amdhsa_system_sgpr_workgroup_id_z 0
		.amdhsa_system_sgpr_workgroup_info 0
		.amdhsa_system_vgpr_workitem_id 0
		.amdhsa_next_free_vgpr 38
		.amdhsa_next_free_sgpr 34
		.amdhsa_accum_offset 40
		.amdhsa_reserve_vcc 1
		.amdhsa_float_round_mode_32 0
		.amdhsa_float_round_mode_16_64 0
		.amdhsa_float_denorm_mode_32 3
		.amdhsa_float_denorm_mode_16_64 3
		.amdhsa_dx10_clamp 1
		.amdhsa_ieee_mode 1
		.amdhsa_fp16_overflow 0
		.amdhsa_tg_split 0
		.amdhsa_exception_fp_ieee_invalid_op 0
		.amdhsa_exception_fp_denorm_src 0
		.amdhsa_exception_fp_ieee_div_zero 0
		.amdhsa_exception_fp_ieee_overflow 0
		.amdhsa_exception_fp_ieee_underflow 0
		.amdhsa_exception_fp_ieee_inexact 0
		.amdhsa_exception_int_div_zero 0
	.end_amdhsa_kernel
	.section	.text._ZL9mul_mat_fIfLi32ELi13ELi8ELb0EEvPKT_PKfPKiPfiiiiiiiiiiiiiiii,"axG",@progbits,_ZL9mul_mat_fIfLi32ELi13ELi8ELb0EEvPKT_PKfPKiPfiiiiiiiiiiiiiiii,comdat
.Lfunc_end26:
	.size	_ZL9mul_mat_fIfLi32ELi13ELi8ELb0EEvPKT_PKfPKiPfiiiiiiiiiiiiiiii, .Lfunc_end26-_ZL9mul_mat_fIfLi32ELi13ELi8ELb0EEvPKT_PKfPKiPfiiiiiiiiiiiiiiii
                                        ; -- End function
	.set _ZL9mul_mat_fIfLi32ELi13ELi8ELb0EEvPKT_PKfPKiPfiiiiiiiiiiiiiiii.num_vgpr, max(3, .L_ZL14no_device_codePKciS0_iS0_.num_vgpr)
	.set _ZL9mul_mat_fIfLi32ELi13ELi8ELb0EEvPKT_PKfPKiPfiiiiiiiiiiiiiiii.num_agpr, max(0, .L_ZL14no_device_codePKciS0_iS0_.num_agpr)
	.set _ZL9mul_mat_fIfLi32ELi13ELi8ELb0EEvPKT_PKfPKiPfiiiiiiiiiiiiiiii.numbered_sgpr, max(33, .L_ZL14no_device_codePKciS0_iS0_.numbered_sgpr)
	.set _ZL9mul_mat_fIfLi32ELi13ELi8ELb0EEvPKT_PKfPKiPfiiiiiiiiiiiiiiii.num_named_barrier, max(0, .L_ZL14no_device_codePKciS0_iS0_.num_named_barrier)
	.set _ZL9mul_mat_fIfLi32ELi13ELi8ELb0EEvPKT_PKfPKiPfiiiiiiiiiiiiiiii.private_seg_size, 0+max(.L_ZL14no_device_codePKciS0_iS0_.private_seg_size)
	.set _ZL9mul_mat_fIfLi32ELi13ELi8ELb0EEvPKT_PKfPKiPfiiiiiiiiiiiiiiii.uses_vcc, or(1, .L_ZL14no_device_codePKciS0_iS0_.uses_vcc)
	.set _ZL9mul_mat_fIfLi32ELi13ELi8ELb0EEvPKT_PKfPKiPfiiiiiiiiiiiiiiii.uses_flat_scratch, or(0, .L_ZL14no_device_codePKciS0_iS0_.uses_flat_scratch)
	.set _ZL9mul_mat_fIfLi32ELi13ELi8ELb0EEvPKT_PKfPKiPfiiiiiiiiiiiiiiii.has_dyn_sized_stack, or(0, .L_ZL14no_device_codePKciS0_iS0_.has_dyn_sized_stack)
	.set _ZL9mul_mat_fIfLi32ELi13ELi8ELb0EEvPKT_PKfPKiPfiiiiiiiiiiiiiiii.has_recursion, or(0, .L_ZL14no_device_codePKciS0_iS0_.has_recursion)
	.set _ZL9mul_mat_fIfLi32ELi13ELi8ELb0EEvPKT_PKfPKiPfiiiiiiiiiiiiiiii.has_indirect_call, or(0, .L_ZL14no_device_codePKciS0_iS0_.has_indirect_call)
	.section	.AMDGPU.csdata,"",@progbits
; Kernel info:
; codeLenInByte = 72
; TotalNumSgprs: 40
; NumVgprs: 38
; NumAgprs: 0
; TotalNumVgprs: 38
; ScratchSize: 16
; MemoryBound: 0
; FloatMode: 240
; IeeeMode: 1
; LDSByteSize: 0 bytes/workgroup (compile time only)
; SGPRBlocks: 4
; VGPRBlocks: 4
; NumSGPRsForWavesPerEU: 40
; NumVGPRsForWavesPerEU: 38
; AccumOffset: 40
; Occupancy: 8
; WaveLimiterHint : 1
; COMPUTE_PGM_RSRC2:SCRATCH_EN: 1
; COMPUTE_PGM_RSRC2:USER_SGPR: 2
; COMPUTE_PGM_RSRC2:TRAP_HANDLER: 0
; COMPUTE_PGM_RSRC2:TGID_X_EN: 1
; COMPUTE_PGM_RSRC2:TGID_Y_EN: 0
; COMPUTE_PGM_RSRC2:TGID_Z_EN: 0
; COMPUTE_PGM_RSRC2:TIDIG_COMP_CNT: 0
; COMPUTE_PGM_RSRC3_GFX90A:ACCUM_OFFSET: 9
; COMPUTE_PGM_RSRC3_GFX90A:TG_SPLIT: 0
	.section	.text._ZL13mul_mat_f_idsI7__half2Li32ELi13ELi1EEvPKT_PKfPKiS7_S7_Pfiiiiiiiiiiiiii15HIP_vector_typeIjLj3EESA_,"axG",@progbits,_ZL13mul_mat_f_idsI7__half2Li32ELi13ELi1EEvPKT_PKfPKiS7_S7_Pfiiiiiiiiiiiiii15HIP_vector_typeIjLj3EESA_,comdat
	.globl	_ZL13mul_mat_f_idsI7__half2Li32ELi13ELi1EEvPKT_PKfPKiS7_S7_Pfiiiiiiiiiiiiii15HIP_vector_typeIjLj3EESA_ ; -- Begin function _ZL13mul_mat_f_idsI7__half2Li32ELi13ELi1EEvPKT_PKfPKiS7_S7_Pfiiiiiiiiiiiiii15HIP_vector_typeIjLj3EESA_
	.p2align	8
	.type	_ZL13mul_mat_f_idsI7__half2Li32ELi13ELi1EEvPKT_PKfPKiS7_S7_Pfiiiiiiiiiiiiii15HIP_vector_typeIjLj3EESA_,@function
_ZL13mul_mat_f_idsI7__half2Li32ELi13ELi1EEvPKT_PKfPKiS7_S7_Pfiiiiiiiiiiiiii15HIP_vector_typeIjLj3EESA_: ; @_ZL13mul_mat_f_idsI7__half2Li32ELi13ELi1EEvPKT_PKfPKiS7_S7_Pfiiiiiiiiiiiiii15HIP_vector_typeIjLj3EESA_
; %bb.0:
	s_add_u32 s8, s0, 0x80
	s_addc_u32 s9, s1, 0
	s_getpc_b64 s[0:1]
	s_add_u32 s0, s0, __FUNCTION__._ZL13mul_mat_f_idsIfLi32ELi13ELi1EEvPKT_PKfPKiS6_S6_Pfiiiiiiiiiiiiii15HIP_vector_typeIjLj3EES9_@rel32@lo+4
	s_addc_u32 s1, s1, __FUNCTION__._ZL13mul_mat_f_idsIfLi32ELi13ELi1EEvPKT_PKfPKiS6_S6_Pfiiiiiiiiiiiiii15HIP_vector_typeIjLj3EES9_@rel32@hi+12
	s_getpc_b64 s[2:3]
	s_add_u32 s2, s2, _ZL14no_device_codePKciS0_iS0_@rel32@lo+4
	s_addc_u32 s3, s3, _ZL14no_device_codePKciS0_iS0_@rel32@hi+12
	v_mov_b32_e32 v0, 0x13b
	v_mov_b32_e32 v1, s0
	;; [unrolled: 1-line block ×3, first 2 shown]
	s_mov_b32 s32, 0
	s_swappc_b64 s[30:31], s[2:3]
	.section	.rodata,"a",@progbits
	.p2align	6, 0x0
	.amdhsa_kernel _ZL13mul_mat_f_idsI7__half2Li32ELi13ELi1EEvPKT_PKfPKiS7_S7_Pfiiiiiiiiiiiiii15HIP_vector_typeIjLj3EESA_
		.amdhsa_group_segment_fixed_size 0
		.amdhsa_private_segment_fixed_size 16
		.amdhsa_kernarg_size 384
		.amdhsa_user_sgpr_count 2
		.amdhsa_user_sgpr_dispatch_ptr 0
		.amdhsa_user_sgpr_queue_ptr 0
		.amdhsa_user_sgpr_kernarg_segment_ptr 1
		.amdhsa_user_sgpr_dispatch_id 0
		.amdhsa_user_sgpr_kernarg_preload_length 0
		.amdhsa_user_sgpr_kernarg_preload_offset 0
		.amdhsa_user_sgpr_private_segment_size 0
		.amdhsa_uses_dynamic_stack 0
		.amdhsa_enable_private_segment 1
		.amdhsa_system_sgpr_workgroup_id_x 1
		.amdhsa_system_sgpr_workgroup_id_y 0
		.amdhsa_system_sgpr_workgroup_id_z 0
		.amdhsa_system_sgpr_workgroup_info 0
		.amdhsa_system_vgpr_workitem_id 0
		.amdhsa_next_free_vgpr 38
		.amdhsa_next_free_sgpr 34
		.amdhsa_accum_offset 40
		.amdhsa_reserve_vcc 1
		.amdhsa_float_round_mode_32 0
		.amdhsa_float_round_mode_16_64 0
		.amdhsa_float_denorm_mode_32 3
		.amdhsa_float_denorm_mode_16_64 3
		.amdhsa_dx10_clamp 1
		.amdhsa_ieee_mode 1
		.amdhsa_fp16_overflow 0
		.amdhsa_tg_split 0
		.amdhsa_exception_fp_ieee_invalid_op 0
		.amdhsa_exception_fp_denorm_src 0
		.amdhsa_exception_fp_ieee_div_zero 0
		.amdhsa_exception_fp_ieee_overflow 0
		.amdhsa_exception_fp_ieee_underflow 0
		.amdhsa_exception_fp_ieee_inexact 0
		.amdhsa_exception_int_div_zero 0
	.end_amdhsa_kernel
	.section	.text._ZL13mul_mat_f_idsI7__half2Li32ELi13ELi1EEvPKT_PKfPKiS7_S7_Pfiiiiiiiiiiiiii15HIP_vector_typeIjLj3EESA_,"axG",@progbits,_ZL13mul_mat_f_idsI7__half2Li32ELi13ELi1EEvPKT_PKfPKiS7_S7_Pfiiiiiiiiiiiiii15HIP_vector_typeIjLj3EESA_,comdat
.Lfunc_end27:
	.size	_ZL13mul_mat_f_idsI7__half2Li32ELi13ELi1EEvPKT_PKfPKiS7_S7_Pfiiiiiiiiiiiiii15HIP_vector_typeIjLj3EESA_, .Lfunc_end27-_ZL13mul_mat_f_idsI7__half2Li32ELi13ELi1EEvPKT_PKfPKiS7_S7_Pfiiiiiiiiiiiiii15HIP_vector_typeIjLj3EESA_
                                        ; -- End function
	.set _ZL13mul_mat_f_idsI7__half2Li32ELi13ELi1EEvPKT_PKfPKiS7_S7_Pfiiiiiiiiiiiiii15HIP_vector_typeIjLj3EESA_.num_vgpr, max(3, .L_ZL14no_device_codePKciS0_iS0_.num_vgpr)
	.set _ZL13mul_mat_f_idsI7__half2Li32ELi13ELi1EEvPKT_PKfPKiS7_S7_Pfiiiiiiiiiiiiii15HIP_vector_typeIjLj3EESA_.num_agpr, max(0, .L_ZL14no_device_codePKciS0_iS0_.num_agpr)
	.set _ZL13mul_mat_f_idsI7__half2Li32ELi13ELi1EEvPKT_PKfPKiS7_S7_Pfiiiiiiiiiiiiii15HIP_vector_typeIjLj3EESA_.numbered_sgpr, max(33, .L_ZL14no_device_codePKciS0_iS0_.numbered_sgpr)
	.set _ZL13mul_mat_f_idsI7__half2Li32ELi13ELi1EEvPKT_PKfPKiS7_S7_Pfiiiiiiiiiiiiii15HIP_vector_typeIjLj3EESA_.num_named_barrier, max(0, .L_ZL14no_device_codePKciS0_iS0_.num_named_barrier)
	.set _ZL13mul_mat_f_idsI7__half2Li32ELi13ELi1EEvPKT_PKfPKiS7_S7_Pfiiiiiiiiiiiiii15HIP_vector_typeIjLj3EESA_.private_seg_size, 0+max(.L_ZL14no_device_codePKciS0_iS0_.private_seg_size)
	.set _ZL13mul_mat_f_idsI7__half2Li32ELi13ELi1EEvPKT_PKfPKiS7_S7_Pfiiiiiiiiiiiiii15HIP_vector_typeIjLj3EESA_.uses_vcc, or(1, .L_ZL14no_device_codePKciS0_iS0_.uses_vcc)
	.set _ZL13mul_mat_f_idsI7__half2Li32ELi13ELi1EEvPKT_PKfPKiS7_S7_Pfiiiiiiiiiiiiii15HIP_vector_typeIjLj3EESA_.uses_flat_scratch, or(0, .L_ZL14no_device_codePKciS0_iS0_.uses_flat_scratch)
	.set _ZL13mul_mat_f_idsI7__half2Li32ELi13ELi1EEvPKT_PKfPKiS7_S7_Pfiiiiiiiiiiiiii15HIP_vector_typeIjLj3EESA_.has_dyn_sized_stack, or(0, .L_ZL14no_device_codePKciS0_iS0_.has_dyn_sized_stack)
	.set _ZL13mul_mat_f_idsI7__half2Li32ELi13ELi1EEvPKT_PKfPKiS7_S7_Pfiiiiiiiiiiiiii15HIP_vector_typeIjLj3EESA_.has_recursion, or(0, .L_ZL14no_device_codePKciS0_iS0_.has_recursion)
	.set _ZL13mul_mat_f_idsI7__half2Li32ELi13ELi1EEvPKT_PKfPKiS7_S7_Pfiiiiiiiiiiiiii15HIP_vector_typeIjLj3EESA_.has_indirect_call, or(0, .L_ZL14no_device_codePKciS0_iS0_.has_indirect_call)
	.section	.AMDGPU.csdata,"",@progbits
; Kernel info:
; codeLenInByte = 76
; TotalNumSgprs: 40
; NumVgprs: 38
; NumAgprs: 0
; TotalNumVgprs: 38
; ScratchSize: 16
; MemoryBound: 0
; FloatMode: 240
; IeeeMode: 1
; LDSByteSize: 0 bytes/workgroup (compile time only)
; SGPRBlocks: 4
; VGPRBlocks: 4
; NumSGPRsForWavesPerEU: 40
; NumVGPRsForWavesPerEU: 38
; AccumOffset: 40
; Occupancy: 8
; WaveLimiterHint : 1
; COMPUTE_PGM_RSRC2:SCRATCH_EN: 1
; COMPUTE_PGM_RSRC2:USER_SGPR: 2
; COMPUTE_PGM_RSRC2:TRAP_HANDLER: 0
; COMPUTE_PGM_RSRC2:TGID_X_EN: 1
; COMPUTE_PGM_RSRC2:TGID_Y_EN: 0
; COMPUTE_PGM_RSRC2:TGID_Z_EN: 0
; COMPUTE_PGM_RSRC2:TIDIG_COMP_CNT: 0
; COMPUTE_PGM_RSRC3_GFX90A:ACCUM_OFFSET: 9
; COMPUTE_PGM_RSRC3_GFX90A:TG_SPLIT: 0
	.section	.text._ZL9mul_mat_fI7__half2Li32ELi13ELi1ELb1EEvPKT_PKfPKiPfiiiiiiiiiiiiiiii,"axG",@progbits,_ZL9mul_mat_fI7__half2Li32ELi13ELi1ELb1EEvPKT_PKfPKiPfiiiiiiiiiiiiiiii,comdat
	.globl	_ZL9mul_mat_fI7__half2Li32ELi13ELi1ELb1EEvPKT_PKfPKiPfiiiiiiiiiiiiiiii ; -- Begin function _ZL9mul_mat_fI7__half2Li32ELi13ELi1ELb1EEvPKT_PKfPKiPfiiiiiiiiiiiiiiii
	.p2align	8
	.type	_ZL9mul_mat_fI7__half2Li32ELi13ELi1ELb1EEvPKT_PKfPKiPfiiiiiiiiiiiiiiii,@function
_ZL9mul_mat_fI7__half2Li32ELi13ELi1ELb1EEvPKT_PKfPKiPfiiiiiiiiiiiiiiii: ; @_ZL9mul_mat_fI7__half2Li32ELi13ELi1ELb1EEvPKT_PKfPKiPfiiiiiiiiiiiiiiii
; %bb.0:
	s_add_u32 s8, s0, 0x60
	s_addc_u32 s9, s1, 0
	s_getpc_b64 s[0:1]
	s_add_u32 s0, s0, __FUNCTION__._ZL9mul_mat_fIfLi32ELi13ELi1ELb1EEvPKT_PKfPKiPfiiiiiiiiiiiiiiii@rel32@lo+4
	s_addc_u32 s1, s1, __FUNCTION__._ZL9mul_mat_fIfLi32ELi13ELi1ELb1EEvPKT_PKfPKiPfiiiiiiiiiiiiiiii@rel32@hi+12
	s_getpc_b64 s[2:3]
	s_add_u32 s2, s2, _ZL14no_device_codePKciS0_iS0_@rel32@lo+4
	s_addc_u32 s3, s3, _ZL14no_device_codePKciS0_iS0_@rel32@hi+12
	v_mov_b32_e32 v0, 64
	v_mov_b32_e32 v1, s0
	;; [unrolled: 1-line block ×3, first 2 shown]
	s_mov_b32 s32, 0
	s_swappc_b64 s[30:31], s[2:3]
	.section	.rodata,"a",@progbits
	.p2align	6, 0x0
	.amdhsa_kernel _ZL9mul_mat_fI7__half2Li32ELi13ELi1ELb1EEvPKT_PKfPKiPfiiiiiiiiiiiiiiii
		.amdhsa_group_segment_fixed_size 0
		.amdhsa_private_segment_fixed_size 16
		.amdhsa_kernarg_size 352
		.amdhsa_user_sgpr_count 2
		.amdhsa_user_sgpr_dispatch_ptr 0
		.amdhsa_user_sgpr_queue_ptr 0
		.amdhsa_user_sgpr_kernarg_segment_ptr 1
		.amdhsa_user_sgpr_dispatch_id 0
		.amdhsa_user_sgpr_kernarg_preload_length 0
		.amdhsa_user_sgpr_kernarg_preload_offset 0
		.amdhsa_user_sgpr_private_segment_size 0
		.amdhsa_uses_dynamic_stack 0
		.amdhsa_enable_private_segment 1
		.amdhsa_system_sgpr_workgroup_id_x 1
		.amdhsa_system_sgpr_workgroup_id_y 0
		.amdhsa_system_sgpr_workgroup_id_z 0
		.amdhsa_system_sgpr_workgroup_info 0
		.amdhsa_system_vgpr_workitem_id 0
		.amdhsa_next_free_vgpr 38
		.amdhsa_next_free_sgpr 34
		.amdhsa_accum_offset 40
		.amdhsa_reserve_vcc 1
		.amdhsa_float_round_mode_32 0
		.amdhsa_float_round_mode_16_64 0
		.amdhsa_float_denorm_mode_32 3
		.amdhsa_float_denorm_mode_16_64 3
		.amdhsa_dx10_clamp 1
		.amdhsa_ieee_mode 1
		.amdhsa_fp16_overflow 0
		.amdhsa_tg_split 0
		.amdhsa_exception_fp_ieee_invalid_op 0
		.amdhsa_exception_fp_denorm_src 0
		.amdhsa_exception_fp_ieee_div_zero 0
		.amdhsa_exception_fp_ieee_overflow 0
		.amdhsa_exception_fp_ieee_underflow 0
		.amdhsa_exception_fp_ieee_inexact 0
		.amdhsa_exception_int_div_zero 0
	.end_amdhsa_kernel
	.section	.text._ZL9mul_mat_fI7__half2Li32ELi13ELi1ELb1EEvPKT_PKfPKiPfiiiiiiiiiiiiiiii,"axG",@progbits,_ZL9mul_mat_fI7__half2Li32ELi13ELi1ELb1EEvPKT_PKfPKiPfiiiiiiiiiiiiiiii,comdat
.Lfunc_end28:
	.size	_ZL9mul_mat_fI7__half2Li32ELi13ELi1ELb1EEvPKT_PKfPKiPfiiiiiiiiiiiiiiii, .Lfunc_end28-_ZL9mul_mat_fI7__half2Li32ELi13ELi1ELb1EEvPKT_PKfPKiPfiiiiiiiiiiiiiiii
                                        ; -- End function
	.set _ZL9mul_mat_fI7__half2Li32ELi13ELi1ELb1EEvPKT_PKfPKiPfiiiiiiiiiiiiiiii.num_vgpr, max(3, .L_ZL14no_device_codePKciS0_iS0_.num_vgpr)
	.set _ZL9mul_mat_fI7__half2Li32ELi13ELi1ELb1EEvPKT_PKfPKiPfiiiiiiiiiiiiiiii.num_agpr, max(0, .L_ZL14no_device_codePKciS0_iS0_.num_agpr)
	.set _ZL9mul_mat_fI7__half2Li32ELi13ELi1ELb1EEvPKT_PKfPKiPfiiiiiiiiiiiiiiii.numbered_sgpr, max(33, .L_ZL14no_device_codePKciS0_iS0_.numbered_sgpr)
	.set _ZL9mul_mat_fI7__half2Li32ELi13ELi1ELb1EEvPKT_PKfPKiPfiiiiiiiiiiiiiiii.num_named_barrier, max(0, .L_ZL14no_device_codePKciS0_iS0_.num_named_barrier)
	.set _ZL9mul_mat_fI7__half2Li32ELi13ELi1ELb1EEvPKT_PKfPKiPfiiiiiiiiiiiiiiii.private_seg_size, 0+max(.L_ZL14no_device_codePKciS0_iS0_.private_seg_size)
	.set _ZL9mul_mat_fI7__half2Li32ELi13ELi1ELb1EEvPKT_PKfPKiPfiiiiiiiiiiiiiiii.uses_vcc, or(1, .L_ZL14no_device_codePKciS0_iS0_.uses_vcc)
	.set _ZL9mul_mat_fI7__half2Li32ELi13ELi1ELb1EEvPKT_PKfPKiPfiiiiiiiiiiiiiiii.uses_flat_scratch, or(0, .L_ZL14no_device_codePKciS0_iS0_.uses_flat_scratch)
	.set _ZL9mul_mat_fI7__half2Li32ELi13ELi1ELb1EEvPKT_PKfPKiPfiiiiiiiiiiiiiiii.has_dyn_sized_stack, or(0, .L_ZL14no_device_codePKciS0_iS0_.has_dyn_sized_stack)
	.set _ZL9mul_mat_fI7__half2Li32ELi13ELi1ELb1EEvPKT_PKfPKiPfiiiiiiiiiiiiiiii.has_recursion, or(0, .L_ZL14no_device_codePKciS0_iS0_.has_recursion)
	.set _ZL9mul_mat_fI7__half2Li32ELi13ELi1ELb1EEvPKT_PKfPKiPfiiiiiiiiiiiiiiii.has_indirect_call, or(0, .L_ZL14no_device_codePKciS0_iS0_.has_indirect_call)
	.section	.AMDGPU.csdata,"",@progbits
; Kernel info:
; codeLenInByte = 72
; TotalNumSgprs: 40
; NumVgprs: 38
; NumAgprs: 0
; TotalNumVgprs: 38
; ScratchSize: 16
; MemoryBound: 0
; FloatMode: 240
; IeeeMode: 1
; LDSByteSize: 0 bytes/workgroup (compile time only)
; SGPRBlocks: 4
; VGPRBlocks: 4
; NumSGPRsForWavesPerEU: 40
; NumVGPRsForWavesPerEU: 38
; AccumOffset: 40
; Occupancy: 8
; WaveLimiterHint : 1
; COMPUTE_PGM_RSRC2:SCRATCH_EN: 1
; COMPUTE_PGM_RSRC2:USER_SGPR: 2
; COMPUTE_PGM_RSRC2:TRAP_HANDLER: 0
; COMPUTE_PGM_RSRC2:TGID_X_EN: 1
; COMPUTE_PGM_RSRC2:TGID_Y_EN: 0
; COMPUTE_PGM_RSRC2:TGID_Z_EN: 0
; COMPUTE_PGM_RSRC2:TIDIG_COMP_CNT: 0
; COMPUTE_PGM_RSRC3_GFX90A:ACCUM_OFFSET: 9
; COMPUTE_PGM_RSRC3_GFX90A:TG_SPLIT: 0
	.section	.text._ZL9mul_mat_fI7__half2Li32ELi13ELi1ELb0EEvPKT_PKfPKiPfiiiiiiiiiiiiiiii,"axG",@progbits,_ZL9mul_mat_fI7__half2Li32ELi13ELi1ELb0EEvPKT_PKfPKiPfiiiiiiiiiiiiiiii,comdat
	.globl	_ZL9mul_mat_fI7__half2Li32ELi13ELi1ELb0EEvPKT_PKfPKiPfiiiiiiiiiiiiiiii ; -- Begin function _ZL9mul_mat_fI7__half2Li32ELi13ELi1ELb0EEvPKT_PKfPKiPfiiiiiiiiiiiiiiii
	.p2align	8
	.type	_ZL9mul_mat_fI7__half2Li32ELi13ELi1ELb0EEvPKT_PKfPKiPfiiiiiiiiiiiiiiii,@function
_ZL9mul_mat_fI7__half2Li32ELi13ELi1ELb0EEvPKT_PKfPKiPfiiiiiiiiiiiiiiii: ; @_ZL9mul_mat_fI7__half2Li32ELi13ELi1ELb0EEvPKT_PKfPKiPfiiiiiiiiiiiiiiii
; %bb.0:
	s_add_u32 s8, s0, 0x60
	s_addc_u32 s9, s1, 0
	s_getpc_b64 s[0:1]
	s_add_u32 s0, s0, __FUNCTION__._ZL9mul_mat_fIfLi32ELi13ELi1ELb1EEvPKT_PKfPKiPfiiiiiiiiiiiiiiii@rel32@lo+4
	s_addc_u32 s1, s1, __FUNCTION__._ZL9mul_mat_fIfLi32ELi13ELi1ELb1EEvPKT_PKfPKiPfiiiiiiiiiiiiiiii@rel32@hi+12
	s_getpc_b64 s[2:3]
	s_add_u32 s2, s2, _ZL14no_device_codePKciS0_iS0_@rel32@lo+4
	s_addc_u32 s3, s3, _ZL14no_device_codePKciS0_iS0_@rel32@hi+12
	v_mov_b32_e32 v0, 64
	v_mov_b32_e32 v1, s0
	;; [unrolled: 1-line block ×3, first 2 shown]
	s_mov_b32 s32, 0
	s_swappc_b64 s[30:31], s[2:3]
	.section	.rodata,"a",@progbits
	.p2align	6, 0x0
	.amdhsa_kernel _ZL9mul_mat_fI7__half2Li32ELi13ELi1ELb0EEvPKT_PKfPKiPfiiiiiiiiiiiiiiii
		.amdhsa_group_segment_fixed_size 0
		.amdhsa_private_segment_fixed_size 16
		.amdhsa_kernarg_size 352
		.amdhsa_user_sgpr_count 2
		.amdhsa_user_sgpr_dispatch_ptr 0
		.amdhsa_user_sgpr_queue_ptr 0
		.amdhsa_user_sgpr_kernarg_segment_ptr 1
		.amdhsa_user_sgpr_dispatch_id 0
		.amdhsa_user_sgpr_kernarg_preload_length 0
		.amdhsa_user_sgpr_kernarg_preload_offset 0
		.amdhsa_user_sgpr_private_segment_size 0
		.amdhsa_uses_dynamic_stack 0
		.amdhsa_enable_private_segment 1
		.amdhsa_system_sgpr_workgroup_id_x 1
		.amdhsa_system_sgpr_workgroup_id_y 0
		.amdhsa_system_sgpr_workgroup_id_z 0
		.amdhsa_system_sgpr_workgroup_info 0
		.amdhsa_system_vgpr_workitem_id 0
		.amdhsa_next_free_vgpr 38
		.amdhsa_next_free_sgpr 34
		.amdhsa_accum_offset 40
		.amdhsa_reserve_vcc 1
		.amdhsa_float_round_mode_32 0
		.amdhsa_float_round_mode_16_64 0
		.amdhsa_float_denorm_mode_32 3
		.amdhsa_float_denorm_mode_16_64 3
		.amdhsa_dx10_clamp 1
		.amdhsa_ieee_mode 1
		.amdhsa_fp16_overflow 0
		.amdhsa_tg_split 0
		.amdhsa_exception_fp_ieee_invalid_op 0
		.amdhsa_exception_fp_denorm_src 0
		.amdhsa_exception_fp_ieee_div_zero 0
		.amdhsa_exception_fp_ieee_overflow 0
		.amdhsa_exception_fp_ieee_underflow 0
		.amdhsa_exception_fp_ieee_inexact 0
		.amdhsa_exception_int_div_zero 0
	.end_amdhsa_kernel
	.section	.text._ZL9mul_mat_fI7__half2Li32ELi13ELi1ELb0EEvPKT_PKfPKiPfiiiiiiiiiiiiiiii,"axG",@progbits,_ZL9mul_mat_fI7__half2Li32ELi13ELi1ELb0EEvPKT_PKfPKiPfiiiiiiiiiiiiiiii,comdat
.Lfunc_end29:
	.size	_ZL9mul_mat_fI7__half2Li32ELi13ELi1ELb0EEvPKT_PKfPKiPfiiiiiiiiiiiiiiii, .Lfunc_end29-_ZL9mul_mat_fI7__half2Li32ELi13ELi1ELb0EEvPKT_PKfPKiPfiiiiiiiiiiiiiiii
                                        ; -- End function
	.set _ZL9mul_mat_fI7__half2Li32ELi13ELi1ELb0EEvPKT_PKfPKiPfiiiiiiiiiiiiiiii.num_vgpr, max(3, .L_ZL14no_device_codePKciS0_iS0_.num_vgpr)
	.set _ZL9mul_mat_fI7__half2Li32ELi13ELi1ELb0EEvPKT_PKfPKiPfiiiiiiiiiiiiiiii.num_agpr, max(0, .L_ZL14no_device_codePKciS0_iS0_.num_agpr)
	.set _ZL9mul_mat_fI7__half2Li32ELi13ELi1ELb0EEvPKT_PKfPKiPfiiiiiiiiiiiiiiii.numbered_sgpr, max(33, .L_ZL14no_device_codePKciS0_iS0_.numbered_sgpr)
	.set _ZL9mul_mat_fI7__half2Li32ELi13ELi1ELb0EEvPKT_PKfPKiPfiiiiiiiiiiiiiiii.num_named_barrier, max(0, .L_ZL14no_device_codePKciS0_iS0_.num_named_barrier)
	.set _ZL9mul_mat_fI7__half2Li32ELi13ELi1ELb0EEvPKT_PKfPKiPfiiiiiiiiiiiiiiii.private_seg_size, 0+max(.L_ZL14no_device_codePKciS0_iS0_.private_seg_size)
	.set _ZL9mul_mat_fI7__half2Li32ELi13ELi1ELb0EEvPKT_PKfPKiPfiiiiiiiiiiiiiiii.uses_vcc, or(1, .L_ZL14no_device_codePKciS0_iS0_.uses_vcc)
	.set _ZL9mul_mat_fI7__half2Li32ELi13ELi1ELb0EEvPKT_PKfPKiPfiiiiiiiiiiiiiiii.uses_flat_scratch, or(0, .L_ZL14no_device_codePKciS0_iS0_.uses_flat_scratch)
	.set _ZL9mul_mat_fI7__half2Li32ELi13ELi1ELb0EEvPKT_PKfPKiPfiiiiiiiiiiiiiiii.has_dyn_sized_stack, or(0, .L_ZL14no_device_codePKciS0_iS0_.has_dyn_sized_stack)
	.set _ZL9mul_mat_fI7__half2Li32ELi13ELi1ELb0EEvPKT_PKfPKiPfiiiiiiiiiiiiiiii.has_recursion, or(0, .L_ZL14no_device_codePKciS0_iS0_.has_recursion)
	.set _ZL9mul_mat_fI7__half2Li32ELi13ELi1ELb0EEvPKT_PKfPKiPfiiiiiiiiiiiiiiii.has_indirect_call, or(0, .L_ZL14no_device_codePKciS0_iS0_.has_indirect_call)
	.section	.AMDGPU.csdata,"",@progbits
; Kernel info:
; codeLenInByte = 72
; TotalNumSgprs: 40
; NumVgprs: 38
; NumAgprs: 0
; TotalNumVgprs: 38
; ScratchSize: 16
; MemoryBound: 0
; FloatMode: 240
; IeeeMode: 1
; LDSByteSize: 0 bytes/workgroup (compile time only)
; SGPRBlocks: 4
; VGPRBlocks: 4
; NumSGPRsForWavesPerEU: 40
; NumVGPRsForWavesPerEU: 38
; AccumOffset: 40
; Occupancy: 8
; WaveLimiterHint : 1
; COMPUTE_PGM_RSRC2:SCRATCH_EN: 1
; COMPUTE_PGM_RSRC2:USER_SGPR: 2
; COMPUTE_PGM_RSRC2:TRAP_HANDLER: 0
; COMPUTE_PGM_RSRC2:TGID_X_EN: 1
; COMPUTE_PGM_RSRC2:TGID_Y_EN: 0
; COMPUTE_PGM_RSRC2:TGID_Z_EN: 0
; COMPUTE_PGM_RSRC2:TIDIG_COMP_CNT: 0
; COMPUTE_PGM_RSRC3_GFX90A:ACCUM_OFFSET: 9
; COMPUTE_PGM_RSRC3_GFX90A:TG_SPLIT: 0
	.section	.text._ZL13mul_mat_f_idsI7__half2Li32ELi13ELi2EEvPKT_PKfPKiS7_S7_Pfiiiiiiiiiiiiii15HIP_vector_typeIjLj3EESA_,"axG",@progbits,_ZL13mul_mat_f_idsI7__half2Li32ELi13ELi2EEvPKT_PKfPKiS7_S7_Pfiiiiiiiiiiiiii15HIP_vector_typeIjLj3EESA_,comdat
	.globl	_ZL13mul_mat_f_idsI7__half2Li32ELi13ELi2EEvPKT_PKfPKiS7_S7_Pfiiiiiiiiiiiiii15HIP_vector_typeIjLj3EESA_ ; -- Begin function _ZL13mul_mat_f_idsI7__half2Li32ELi13ELi2EEvPKT_PKfPKiS7_S7_Pfiiiiiiiiiiiiii15HIP_vector_typeIjLj3EESA_
	.p2align	8
	.type	_ZL13mul_mat_f_idsI7__half2Li32ELi13ELi2EEvPKT_PKfPKiS7_S7_Pfiiiiiiiiiiiiii15HIP_vector_typeIjLj3EESA_,@function
_ZL13mul_mat_f_idsI7__half2Li32ELi13ELi2EEvPKT_PKfPKiS7_S7_Pfiiiiiiiiiiiiii15HIP_vector_typeIjLj3EESA_: ; @_ZL13mul_mat_f_idsI7__half2Li32ELi13ELi2EEvPKT_PKfPKiS7_S7_Pfiiiiiiiiiiiiii15HIP_vector_typeIjLj3EESA_
; %bb.0:
	s_add_u32 s8, s0, 0x80
	s_addc_u32 s9, s1, 0
	s_getpc_b64 s[0:1]
	s_add_u32 s0, s0, __FUNCTION__._ZL13mul_mat_f_idsIfLi32ELi13ELi1EEvPKT_PKfPKiS6_S6_Pfiiiiiiiiiiiiii15HIP_vector_typeIjLj3EES9_@rel32@lo+4
	s_addc_u32 s1, s1, __FUNCTION__._ZL13mul_mat_f_idsIfLi32ELi13ELi1EEvPKT_PKfPKiS6_S6_Pfiiiiiiiiiiiiii15HIP_vector_typeIjLj3EES9_@rel32@hi+12
	s_getpc_b64 s[2:3]
	s_add_u32 s2, s2, _ZL14no_device_codePKciS0_iS0_@rel32@lo+4
	s_addc_u32 s3, s3, _ZL14no_device_codePKciS0_iS0_@rel32@hi+12
	v_mov_b32_e32 v0, 0x13b
	v_mov_b32_e32 v1, s0
	v_mov_b32_e32 v2, s1
	s_mov_b32 s32, 0
	s_swappc_b64 s[30:31], s[2:3]
	.section	.rodata,"a",@progbits
	.p2align	6, 0x0
	.amdhsa_kernel _ZL13mul_mat_f_idsI7__half2Li32ELi13ELi2EEvPKT_PKfPKiS7_S7_Pfiiiiiiiiiiiiii15HIP_vector_typeIjLj3EESA_
		.amdhsa_group_segment_fixed_size 0
		.amdhsa_private_segment_fixed_size 16
		.amdhsa_kernarg_size 384
		.amdhsa_user_sgpr_count 2
		.amdhsa_user_sgpr_dispatch_ptr 0
		.amdhsa_user_sgpr_queue_ptr 0
		.amdhsa_user_sgpr_kernarg_segment_ptr 1
		.amdhsa_user_sgpr_dispatch_id 0
		.amdhsa_user_sgpr_kernarg_preload_length 0
		.amdhsa_user_sgpr_kernarg_preload_offset 0
		.amdhsa_user_sgpr_private_segment_size 0
		.amdhsa_uses_dynamic_stack 0
		.amdhsa_enable_private_segment 1
		.amdhsa_system_sgpr_workgroup_id_x 1
		.amdhsa_system_sgpr_workgroup_id_y 0
		.amdhsa_system_sgpr_workgroup_id_z 0
		.amdhsa_system_sgpr_workgroup_info 0
		.amdhsa_system_vgpr_workitem_id 0
		.amdhsa_next_free_vgpr 38
		.amdhsa_next_free_sgpr 34
		.amdhsa_accum_offset 40
		.amdhsa_reserve_vcc 1
		.amdhsa_float_round_mode_32 0
		.amdhsa_float_round_mode_16_64 0
		.amdhsa_float_denorm_mode_32 3
		.amdhsa_float_denorm_mode_16_64 3
		.amdhsa_dx10_clamp 1
		.amdhsa_ieee_mode 1
		.amdhsa_fp16_overflow 0
		.amdhsa_tg_split 0
		.amdhsa_exception_fp_ieee_invalid_op 0
		.amdhsa_exception_fp_denorm_src 0
		.amdhsa_exception_fp_ieee_div_zero 0
		.amdhsa_exception_fp_ieee_overflow 0
		.amdhsa_exception_fp_ieee_underflow 0
		.amdhsa_exception_fp_ieee_inexact 0
		.amdhsa_exception_int_div_zero 0
	.end_amdhsa_kernel
	.section	.text._ZL13mul_mat_f_idsI7__half2Li32ELi13ELi2EEvPKT_PKfPKiS7_S7_Pfiiiiiiiiiiiiii15HIP_vector_typeIjLj3EESA_,"axG",@progbits,_ZL13mul_mat_f_idsI7__half2Li32ELi13ELi2EEvPKT_PKfPKiS7_S7_Pfiiiiiiiiiiiiii15HIP_vector_typeIjLj3EESA_,comdat
.Lfunc_end30:
	.size	_ZL13mul_mat_f_idsI7__half2Li32ELi13ELi2EEvPKT_PKfPKiS7_S7_Pfiiiiiiiiiiiiii15HIP_vector_typeIjLj3EESA_, .Lfunc_end30-_ZL13mul_mat_f_idsI7__half2Li32ELi13ELi2EEvPKT_PKfPKiS7_S7_Pfiiiiiiiiiiiiii15HIP_vector_typeIjLj3EESA_
                                        ; -- End function
	.set _ZL13mul_mat_f_idsI7__half2Li32ELi13ELi2EEvPKT_PKfPKiS7_S7_Pfiiiiiiiiiiiiii15HIP_vector_typeIjLj3EESA_.num_vgpr, max(3, .L_ZL14no_device_codePKciS0_iS0_.num_vgpr)
	.set _ZL13mul_mat_f_idsI7__half2Li32ELi13ELi2EEvPKT_PKfPKiS7_S7_Pfiiiiiiiiiiiiii15HIP_vector_typeIjLj3EESA_.num_agpr, max(0, .L_ZL14no_device_codePKciS0_iS0_.num_agpr)
	.set _ZL13mul_mat_f_idsI7__half2Li32ELi13ELi2EEvPKT_PKfPKiS7_S7_Pfiiiiiiiiiiiiii15HIP_vector_typeIjLj3EESA_.numbered_sgpr, max(33, .L_ZL14no_device_codePKciS0_iS0_.numbered_sgpr)
	.set _ZL13mul_mat_f_idsI7__half2Li32ELi13ELi2EEvPKT_PKfPKiS7_S7_Pfiiiiiiiiiiiiii15HIP_vector_typeIjLj3EESA_.num_named_barrier, max(0, .L_ZL14no_device_codePKciS0_iS0_.num_named_barrier)
	.set _ZL13mul_mat_f_idsI7__half2Li32ELi13ELi2EEvPKT_PKfPKiS7_S7_Pfiiiiiiiiiiiiii15HIP_vector_typeIjLj3EESA_.private_seg_size, 0+max(.L_ZL14no_device_codePKciS0_iS0_.private_seg_size)
	.set _ZL13mul_mat_f_idsI7__half2Li32ELi13ELi2EEvPKT_PKfPKiS7_S7_Pfiiiiiiiiiiiiii15HIP_vector_typeIjLj3EESA_.uses_vcc, or(1, .L_ZL14no_device_codePKciS0_iS0_.uses_vcc)
	.set _ZL13mul_mat_f_idsI7__half2Li32ELi13ELi2EEvPKT_PKfPKiS7_S7_Pfiiiiiiiiiiiiii15HIP_vector_typeIjLj3EESA_.uses_flat_scratch, or(0, .L_ZL14no_device_codePKciS0_iS0_.uses_flat_scratch)
	.set _ZL13mul_mat_f_idsI7__half2Li32ELi13ELi2EEvPKT_PKfPKiS7_S7_Pfiiiiiiiiiiiiii15HIP_vector_typeIjLj3EESA_.has_dyn_sized_stack, or(0, .L_ZL14no_device_codePKciS0_iS0_.has_dyn_sized_stack)
	.set _ZL13mul_mat_f_idsI7__half2Li32ELi13ELi2EEvPKT_PKfPKiS7_S7_Pfiiiiiiiiiiiiii15HIP_vector_typeIjLj3EESA_.has_recursion, or(0, .L_ZL14no_device_codePKciS0_iS0_.has_recursion)
	.set _ZL13mul_mat_f_idsI7__half2Li32ELi13ELi2EEvPKT_PKfPKiS7_S7_Pfiiiiiiiiiiiiii15HIP_vector_typeIjLj3EESA_.has_indirect_call, or(0, .L_ZL14no_device_codePKciS0_iS0_.has_indirect_call)
	.section	.AMDGPU.csdata,"",@progbits
; Kernel info:
; codeLenInByte = 76
; TotalNumSgprs: 40
; NumVgprs: 38
; NumAgprs: 0
; TotalNumVgprs: 38
; ScratchSize: 16
; MemoryBound: 0
; FloatMode: 240
; IeeeMode: 1
; LDSByteSize: 0 bytes/workgroup (compile time only)
; SGPRBlocks: 4
; VGPRBlocks: 4
; NumSGPRsForWavesPerEU: 40
; NumVGPRsForWavesPerEU: 38
; AccumOffset: 40
; Occupancy: 8
; WaveLimiterHint : 1
; COMPUTE_PGM_RSRC2:SCRATCH_EN: 1
; COMPUTE_PGM_RSRC2:USER_SGPR: 2
; COMPUTE_PGM_RSRC2:TRAP_HANDLER: 0
; COMPUTE_PGM_RSRC2:TGID_X_EN: 1
; COMPUTE_PGM_RSRC2:TGID_Y_EN: 0
; COMPUTE_PGM_RSRC2:TGID_Z_EN: 0
; COMPUTE_PGM_RSRC2:TIDIG_COMP_CNT: 0
; COMPUTE_PGM_RSRC3_GFX90A:ACCUM_OFFSET: 9
; COMPUTE_PGM_RSRC3_GFX90A:TG_SPLIT: 0
	.section	.text._ZL9mul_mat_fI7__half2Li32ELi13ELi2ELb1EEvPKT_PKfPKiPfiiiiiiiiiiiiiiii,"axG",@progbits,_ZL9mul_mat_fI7__half2Li32ELi13ELi2ELb1EEvPKT_PKfPKiPfiiiiiiiiiiiiiiii,comdat
	.globl	_ZL9mul_mat_fI7__half2Li32ELi13ELi2ELb1EEvPKT_PKfPKiPfiiiiiiiiiiiiiiii ; -- Begin function _ZL9mul_mat_fI7__half2Li32ELi13ELi2ELb1EEvPKT_PKfPKiPfiiiiiiiiiiiiiiii
	.p2align	8
	.type	_ZL9mul_mat_fI7__half2Li32ELi13ELi2ELb1EEvPKT_PKfPKiPfiiiiiiiiiiiiiiii,@function
_ZL9mul_mat_fI7__half2Li32ELi13ELi2ELb1EEvPKT_PKfPKiPfiiiiiiiiiiiiiiii: ; @_ZL9mul_mat_fI7__half2Li32ELi13ELi2ELb1EEvPKT_PKfPKiPfiiiiiiiiiiiiiiii
; %bb.0:
	s_add_u32 s8, s0, 0x60
	s_addc_u32 s9, s1, 0
	s_getpc_b64 s[0:1]
	s_add_u32 s0, s0, __FUNCTION__._ZL9mul_mat_fIfLi32ELi13ELi1ELb1EEvPKT_PKfPKiPfiiiiiiiiiiiiiiii@rel32@lo+4
	s_addc_u32 s1, s1, __FUNCTION__._ZL9mul_mat_fIfLi32ELi13ELi1ELb1EEvPKT_PKfPKiPfiiiiiiiiiiiiiiii@rel32@hi+12
	s_getpc_b64 s[2:3]
	s_add_u32 s2, s2, _ZL14no_device_codePKciS0_iS0_@rel32@lo+4
	s_addc_u32 s3, s3, _ZL14no_device_codePKciS0_iS0_@rel32@hi+12
	v_mov_b32_e32 v0, 64
	v_mov_b32_e32 v1, s0
	;; [unrolled: 1-line block ×3, first 2 shown]
	s_mov_b32 s32, 0
	s_swappc_b64 s[30:31], s[2:3]
	.section	.rodata,"a",@progbits
	.p2align	6, 0x0
	.amdhsa_kernel _ZL9mul_mat_fI7__half2Li32ELi13ELi2ELb1EEvPKT_PKfPKiPfiiiiiiiiiiiiiiii
		.amdhsa_group_segment_fixed_size 0
		.amdhsa_private_segment_fixed_size 16
		.amdhsa_kernarg_size 352
		.amdhsa_user_sgpr_count 2
		.amdhsa_user_sgpr_dispatch_ptr 0
		.amdhsa_user_sgpr_queue_ptr 0
		.amdhsa_user_sgpr_kernarg_segment_ptr 1
		.amdhsa_user_sgpr_dispatch_id 0
		.amdhsa_user_sgpr_kernarg_preload_length 0
		.amdhsa_user_sgpr_kernarg_preload_offset 0
		.amdhsa_user_sgpr_private_segment_size 0
		.amdhsa_uses_dynamic_stack 0
		.amdhsa_enable_private_segment 1
		.amdhsa_system_sgpr_workgroup_id_x 1
		.amdhsa_system_sgpr_workgroup_id_y 0
		.amdhsa_system_sgpr_workgroup_id_z 0
		.amdhsa_system_sgpr_workgroup_info 0
		.amdhsa_system_vgpr_workitem_id 0
		.amdhsa_next_free_vgpr 38
		.amdhsa_next_free_sgpr 34
		.amdhsa_accum_offset 40
		.amdhsa_reserve_vcc 1
		.amdhsa_float_round_mode_32 0
		.amdhsa_float_round_mode_16_64 0
		.amdhsa_float_denorm_mode_32 3
		.amdhsa_float_denorm_mode_16_64 3
		.amdhsa_dx10_clamp 1
		.amdhsa_ieee_mode 1
		.amdhsa_fp16_overflow 0
		.amdhsa_tg_split 0
		.amdhsa_exception_fp_ieee_invalid_op 0
		.amdhsa_exception_fp_denorm_src 0
		.amdhsa_exception_fp_ieee_div_zero 0
		.amdhsa_exception_fp_ieee_overflow 0
		.amdhsa_exception_fp_ieee_underflow 0
		.amdhsa_exception_fp_ieee_inexact 0
		.amdhsa_exception_int_div_zero 0
	.end_amdhsa_kernel
	.section	.text._ZL9mul_mat_fI7__half2Li32ELi13ELi2ELb1EEvPKT_PKfPKiPfiiiiiiiiiiiiiiii,"axG",@progbits,_ZL9mul_mat_fI7__half2Li32ELi13ELi2ELb1EEvPKT_PKfPKiPfiiiiiiiiiiiiiiii,comdat
.Lfunc_end31:
	.size	_ZL9mul_mat_fI7__half2Li32ELi13ELi2ELb1EEvPKT_PKfPKiPfiiiiiiiiiiiiiiii, .Lfunc_end31-_ZL9mul_mat_fI7__half2Li32ELi13ELi2ELb1EEvPKT_PKfPKiPfiiiiiiiiiiiiiiii
                                        ; -- End function
	.set _ZL9mul_mat_fI7__half2Li32ELi13ELi2ELb1EEvPKT_PKfPKiPfiiiiiiiiiiiiiiii.num_vgpr, max(3, .L_ZL14no_device_codePKciS0_iS0_.num_vgpr)
	.set _ZL9mul_mat_fI7__half2Li32ELi13ELi2ELb1EEvPKT_PKfPKiPfiiiiiiiiiiiiiiii.num_agpr, max(0, .L_ZL14no_device_codePKciS0_iS0_.num_agpr)
	.set _ZL9mul_mat_fI7__half2Li32ELi13ELi2ELb1EEvPKT_PKfPKiPfiiiiiiiiiiiiiiii.numbered_sgpr, max(33, .L_ZL14no_device_codePKciS0_iS0_.numbered_sgpr)
	.set _ZL9mul_mat_fI7__half2Li32ELi13ELi2ELb1EEvPKT_PKfPKiPfiiiiiiiiiiiiiiii.num_named_barrier, max(0, .L_ZL14no_device_codePKciS0_iS0_.num_named_barrier)
	.set _ZL9mul_mat_fI7__half2Li32ELi13ELi2ELb1EEvPKT_PKfPKiPfiiiiiiiiiiiiiiii.private_seg_size, 0+max(.L_ZL14no_device_codePKciS0_iS0_.private_seg_size)
	.set _ZL9mul_mat_fI7__half2Li32ELi13ELi2ELb1EEvPKT_PKfPKiPfiiiiiiiiiiiiiiii.uses_vcc, or(1, .L_ZL14no_device_codePKciS0_iS0_.uses_vcc)
	.set _ZL9mul_mat_fI7__half2Li32ELi13ELi2ELb1EEvPKT_PKfPKiPfiiiiiiiiiiiiiiii.uses_flat_scratch, or(0, .L_ZL14no_device_codePKciS0_iS0_.uses_flat_scratch)
	.set _ZL9mul_mat_fI7__half2Li32ELi13ELi2ELb1EEvPKT_PKfPKiPfiiiiiiiiiiiiiiii.has_dyn_sized_stack, or(0, .L_ZL14no_device_codePKciS0_iS0_.has_dyn_sized_stack)
	.set _ZL9mul_mat_fI7__half2Li32ELi13ELi2ELb1EEvPKT_PKfPKiPfiiiiiiiiiiiiiiii.has_recursion, or(0, .L_ZL14no_device_codePKciS0_iS0_.has_recursion)
	.set _ZL9mul_mat_fI7__half2Li32ELi13ELi2ELb1EEvPKT_PKfPKiPfiiiiiiiiiiiiiiii.has_indirect_call, or(0, .L_ZL14no_device_codePKciS0_iS0_.has_indirect_call)
	.section	.AMDGPU.csdata,"",@progbits
; Kernel info:
; codeLenInByte = 72
; TotalNumSgprs: 40
; NumVgprs: 38
; NumAgprs: 0
; TotalNumVgprs: 38
; ScratchSize: 16
; MemoryBound: 0
; FloatMode: 240
; IeeeMode: 1
; LDSByteSize: 0 bytes/workgroup (compile time only)
; SGPRBlocks: 4
; VGPRBlocks: 4
; NumSGPRsForWavesPerEU: 40
; NumVGPRsForWavesPerEU: 38
; AccumOffset: 40
; Occupancy: 8
; WaveLimiterHint : 1
; COMPUTE_PGM_RSRC2:SCRATCH_EN: 1
; COMPUTE_PGM_RSRC2:USER_SGPR: 2
; COMPUTE_PGM_RSRC2:TRAP_HANDLER: 0
; COMPUTE_PGM_RSRC2:TGID_X_EN: 1
; COMPUTE_PGM_RSRC2:TGID_Y_EN: 0
; COMPUTE_PGM_RSRC2:TGID_Z_EN: 0
; COMPUTE_PGM_RSRC2:TIDIG_COMP_CNT: 0
; COMPUTE_PGM_RSRC3_GFX90A:ACCUM_OFFSET: 9
; COMPUTE_PGM_RSRC3_GFX90A:TG_SPLIT: 0
	.section	.text._ZL9mul_mat_fI7__half2Li32ELi13ELi2ELb0EEvPKT_PKfPKiPfiiiiiiiiiiiiiiii,"axG",@progbits,_ZL9mul_mat_fI7__half2Li32ELi13ELi2ELb0EEvPKT_PKfPKiPfiiiiiiiiiiiiiiii,comdat
	.globl	_ZL9mul_mat_fI7__half2Li32ELi13ELi2ELb0EEvPKT_PKfPKiPfiiiiiiiiiiiiiiii ; -- Begin function _ZL9mul_mat_fI7__half2Li32ELi13ELi2ELb0EEvPKT_PKfPKiPfiiiiiiiiiiiiiiii
	.p2align	8
	.type	_ZL9mul_mat_fI7__half2Li32ELi13ELi2ELb0EEvPKT_PKfPKiPfiiiiiiiiiiiiiiii,@function
_ZL9mul_mat_fI7__half2Li32ELi13ELi2ELb0EEvPKT_PKfPKiPfiiiiiiiiiiiiiiii: ; @_ZL9mul_mat_fI7__half2Li32ELi13ELi2ELb0EEvPKT_PKfPKiPfiiiiiiiiiiiiiiii
; %bb.0:
	s_add_u32 s8, s0, 0x60
	s_addc_u32 s9, s1, 0
	s_getpc_b64 s[0:1]
	s_add_u32 s0, s0, __FUNCTION__._ZL9mul_mat_fIfLi32ELi13ELi1ELb1EEvPKT_PKfPKiPfiiiiiiiiiiiiiiii@rel32@lo+4
	s_addc_u32 s1, s1, __FUNCTION__._ZL9mul_mat_fIfLi32ELi13ELi1ELb1EEvPKT_PKfPKiPfiiiiiiiiiiiiiiii@rel32@hi+12
	s_getpc_b64 s[2:3]
	s_add_u32 s2, s2, _ZL14no_device_codePKciS0_iS0_@rel32@lo+4
	s_addc_u32 s3, s3, _ZL14no_device_codePKciS0_iS0_@rel32@hi+12
	v_mov_b32_e32 v0, 64
	v_mov_b32_e32 v1, s0
	;; [unrolled: 1-line block ×3, first 2 shown]
	s_mov_b32 s32, 0
	s_swappc_b64 s[30:31], s[2:3]
	.section	.rodata,"a",@progbits
	.p2align	6, 0x0
	.amdhsa_kernel _ZL9mul_mat_fI7__half2Li32ELi13ELi2ELb0EEvPKT_PKfPKiPfiiiiiiiiiiiiiiii
		.amdhsa_group_segment_fixed_size 0
		.amdhsa_private_segment_fixed_size 16
		.amdhsa_kernarg_size 352
		.amdhsa_user_sgpr_count 2
		.amdhsa_user_sgpr_dispatch_ptr 0
		.amdhsa_user_sgpr_queue_ptr 0
		.amdhsa_user_sgpr_kernarg_segment_ptr 1
		.amdhsa_user_sgpr_dispatch_id 0
		.amdhsa_user_sgpr_kernarg_preload_length 0
		.amdhsa_user_sgpr_kernarg_preload_offset 0
		.amdhsa_user_sgpr_private_segment_size 0
		.amdhsa_uses_dynamic_stack 0
		.amdhsa_enable_private_segment 1
		.amdhsa_system_sgpr_workgroup_id_x 1
		.amdhsa_system_sgpr_workgroup_id_y 0
		.amdhsa_system_sgpr_workgroup_id_z 0
		.amdhsa_system_sgpr_workgroup_info 0
		.amdhsa_system_vgpr_workitem_id 0
		.amdhsa_next_free_vgpr 38
		.amdhsa_next_free_sgpr 34
		.amdhsa_accum_offset 40
		.amdhsa_reserve_vcc 1
		.amdhsa_float_round_mode_32 0
		.amdhsa_float_round_mode_16_64 0
		.amdhsa_float_denorm_mode_32 3
		.amdhsa_float_denorm_mode_16_64 3
		.amdhsa_dx10_clamp 1
		.amdhsa_ieee_mode 1
		.amdhsa_fp16_overflow 0
		.amdhsa_tg_split 0
		.amdhsa_exception_fp_ieee_invalid_op 0
		.amdhsa_exception_fp_denorm_src 0
		.amdhsa_exception_fp_ieee_div_zero 0
		.amdhsa_exception_fp_ieee_overflow 0
		.amdhsa_exception_fp_ieee_underflow 0
		.amdhsa_exception_fp_ieee_inexact 0
		.amdhsa_exception_int_div_zero 0
	.end_amdhsa_kernel
	.section	.text._ZL9mul_mat_fI7__half2Li32ELi13ELi2ELb0EEvPKT_PKfPKiPfiiiiiiiiiiiiiiii,"axG",@progbits,_ZL9mul_mat_fI7__half2Li32ELi13ELi2ELb0EEvPKT_PKfPKiPfiiiiiiiiiiiiiiii,comdat
.Lfunc_end32:
	.size	_ZL9mul_mat_fI7__half2Li32ELi13ELi2ELb0EEvPKT_PKfPKiPfiiiiiiiiiiiiiiii, .Lfunc_end32-_ZL9mul_mat_fI7__half2Li32ELi13ELi2ELb0EEvPKT_PKfPKiPfiiiiiiiiiiiiiiii
                                        ; -- End function
	.set _ZL9mul_mat_fI7__half2Li32ELi13ELi2ELb0EEvPKT_PKfPKiPfiiiiiiiiiiiiiiii.num_vgpr, max(3, .L_ZL14no_device_codePKciS0_iS0_.num_vgpr)
	.set _ZL9mul_mat_fI7__half2Li32ELi13ELi2ELb0EEvPKT_PKfPKiPfiiiiiiiiiiiiiiii.num_agpr, max(0, .L_ZL14no_device_codePKciS0_iS0_.num_agpr)
	.set _ZL9mul_mat_fI7__half2Li32ELi13ELi2ELb0EEvPKT_PKfPKiPfiiiiiiiiiiiiiiii.numbered_sgpr, max(33, .L_ZL14no_device_codePKciS0_iS0_.numbered_sgpr)
	.set _ZL9mul_mat_fI7__half2Li32ELi13ELi2ELb0EEvPKT_PKfPKiPfiiiiiiiiiiiiiiii.num_named_barrier, max(0, .L_ZL14no_device_codePKciS0_iS0_.num_named_barrier)
	.set _ZL9mul_mat_fI7__half2Li32ELi13ELi2ELb0EEvPKT_PKfPKiPfiiiiiiiiiiiiiiii.private_seg_size, 0+max(.L_ZL14no_device_codePKciS0_iS0_.private_seg_size)
	.set _ZL9mul_mat_fI7__half2Li32ELi13ELi2ELb0EEvPKT_PKfPKiPfiiiiiiiiiiiiiiii.uses_vcc, or(1, .L_ZL14no_device_codePKciS0_iS0_.uses_vcc)
	.set _ZL9mul_mat_fI7__half2Li32ELi13ELi2ELb0EEvPKT_PKfPKiPfiiiiiiiiiiiiiiii.uses_flat_scratch, or(0, .L_ZL14no_device_codePKciS0_iS0_.uses_flat_scratch)
	.set _ZL9mul_mat_fI7__half2Li32ELi13ELi2ELb0EEvPKT_PKfPKiPfiiiiiiiiiiiiiiii.has_dyn_sized_stack, or(0, .L_ZL14no_device_codePKciS0_iS0_.has_dyn_sized_stack)
	.set _ZL9mul_mat_fI7__half2Li32ELi13ELi2ELb0EEvPKT_PKfPKiPfiiiiiiiiiiiiiiii.has_recursion, or(0, .L_ZL14no_device_codePKciS0_iS0_.has_recursion)
	.set _ZL9mul_mat_fI7__half2Li32ELi13ELi2ELb0EEvPKT_PKfPKiPfiiiiiiiiiiiiiiii.has_indirect_call, or(0, .L_ZL14no_device_codePKciS0_iS0_.has_indirect_call)
	.section	.AMDGPU.csdata,"",@progbits
; Kernel info:
; codeLenInByte = 72
; TotalNumSgprs: 40
; NumVgprs: 38
; NumAgprs: 0
; TotalNumVgprs: 38
; ScratchSize: 16
; MemoryBound: 0
; FloatMode: 240
; IeeeMode: 1
; LDSByteSize: 0 bytes/workgroup (compile time only)
; SGPRBlocks: 4
; VGPRBlocks: 4
; NumSGPRsForWavesPerEU: 40
; NumVGPRsForWavesPerEU: 38
; AccumOffset: 40
; Occupancy: 8
; WaveLimiterHint : 1
; COMPUTE_PGM_RSRC2:SCRATCH_EN: 1
; COMPUTE_PGM_RSRC2:USER_SGPR: 2
; COMPUTE_PGM_RSRC2:TRAP_HANDLER: 0
; COMPUTE_PGM_RSRC2:TGID_X_EN: 1
; COMPUTE_PGM_RSRC2:TGID_Y_EN: 0
; COMPUTE_PGM_RSRC2:TGID_Z_EN: 0
; COMPUTE_PGM_RSRC2:TIDIG_COMP_CNT: 0
; COMPUTE_PGM_RSRC3_GFX90A:ACCUM_OFFSET: 9
; COMPUTE_PGM_RSRC3_GFX90A:TG_SPLIT: 0
	.section	.text._ZL13mul_mat_f_idsI7__half2Li32ELi13ELi3EEvPKT_PKfPKiS7_S7_Pfiiiiiiiiiiiiii15HIP_vector_typeIjLj3EESA_,"axG",@progbits,_ZL13mul_mat_f_idsI7__half2Li32ELi13ELi3EEvPKT_PKfPKiS7_S7_Pfiiiiiiiiiiiiii15HIP_vector_typeIjLj3EESA_,comdat
	.globl	_ZL13mul_mat_f_idsI7__half2Li32ELi13ELi3EEvPKT_PKfPKiS7_S7_Pfiiiiiiiiiiiiii15HIP_vector_typeIjLj3EESA_ ; -- Begin function _ZL13mul_mat_f_idsI7__half2Li32ELi13ELi3EEvPKT_PKfPKiS7_S7_Pfiiiiiiiiiiiiii15HIP_vector_typeIjLj3EESA_
	.p2align	8
	.type	_ZL13mul_mat_f_idsI7__half2Li32ELi13ELi3EEvPKT_PKfPKiS7_S7_Pfiiiiiiiiiiiiii15HIP_vector_typeIjLj3EESA_,@function
_ZL13mul_mat_f_idsI7__half2Li32ELi13ELi3EEvPKT_PKfPKiS7_S7_Pfiiiiiiiiiiiiii15HIP_vector_typeIjLj3EESA_: ; @_ZL13mul_mat_f_idsI7__half2Li32ELi13ELi3EEvPKT_PKfPKiS7_S7_Pfiiiiiiiiiiiiii15HIP_vector_typeIjLj3EESA_
; %bb.0:
	s_add_u32 s8, s0, 0x80
	s_addc_u32 s9, s1, 0
	s_getpc_b64 s[0:1]
	s_add_u32 s0, s0, __FUNCTION__._ZL13mul_mat_f_idsIfLi32ELi13ELi1EEvPKT_PKfPKiS6_S6_Pfiiiiiiiiiiiiii15HIP_vector_typeIjLj3EES9_@rel32@lo+4
	s_addc_u32 s1, s1, __FUNCTION__._ZL13mul_mat_f_idsIfLi32ELi13ELi1EEvPKT_PKfPKiS6_S6_Pfiiiiiiiiiiiiii15HIP_vector_typeIjLj3EES9_@rel32@hi+12
	s_getpc_b64 s[2:3]
	s_add_u32 s2, s2, _ZL14no_device_codePKciS0_iS0_@rel32@lo+4
	s_addc_u32 s3, s3, _ZL14no_device_codePKciS0_iS0_@rel32@hi+12
	v_mov_b32_e32 v0, 0x13b
	v_mov_b32_e32 v1, s0
	;; [unrolled: 1-line block ×3, first 2 shown]
	s_mov_b32 s32, 0
	s_swappc_b64 s[30:31], s[2:3]
	.section	.rodata,"a",@progbits
	.p2align	6, 0x0
	.amdhsa_kernel _ZL13mul_mat_f_idsI7__half2Li32ELi13ELi3EEvPKT_PKfPKiS7_S7_Pfiiiiiiiiiiiiii15HIP_vector_typeIjLj3EESA_
		.amdhsa_group_segment_fixed_size 0
		.amdhsa_private_segment_fixed_size 16
		.amdhsa_kernarg_size 384
		.amdhsa_user_sgpr_count 2
		.amdhsa_user_sgpr_dispatch_ptr 0
		.amdhsa_user_sgpr_queue_ptr 0
		.amdhsa_user_sgpr_kernarg_segment_ptr 1
		.amdhsa_user_sgpr_dispatch_id 0
		.amdhsa_user_sgpr_kernarg_preload_length 0
		.amdhsa_user_sgpr_kernarg_preload_offset 0
		.amdhsa_user_sgpr_private_segment_size 0
		.amdhsa_uses_dynamic_stack 0
		.amdhsa_enable_private_segment 1
		.amdhsa_system_sgpr_workgroup_id_x 1
		.amdhsa_system_sgpr_workgroup_id_y 0
		.amdhsa_system_sgpr_workgroup_id_z 0
		.amdhsa_system_sgpr_workgroup_info 0
		.amdhsa_system_vgpr_workitem_id 0
		.amdhsa_next_free_vgpr 38
		.amdhsa_next_free_sgpr 34
		.amdhsa_accum_offset 40
		.amdhsa_reserve_vcc 1
		.amdhsa_float_round_mode_32 0
		.amdhsa_float_round_mode_16_64 0
		.amdhsa_float_denorm_mode_32 3
		.amdhsa_float_denorm_mode_16_64 3
		.amdhsa_dx10_clamp 1
		.amdhsa_ieee_mode 1
		.amdhsa_fp16_overflow 0
		.amdhsa_tg_split 0
		.amdhsa_exception_fp_ieee_invalid_op 0
		.amdhsa_exception_fp_denorm_src 0
		.amdhsa_exception_fp_ieee_div_zero 0
		.amdhsa_exception_fp_ieee_overflow 0
		.amdhsa_exception_fp_ieee_underflow 0
		.amdhsa_exception_fp_ieee_inexact 0
		.amdhsa_exception_int_div_zero 0
	.end_amdhsa_kernel
	.section	.text._ZL13mul_mat_f_idsI7__half2Li32ELi13ELi3EEvPKT_PKfPKiS7_S7_Pfiiiiiiiiiiiiii15HIP_vector_typeIjLj3EESA_,"axG",@progbits,_ZL13mul_mat_f_idsI7__half2Li32ELi13ELi3EEvPKT_PKfPKiS7_S7_Pfiiiiiiiiiiiiii15HIP_vector_typeIjLj3EESA_,comdat
.Lfunc_end33:
	.size	_ZL13mul_mat_f_idsI7__half2Li32ELi13ELi3EEvPKT_PKfPKiS7_S7_Pfiiiiiiiiiiiiii15HIP_vector_typeIjLj3EESA_, .Lfunc_end33-_ZL13mul_mat_f_idsI7__half2Li32ELi13ELi3EEvPKT_PKfPKiS7_S7_Pfiiiiiiiiiiiiii15HIP_vector_typeIjLj3EESA_
                                        ; -- End function
	.set _ZL13mul_mat_f_idsI7__half2Li32ELi13ELi3EEvPKT_PKfPKiS7_S7_Pfiiiiiiiiiiiiii15HIP_vector_typeIjLj3EESA_.num_vgpr, max(3, .L_ZL14no_device_codePKciS0_iS0_.num_vgpr)
	.set _ZL13mul_mat_f_idsI7__half2Li32ELi13ELi3EEvPKT_PKfPKiS7_S7_Pfiiiiiiiiiiiiii15HIP_vector_typeIjLj3EESA_.num_agpr, max(0, .L_ZL14no_device_codePKciS0_iS0_.num_agpr)
	.set _ZL13mul_mat_f_idsI7__half2Li32ELi13ELi3EEvPKT_PKfPKiS7_S7_Pfiiiiiiiiiiiiii15HIP_vector_typeIjLj3EESA_.numbered_sgpr, max(33, .L_ZL14no_device_codePKciS0_iS0_.numbered_sgpr)
	.set _ZL13mul_mat_f_idsI7__half2Li32ELi13ELi3EEvPKT_PKfPKiS7_S7_Pfiiiiiiiiiiiiii15HIP_vector_typeIjLj3EESA_.num_named_barrier, max(0, .L_ZL14no_device_codePKciS0_iS0_.num_named_barrier)
	.set _ZL13mul_mat_f_idsI7__half2Li32ELi13ELi3EEvPKT_PKfPKiS7_S7_Pfiiiiiiiiiiiiii15HIP_vector_typeIjLj3EESA_.private_seg_size, 0+max(.L_ZL14no_device_codePKciS0_iS0_.private_seg_size)
	.set _ZL13mul_mat_f_idsI7__half2Li32ELi13ELi3EEvPKT_PKfPKiS7_S7_Pfiiiiiiiiiiiiii15HIP_vector_typeIjLj3EESA_.uses_vcc, or(1, .L_ZL14no_device_codePKciS0_iS0_.uses_vcc)
	.set _ZL13mul_mat_f_idsI7__half2Li32ELi13ELi3EEvPKT_PKfPKiS7_S7_Pfiiiiiiiiiiiiii15HIP_vector_typeIjLj3EESA_.uses_flat_scratch, or(0, .L_ZL14no_device_codePKciS0_iS0_.uses_flat_scratch)
	.set _ZL13mul_mat_f_idsI7__half2Li32ELi13ELi3EEvPKT_PKfPKiS7_S7_Pfiiiiiiiiiiiiii15HIP_vector_typeIjLj3EESA_.has_dyn_sized_stack, or(0, .L_ZL14no_device_codePKciS0_iS0_.has_dyn_sized_stack)
	.set _ZL13mul_mat_f_idsI7__half2Li32ELi13ELi3EEvPKT_PKfPKiS7_S7_Pfiiiiiiiiiiiiii15HIP_vector_typeIjLj3EESA_.has_recursion, or(0, .L_ZL14no_device_codePKciS0_iS0_.has_recursion)
	.set _ZL13mul_mat_f_idsI7__half2Li32ELi13ELi3EEvPKT_PKfPKiS7_S7_Pfiiiiiiiiiiiiii15HIP_vector_typeIjLj3EESA_.has_indirect_call, or(0, .L_ZL14no_device_codePKciS0_iS0_.has_indirect_call)
	.section	.AMDGPU.csdata,"",@progbits
; Kernel info:
; codeLenInByte = 76
; TotalNumSgprs: 40
; NumVgprs: 38
; NumAgprs: 0
; TotalNumVgprs: 38
; ScratchSize: 16
; MemoryBound: 0
; FloatMode: 240
; IeeeMode: 1
; LDSByteSize: 0 bytes/workgroup (compile time only)
; SGPRBlocks: 4
; VGPRBlocks: 4
; NumSGPRsForWavesPerEU: 40
; NumVGPRsForWavesPerEU: 38
; AccumOffset: 40
; Occupancy: 8
; WaveLimiterHint : 1
; COMPUTE_PGM_RSRC2:SCRATCH_EN: 1
; COMPUTE_PGM_RSRC2:USER_SGPR: 2
; COMPUTE_PGM_RSRC2:TRAP_HANDLER: 0
; COMPUTE_PGM_RSRC2:TGID_X_EN: 1
; COMPUTE_PGM_RSRC2:TGID_Y_EN: 0
; COMPUTE_PGM_RSRC2:TGID_Z_EN: 0
; COMPUTE_PGM_RSRC2:TIDIG_COMP_CNT: 0
; COMPUTE_PGM_RSRC3_GFX90A:ACCUM_OFFSET: 9
; COMPUTE_PGM_RSRC3_GFX90A:TG_SPLIT: 0
	.section	.text._ZL9mul_mat_fI7__half2Li32ELi13ELi3ELb1EEvPKT_PKfPKiPfiiiiiiiiiiiiiiii,"axG",@progbits,_ZL9mul_mat_fI7__half2Li32ELi13ELi3ELb1EEvPKT_PKfPKiPfiiiiiiiiiiiiiiii,comdat
	.globl	_ZL9mul_mat_fI7__half2Li32ELi13ELi3ELb1EEvPKT_PKfPKiPfiiiiiiiiiiiiiiii ; -- Begin function _ZL9mul_mat_fI7__half2Li32ELi13ELi3ELb1EEvPKT_PKfPKiPfiiiiiiiiiiiiiiii
	.p2align	8
	.type	_ZL9mul_mat_fI7__half2Li32ELi13ELi3ELb1EEvPKT_PKfPKiPfiiiiiiiiiiiiiiii,@function
_ZL9mul_mat_fI7__half2Li32ELi13ELi3ELb1EEvPKT_PKfPKiPfiiiiiiiiiiiiiiii: ; @_ZL9mul_mat_fI7__half2Li32ELi13ELi3ELb1EEvPKT_PKfPKiPfiiiiiiiiiiiiiiii
; %bb.0:
	s_add_u32 s8, s0, 0x60
	s_addc_u32 s9, s1, 0
	s_getpc_b64 s[0:1]
	s_add_u32 s0, s0, __FUNCTION__._ZL9mul_mat_fIfLi32ELi13ELi1ELb1EEvPKT_PKfPKiPfiiiiiiiiiiiiiiii@rel32@lo+4
	s_addc_u32 s1, s1, __FUNCTION__._ZL9mul_mat_fIfLi32ELi13ELi1ELb1EEvPKT_PKfPKiPfiiiiiiiiiiiiiiii@rel32@hi+12
	s_getpc_b64 s[2:3]
	s_add_u32 s2, s2, _ZL14no_device_codePKciS0_iS0_@rel32@lo+4
	s_addc_u32 s3, s3, _ZL14no_device_codePKciS0_iS0_@rel32@hi+12
	v_mov_b32_e32 v0, 64
	v_mov_b32_e32 v1, s0
	;; [unrolled: 1-line block ×3, first 2 shown]
	s_mov_b32 s32, 0
	s_swappc_b64 s[30:31], s[2:3]
	.section	.rodata,"a",@progbits
	.p2align	6, 0x0
	.amdhsa_kernel _ZL9mul_mat_fI7__half2Li32ELi13ELi3ELb1EEvPKT_PKfPKiPfiiiiiiiiiiiiiiii
		.amdhsa_group_segment_fixed_size 0
		.amdhsa_private_segment_fixed_size 16
		.amdhsa_kernarg_size 352
		.amdhsa_user_sgpr_count 2
		.amdhsa_user_sgpr_dispatch_ptr 0
		.amdhsa_user_sgpr_queue_ptr 0
		.amdhsa_user_sgpr_kernarg_segment_ptr 1
		.amdhsa_user_sgpr_dispatch_id 0
		.amdhsa_user_sgpr_kernarg_preload_length 0
		.amdhsa_user_sgpr_kernarg_preload_offset 0
		.amdhsa_user_sgpr_private_segment_size 0
		.amdhsa_uses_dynamic_stack 0
		.amdhsa_enable_private_segment 1
		.amdhsa_system_sgpr_workgroup_id_x 1
		.amdhsa_system_sgpr_workgroup_id_y 0
		.amdhsa_system_sgpr_workgroup_id_z 0
		.amdhsa_system_sgpr_workgroup_info 0
		.amdhsa_system_vgpr_workitem_id 0
		.amdhsa_next_free_vgpr 38
		.amdhsa_next_free_sgpr 34
		.amdhsa_accum_offset 40
		.amdhsa_reserve_vcc 1
		.amdhsa_float_round_mode_32 0
		.amdhsa_float_round_mode_16_64 0
		.amdhsa_float_denorm_mode_32 3
		.amdhsa_float_denorm_mode_16_64 3
		.amdhsa_dx10_clamp 1
		.amdhsa_ieee_mode 1
		.amdhsa_fp16_overflow 0
		.amdhsa_tg_split 0
		.amdhsa_exception_fp_ieee_invalid_op 0
		.amdhsa_exception_fp_denorm_src 0
		.amdhsa_exception_fp_ieee_div_zero 0
		.amdhsa_exception_fp_ieee_overflow 0
		.amdhsa_exception_fp_ieee_underflow 0
		.amdhsa_exception_fp_ieee_inexact 0
		.amdhsa_exception_int_div_zero 0
	.end_amdhsa_kernel
	.section	.text._ZL9mul_mat_fI7__half2Li32ELi13ELi3ELb1EEvPKT_PKfPKiPfiiiiiiiiiiiiiiii,"axG",@progbits,_ZL9mul_mat_fI7__half2Li32ELi13ELi3ELb1EEvPKT_PKfPKiPfiiiiiiiiiiiiiiii,comdat
.Lfunc_end34:
	.size	_ZL9mul_mat_fI7__half2Li32ELi13ELi3ELb1EEvPKT_PKfPKiPfiiiiiiiiiiiiiiii, .Lfunc_end34-_ZL9mul_mat_fI7__half2Li32ELi13ELi3ELb1EEvPKT_PKfPKiPfiiiiiiiiiiiiiiii
                                        ; -- End function
	.set _ZL9mul_mat_fI7__half2Li32ELi13ELi3ELb1EEvPKT_PKfPKiPfiiiiiiiiiiiiiiii.num_vgpr, max(3, .L_ZL14no_device_codePKciS0_iS0_.num_vgpr)
	.set _ZL9mul_mat_fI7__half2Li32ELi13ELi3ELb1EEvPKT_PKfPKiPfiiiiiiiiiiiiiiii.num_agpr, max(0, .L_ZL14no_device_codePKciS0_iS0_.num_agpr)
	.set _ZL9mul_mat_fI7__half2Li32ELi13ELi3ELb1EEvPKT_PKfPKiPfiiiiiiiiiiiiiiii.numbered_sgpr, max(33, .L_ZL14no_device_codePKciS0_iS0_.numbered_sgpr)
	.set _ZL9mul_mat_fI7__half2Li32ELi13ELi3ELb1EEvPKT_PKfPKiPfiiiiiiiiiiiiiiii.num_named_barrier, max(0, .L_ZL14no_device_codePKciS0_iS0_.num_named_barrier)
	.set _ZL9mul_mat_fI7__half2Li32ELi13ELi3ELb1EEvPKT_PKfPKiPfiiiiiiiiiiiiiiii.private_seg_size, 0+max(.L_ZL14no_device_codePKciS0_iS0_.private_seg_size)
	.set _ZL9mul_mat_fI7__half2Li32ELi13ELi3ELb1EEvPKT_PKfPKiPfiiiiiiiiiiiiiiii.uses_vcc, or(1, .L_ZL14no_device_codePKciS0_iS0_.uses_vcc)
	.set _ZL9mul_mat_fI7__half2Li32ELi13ELi3ELb1EEvPKT_PKfPKiPfiiiiiiiiiiiiiiii.uses_flat_scratch, or(0, .L_ZL14no_device_codePKciS0_iS0_.uses_flat_scratch)
	.set _ZL9mul_mat_fI7__half2Li32ELi13ELi3ELb1EEvPKT_PKfPKiPfiiiiiiiiiiiiiiii.has_dyn_sized_stack, or(0, .L_ZL14no_device_codePKciS0_iS0_.has_dyn_sized_stack)
	.set _ZL9mul_mat_fI7__half2Li32ELi13ELi3ELb1EEvPKT_PKfPKiPfiiiiiiiiiiiiiiii.has_recursion, or(0, .L_ZL14no_device_codePKciS0_iS0_.has_recursion)
	.set _ZL9mul_mat_fI7__half2Li32ELi13ELi3ELb1EEvPKT_PKfPKiPfiiiiiiiiiiiiiiii.has_indirect_call, or(0, .L_ZL14no_device_codePKciS0_iS0_.has_indirect_call)
	.section	.AMDGPU.csdata,"",@progbits
; Kernel info:
; codeLenInByte = 72
; TotalNumSgprs: 40
; NumVgprs: 38
; NumAgprs: 0
; TotalNumVgprs: 38
; ScratchSize: 16
; MemoryBound: 0
; FloatMode: 240
; IeeeMode: 1
; LDSByteSize: 0 bytes/workgroup (compile time only)
; SGPRBlocks: 4
; VGPRBlocks: 4
; NumSGPRsForWavesPerEU: 40
; NumVGPRsForWavesPerEU: 38
; AccumOffset: 40
; Occupancy: 8
; WaveLimiterHint : 1
; COMPUTE_PGM_RSRC2:SCRATCH_EN: 1
; COMPUTE_PGM_RSRC2:USER_SGPR: 2
; COMPUTE_PGM_RSRC2:TRAP_HANDLER: 0
; COMPUTE_PGM_RSRC2:TGID_X_EN: 1
; COMPUTE_PGM_RSRC2:TGID_Y_EN: 0
; COMPUTE_PGM_RSRC2:TGID_Z_EN: 0
; COMPUTE_PGM_RSRC2:TIDIG_COMP_CNT: 0
; COMPUTE_PGM_RSRC3_GFX90A:ACCUM_OFFSET: 9
; COMPUTE_PGM_RSRC3_GFX90A:TG_SPLIT: 0
	.section	.text._ZL9mul_mat_fI7__half2Li32ELi13ELi3ELb0EEvPKT_PKfPKiPfiiiiiiiiiiiiiiii,"axG",@progbits,_ZL9mul_mat_fI7__half2Li32ELi13ELi3ELb0EEvPKT_PKfPKiPfiiiiiiiiiiiiiiii,comdat
	.globl	_ZL9mul_mat_fI7__half2Li32ELi13ELi3ELb0EEvPKT_PKfPKiPfiiiiiiiiiiiiiiii ; -- Begin function _ZL9mul_mat_fI7__half2Li32ELi13ELi3ELb0EEvPKT_PKfPKiPfiiiiiiiiiiiiiiii
	.p2align	8
	.type	_ZL9mul_mat_fI7__half2Li32ELi13ELi3ELb0EEvPKT_PKfPKiPfiiiiiiiiiiiiiiii,@function
_ZL9mul_mat_fI7__half2Li32ELi13ELi3ELb0EEvPKT_PKfPKiPfiiiiiiiiiiiiiiii: ; @_ZL9mul_mat_fI7__half2Li32ELi13ELi3ELb0EEvPKT_PKfPKiPfiiiiiiiiiiiiiiii
; %bb.0:
	s_add_u32 s8, s0, 0x60
	s_addc_u32 s9, s1, 0
	s_getpc_b64 s[0:1]
	s_add_u32 s0, s0, __FUNCTION__._ZL9mul_mat_fIfLi32ELi13ELi1ELb1EEvPKT_PKfPKiPfiiiiiiiiiiiiiiii@rel32@lo+4
	s_addc_u32 s1, s1, __FUNCTION__._ZL9mul_mat_fIfLi32ELi13ELi1ELb1EEvPKT_PKfPKiPfiiiiiiiiiiiiiiii@rel32@hi+12
	s_getpc_b64 s[2:3]
	s_add_u32 s2, s2, _ZL14no_device_codePKciS0_iS0_@rel32@lo+4
	s_addc_u32 s3, s3, _ZL14no_device_codePKciS0_iS0_@rel32@hi+12
	v_mov_b32_e32 v0, 64
	v_mov_b32_e32 v1, s0
	;; [unrolled: 1-line block ×3, first 2 shown]
	s_mov_b32 s32, 0
	s_swappc_b64 s[30:31], s[2:3]
	.section	.rodata,"a",@progbits
	.p2align	6, 0x0
	.amdhsa_kernel _ZL9mul_mat_fI7__half2Li32ELi13ELi3ELb0EEvPKT_PKfPKiPfiiiiiiiiiiiiiiii
		.amdhsa_group_segment_fixed_size 0
		.amdhsa_private_segment_fixed_size 16
		.amdhsa_kernarg_size 352
		.amdhsa_user_sgpr_count 2
		.amdhsa_user_sgpr_dispatch_ptr 0
		.amdhsa_user_sgpr_queue_ptr 0
		.amdhsa_user_sgpr_kernarg_segment_ptr 1
		.amdhsa_user_sgpr_dispatch_id 0
		.amdhsa_user_sgpr_kernarg_preload_length 0
		.amdhsa_user_sgpr_kernarg_preload_offset 0
		.amdhsa_user_sgpr_private_segment_size 0
		.amdhsa_uses_dynamic_stack 0
		.amdhsa_enable_private_segment 1
		.amdhsa_system_sgpr_workgroup_id_x 1
		.amdhsa_system_sgpr_workgroup_id_y 0
		.amdhsa_system_sgpr_workgroup_id_z 0
		.amdhsa_system_sgpr_workgroup_info 0
		.amdhsa_system_vgpr_workitem_id 0
		.amdhsa_next_free_vgpr 38
		.amdhsa_next_free_sgpr 34
		.amdhsa_accum_offset 40
		.amdhsa_reserve_vcc 1
		.amdhsa_float_round_mode_32 0
		.amdhsa_float_round_mode_16_64 0
		.amdhsa_float_denorm_mode_32 3
		.amdhsa_float_denorm_mode_16_64 3
		.amdhsa_dx10_clamp 1
		.amdhsa_ieee_mode 1
		.amdhsa_fp16_overflow 0
		.amdhsa_tg_split 0
		.amdhsa_exception_fp_ieee_invalid_op 0
		.amdhsa_exception_fp_denorm_src 0
		.amdhsa_exception_fp_ieee_div_zero 0
		.amdhsa_exception_fp_ieee_overflow 0
		.amdhsa_exception_fp_ieee_underflow 0
		.amdhsa_exception_fp_ieee_inexact 0
		.amdhsa_exception_int_div_zero 0
	.end_amdhsa_kernel
	.section	.text._ZL9mul_mat_fI7__half2Li32ELi13ELi3ELb0EEvPKT_PKfPKiPfiiiiiiiiiiiiiiii,"axG",@progbits,_ZL9mul_mat_fI7__half2Li32ELi13ELi3ELb0EEvPKT_PKfPKiPfiiiiiiiiiiiiiiii,comdat
.Lfunc_end35:
	.size	_ZL9mul_mat_fI7__half2Li32ELi13ELi3ELb0EEvPKT_PKfPKiPfiiiiiiiiiiiiiiii, .Lfunc_end35-_ZL9mul_mat_fI7__half2Li32ELi13ELi3ELb0EEvPKT_PKfPKiPfiiiiiiiiiiiiiiii
                                        ; -- End function
	.set _ZL9mul_mat_fI7__half2Li32ELi13ELi3ELb0EEvPKT_PKfPKiPfiiiiiiiiiiiiiiii.num_vgpr, max(3, .L_ZL14no_device_codePKciS0_iS0_.num_vgpr)
	.set _ZL9mul_mat_fI7__half2Li32ELi13ELi3ELb0EEvPKT_PKfPKiPfiiiiiiiiiiiiiiii.num_agpr, max(0, .L_ZL14no_device_codePKciS0_iS0_.num_agpr)
	.set _ZL9mul_mat_fI7__half2Li32ELi13ELi3ELb0EEvPKT_PKfPKiPfiiiiiiiiiiiiiiii.numbered_sgpr, max(33, .L_ZL14no_device_codePKciS0_iS0_.numbered_sgpr)
	.set _ZL9mul_mat_fI7__half2Li32ELi13ELi3ELb0EEvPKT_PKfPKiPfiiiiiiiiiiiiiiii.num_named_barrier, max(0, .L_ZL14no_device_codePKciS0_iS0_.num_named_barrier)
	.set _ZL9mul_mat_fI7__half2Li32ELi13ELi3ELb0EEvPKT_PKfPKiPfiiiiiiiiiiiiiiii.private_seg_size, 0+max(.L_ZL14no_device_codePKciS0_iS0_.private_seg_size)
	.set _ZL9mul_mat_fI7__half2Li32ELi13ELi3ELb0EEvPKT_PKfPKiPfiiiiiiiiiiiiiiii.uses_vcc, or(1, .L_ZL14no_device_codePKciS0_iS0_.uses_vcc)
	.set _ZL9mul_mat_fI7__half2Li32ELi13ELi3ELb0EEvPKT_PKfPKiPfiiiiiiiiiiiiiiii.uses_flat_scratch, or(0, .L_ZL14no_device_codePKciS0_iS0_.uses_flat_scratch)
	.set _ZL9mul_mat_fI7__half2Li32ELi13ELi3ELb0EEvPKT_PKfPKiPfiiiiiiiiiiiiiiii.has_dyn_sized_stack, or(0, .L_ZL14no_device_codePKciS0_iS0_.has_dyn_sized_stack)
	.set _ZL9mul_mat_fI7__half2Li32ELi13ELi3ELb0EEvPKT_PKfPKiPfiiiiiiiiiiiiiiii.has_recursion, or(0, .L_ZL14no_device_codePKciS0_iS0_.has_recursion)
	.set _ZL9mul_mat_fI7__half2Li32ELi13ELi3ELb0EEvPKT_PKfPKiPfiiiiiiiiiiiiiiii.has_indirect_call, or(0, .L_ZL14no_device_codePKciS0_iS0_.has_indirect_call)
	.section	.AMDGPU.csdata,"",@progbits
; Kernel info:
; codeLenInByte = 72
; TotalNumSgprs: 40
; NumVgprs: 38
; NumAgprs: 0
; TotalNumVgprs: 38
; ScratchSize: 16
; MemoryBound: 0
; FloatMode: 240
; IeeeMode: 1
; LDSByteSize: 0 bytes/workgroup (compile time only)
; SGPRBlocks: 4
; VGPRBlocks: 4
; NumSGPRsForWavesPerEU: 40
; NumVGPRsForWavesPerEU: 38
; AccumOffset: 40
; Occupancy: 8
; WaveLimiterHint : 1
; COMPUTE_PGM_RSRC2:SCRATCH_EN: 1
; COMPUTE_PGM_RSRC2:USER_SGPR: 2
; COMPUTE_PGM_RSRC2:TRAP_HANDLER: 0
; COMPUTE_PGM_RSRC2:TGID_X_EN: 1
; COMPUTE_PGM_RSRC2:TGID_Y_EN: 0
; COMPUTE_PGM_RSRC2:TGID_Z_EN: 0
; COMPUTE_PGM_RSRC2:TIDIG_COMP_CNT: 0
; COMPUTE_PGM_RSRC3_GFX90A:ACCUM_OFFSET: 9
; COMPUTE_PGM_RSRC3_GFX90A:TG_SPLIT: 0
	.section	.text._ZL13mul_mat_f_idsI7__half2Li32ELi13ELi4EEvPKT_PKfPKiS7_S7_Pfiiiiiiiiiiiiii15HIP_vector_typeIjLj3EESA_,"axG",@progbits,_ZL13mul_mat_f_idsI7__half2Li32ELi13ELi4EEvPKT_PKfPKiS7_S7_Pfiiiiiiiiiiiiii15HIP_vector_typeIjLj3EESA_,comdat
	.globl	_ZL13mul_mat_f_idsI7__half2Li32ELi13ELi4EEvPKT_PKfPKiS7_S7_Pfiiiiiiiiiiiiii15HIP_vector_typeIjLj3EESA_ ; -- Begin function _ZL13mul_mat_f_idsI7__half2Li32ELi13ELi4EEvPKT_PKfPKiS7_S7_Pfiiiiiiiiiiiiii15HIP_vector_typeIjLj3EESA_
	.p2align	8
	.type	_ZL13mul_mat_f_idsI7__half2Li32ELi13ELi4EEvPKT_PKfPKiS7_S7_Pfiiiiiiiiiiiiii15HIP_vector_typeIjLj3EESA_,@function
_ZL13mul_mat_f_idsI7__half2Li32ELi13ELi4EEvPKT_PKfPKiS7_S7_Pfiiiiiiiiiiiiii15HIP_vector_typeIjLj3EESA_: ; @_ZL13mul_mat_f_idsI7__half2Li32ELi13ELi4EEvPKT_PKfPKiS7_S7_Pfiiiiiiiiiiiiii15HIP_vector_typeIjLj3EESA_
; %bb.0:
	s_add_u32 s8, s0, 0x80
	s_addc_u32 s9, s1, 0
	s_getpc_b64 s[0:1]
	s_add_u32 s0, s0, __FUNCTION__._ZL13mul_mat_f_idsIfLi32ELi13ELi1EEvPKT_PKfPKiS6_S6_Pfiiiiiiiiiiiiii15HIP_vector_typeIjLj3EES9_@rel32@lo+4
	s_addc_u32 s1, s1, __FUNCTION__._ZL13mul_mat_f_idsIfLi32ELi13ELi1EEvPKT_PKfPKiS6_S6_Pfiiiiiiiiiiiiii15HIP_vector_typeIjLj3EES9_@rel32@hi+12
	s_getpc_b64 s[2:3]
	s_add_u32 s2, s2, _ZL14no_device_codePKciS0_iS0_@rel32@lo+4
	s_addc_u32 s3, s3, _ZL14no_device_codePKciS0_iS0_@rel32@hi+12
	v_mov_b32_e32 v0, 0x13b
	v_mov_b32_e32 v1, s0
	;; [unrolled: 1-line block ×3, first 2 shown]
	s_mov_b32 s32, 0
	s_swappc_b64 s[30:31], s[2:3]
	.section	.rodata,"a",@progbits
	.p2align	6, 0x0
	.amdhsa_kernel _ZL13mul_mat_f_idsI7__half2Li32ELi13ELi4EEvPKT_PKfPKiS7_S7_Pfiiiiiiiiiiiiii15HIP_vector_typeIjLj3EESA_
		.amdhsa_group_segment_fixed_size 0
		.amdhsa_private_segment_fixed_size 16
		.amdhsa_kernarg_size 384
		.amdhsa_user_sgpr_count 2
		.amdhsa_user_sgpr_dispatch_ptr 0
		.amdhsa_user_sgpr_queue_ptr 0
		.amdhsa_user_sgpr_kernarg_segment_ptr 1
		.amdhsa_user_sgpr_dispatch_id 0
		.amdhsa_user_sgpr_kernarg_preload_length 0
		.amdhsa_user_sgpr_kernarg_preload_offset 0
		.amdhsa_user_sgpr_private_segment_size 0
		.amdhsa_uses_dynamic_stack 0
		.amdhsa_enable_private_segment 1
		.amdhsa_system_sgpr_workgroup_id_x 1
		.amdhsa_system_sgpr_workgroup_id_y 0
		.amdhsa_system_sgpr_workgroup_id_z 0
		.amdhsa_system_sgpr_workgroup_info 0
		.amdhsa_system_vgpr_workitem_id 0
		.amdhsa_next_free_vgpr 38
		.amdhsa_next_free_sgpr 34
		.amdhsa_accum_offset 40
		.amdhsa_reserve_vcc 1
		.amdhsa_float_round_mode_32 0
		.amdhsa_float_round_mode_16_64 0
		.amdhsa_float_denorm_mode_32 3
		.amdhsa_float_denorm_mode_16_64 3
		.amdhsa_dx10_clamp 1
		.amdhsa_ieee_mode 1
		.amdhsa_fp16_overflow 0
		.amdhsa_tg_split 0
		.amdhsa_exception_fp_ieee_invalid_op 0
		.amdhsa_exception_fp_denorm_src 0
		.amdhsa_exception_fp_ieee_div_zero 0
		.amdhsa_exception_fp_ieee_overflow 0
		.amdhsa_exception_fp_ieee_underflow 0
		.amdhsa_exception_fp_ieee_inexact 0
		.amdhsa_exception_int_div_zero 0
	.end_amdhsa_kernel
	.section	.text._ZL13mul_mat_f_idsI7__half2Li32ELi13ELi4EEvPKT_PKfPKiS7_S7_Pfiiiiiiiiiiiiii15HIP_vector_typeIjLj3EESA_,"axG",@progbits,_ZL13mul_mat_f_idsI7__half2Li32ELi13ELi4EEvPKT_PKfPKiS7_S7_Pfiiiiiiiiiiiiii15HIP_vector_typeIjLj3EESA_,comdat
.Lfunc_end36:
	.size	_ZL13mul_mat_f_idsI7__half2Li32ELi13ELi4EEvPKT_PKfPKiS7_S7_Pfiiiiiiiiiiiiii15HIP_vector_typeIjLj3EESA_, .Lfunc_end36-_ZL13mul_mat_f_idsI7__half2Li32ELi13ELi4EEvPKT_PKfPKiS7_S7_Pfiiiiiiiiiiiiii15HIP_vector_typeIjLj3EESA_
                                        ; -- End function
	.set _ZL13mul_mat_f_idsI7__half2Li32ELi13ELi4EEvPKT_PKfPKiS7_S7_Pfiiiiiiiiiiiiii15HIP_vector_typeIjLj3EESA_.num_vgpr, max(3, .L_ZL14no_device_codePKciS0_iS0_.num_vgpr)
	.set _ZL13mul_mat_f_idsI7__half2Li32ELi13ELi4EEvPKT_PKfPKiS7_S7_Pfiiiiiiiiiiiiii15HIP_vector_typeIjLj3EESA_.num_agpr, max(0, .L_ZL14no_device_codePKciS0_iS0_.num_agpr)
	.set _ZL13mul_mat_f_idsI7__half2Li32ELi13ELi4EEvPKT_PKfPKiS7_S7_Pfiiiiiiiiiiiiii15HIP_vector_typeIjLj3EESA_.numbered_sgpr, max(33, .L_ZL14no_device_codePKciS0_iS0_.numbered_sgpr)
	.set _ZL13mul_mat_f_idsI7__half2Li32ELi13ELi4EEvPKT_PKfPKiS7_S7_Pfiiiiiiiiiiiiii15HIP_vector_typeIjLj3EESA_.num_named_barrier, max(0, .L_ZL14no_device_codePKciS0_iS0_.num_named_barrier)
	.set _ZL13mul_mat_f_idsI7__half2Li32ELi13ELi4EEvPKT_PKfPKiS7_S7_Pfiiiiiiiiiiiiii15HIP_vector_typeIjLj3EESA_.private_seg_size, 0+max(.L_ZL14no_device_codePKciS0_iS0_.private_seg_size)
	.set _ZL13mul_mat_f_idsI7__half2Li32ELi13ELi4EEvPKT_PKfPKiS7_S7_Pfiiiiiiiiiiiiii15HIP_vector_typeIjLj3EESA_.uses_vcc, or(1, .L_ZL14no_device_codePKciS0_iS0_.uses_vcc)
	.set _ZL13mul_mat_f_idsI7__half2Li32ELi13ELi4EEvPKT_PKfPKiS7_S7_Pfiiiiiiiiiiiiii15HIP_vector_typeIjLj3EESA_.uses_flat_scratch, or(0, .L_ZL14no_device_codePKciS0_iS0_.uses_flat_scratch)
	.set _ZL13mul_mat_f_idsI7__half2Li32ELi13ELi4EEvPKT_PKfPKiS7_S7_Pfiiiiiiiiiiiiii15HIP_vector_typeIjLj3EESA_.has_dyn_sized_stack, or(0, .L_ZL14no_device_codePKciS0_iS0_.has_dyn_sized_stack)
	.set _ZL13mul_mat_f_idsI7__half2Li32ELi13ELi4EEvPKT_PKfPKiS7_S7_Pfiiiiiiiiiiiiii15HIP_vector_typeIjLj3EESA_.has_recursion, or(0, .L_ZL14no_device_codePKciS0_iS0_.has_recursion)
	.set _ZL13mul_mat_f_idsI7__half2Li32ELi13ELi4EEvPKT_PKfPKiS7_S7_Pfiiiiiiiiiiiiii15HIP_vector_typeIjLj3EESA_.has_indirect_call, or(0, .L_ZL14no_device_codePKciS0_iS0_.has_indirect_call)
	.section	.AMDGPU.csdata,"",@progbits
; Kernel info:
; codeLenInByte = 76
; TotalNumSgprs: 40
; NumVgprs: 38
; NumAgprs: 0
; TotalNumVgprs: 38
; ScratchSize: 16
; MemoryBound: 0
; FloatMode: 240
; IeeeMode: 1
; LDSByteSize: 0 bytes/workgroup (compile time only)
; SGPRBlocks: 4
; VGPRBlocks: 4
; NumSGPRsForWavesPerEU: 40
; NumVGPRsForWavesPerEU: 38
; AccumOffset: 40
; Occupancy: 8
; WaveLimiterHint : 1
; COMPUTE_PGM_RSRC2:SCRATCH_EN: 1
; COMPUTE_PGM_RSRC2:USER_SGPR: 2
; COMPUTE_PGM_RSRC2:TRAP_HANDLER: 0
; COMPUTE_PGM_RSRC2:TGID_X_EN: 1
; COMPUTE_PGM_RSRC2:TGID_Y_EN: 0
; COMPUTE_PGM_RSRC2:TGID_Z_EN: 0
; COMPUTE_PGM_RSRC2:TIDIG_COMP_CNT: 0
; COMPUTE_PGM_RSRC3_GFX90A:ACCUM_OFFSET: 9
; COMPUTE_PGM_RSRC3_GFX90A:TG_SPLIT: 0
	.section	.text._ZL9mul_mat_fI7__half2Li32ELi13ELi4ELb1EEvPKT_PKfPKiPfiiiiiiiiiiiiiiii,"axG",@progbits,_ZL9mul_mat_fI7__half2Li32ELi13ELi4ELb1EEvPKT_PKfPKiPfiiiiiiiiiiiiiiii,comdat
	.globl	_ZL9mul_mat_fI7__half2Li32ELi13ELi4ELb1EEvPKT_PKfPKiPfiiiiiiiiiiiiiiii ; -- Begin function _ZL9mul_mat_fI7__half2Li32ELi13ELi4ELb1EEvPKT_PKfPKiPfiiiiiiiiiiiiiiii
	.p2align	8
	.type	_ZL9mul_mat_fI7__half2Li32ELi13ELi4ELb1EEvPKT_PKfPKiPfiiiiiiiiiiiiiiii,@function
_ZL9mul_mat_fI7__half2Li32ELi13ELi4ELb1EEvPKT_PKfPKiPfiiiiiiiiiiiiiiii: ; @_ZL9mul_mat_fI7__half2Li32ELi13ELi4ELb1EEvPKT_PKfPKiPfiiiiiiiiiiiiiiii
; %bb.0:
	s_add_u32 s8, s0, 0x60
	s_addc_u32 s9, s1, 0
	s_getpc_b64 s[0:1]
	s_add_u32 s0, s0, __FUNCTION__._ZL9mul_mat_fIfLi32ELi13ELi1ELb1EEvPKT_PKfPKiPfiiiiiiiiiiiiiiii@rel32@lo+4
	s_addc_u32 s1, s1, __FUNCTION__._ZL9mul_mat_fIfLi32ELi13ELi1ELb1EEvPKT_PKfPKiPfiiiiiiiiiiiiiiii@rel32@hi+12
	s_getpc_b64 s[2:3]
	s_add_u32 s2, s2, _ZL14no_device_codePKciS0_iS0_@rel32@lo+4
	s_addc_u32 s3, s3, _ZL14no_device_codePKciS0_iS0_@rel32@hi+12
	v_mov_b32_e32 v0, 64
	v_mov_b32_e32 v1, s0
	;; [unrolled: 1-line block ×3, first 2 shown]
	s_mov_b32 s32, 0
	s_swappc_b64 s[30:31], s[2:3]
	.section	.rodata,"a",@progbits
	.p2align	6, 0x0
	.amdhsa_kernel _ZL9mul_mat_fI7__half2Li32ELi13ELi4ELb1EEvPKT_PKfPKiPfiiiiiiiiiiiiiiii
		.amdhsa_group_segment_fixed_size 0
		.amdhsa_private_segment_fixed_size 16
		.amdhsa_kernarg_size 352
		.amdhsa_user_sgpr_count 2
		.amdhsa_user_sgpr_dispatch_ptr 0
		.amdhsa_user_sgpr_queue_ptr 0
		.amdhsa_user_sgpr_kernarg_segment_ptr 1
		.amdhsa_user_sgpr_dispatch_id 0
		.amdhsa_user_sgpr_kernarg_preload_length 0
		.amdhsa_user_sgpr_kernarg_preload_offset 0
		.amdhsa_user_sgpr_private_segment_size 0
		.amdhsa_uses_dynamic_stack 0
		.amdhsa_enable_private_segment 1
		.amdhsa_system_sgpr_workgroup_id_x 1
		.amdhsa_system_sgpr_workgroup_id_y 0
		.amdhsa_system_sgpr_workgroup_id_z 0
		.amdhsa_system_sgpr_workgroup_info 0
		.amdhsa_system_vgpr_workitem_id 0
		.amdhsa_next_free_vgpr 38
		.amdhsa_next_free_sgpr 34
		.amdhsa_accum_offset 40
		.amdhsa_reserve_vcc 1
		.amdhsa_float_round_mode_32 0
		.amdhsa_float_round_mode_16_64 0
		.amdhsa_float_denorm_mode_32 3
		.amdhsa_float_denorm_mode_16_64 3
		.amdhsa_dx10_clamp 1
		.amdhsa_ieee_mode 1
		.amdhsa_fp16_overflow 0
		.amdhsa_tg_split 0
		.amdhsa_exception_fp_ieee_invalid_op 0
		.amdhsa_exception_fp_denorm_src 0
		.amdhsa_exception_fp_ieee_div_zero 0
		.amdhsa_exception_fp_ieee_overflow 0
		.amdhsa_exception_fp_ieee_underflow 0
		.amdhsa_exception_fp_ieee_inexact 0
		.amdhsa_exception_int_div_zero 0
	.end_amdhsa_kernel
	.section	.text._ZL9mul_mat_fI7__half2Li32ELi13ELi4ELb1EEvPKT_PKfPKiPfiiiiiiiiiiiiiiii,"axG",@progbits,_ZL9mul_mat_fI7__half2Li32ELi13ELi4ELb1EEvPKT_PKfPKiPfiiiiiiiiiiiiiiii,comdat
.Lfunc_end37:
	.size	_ZL9mul_mat_fI7__half2Li32ELi13ELi4ELb1EEvPKT_PKfPKiPfiiiiiiiiiiiiiiii, .Lfunc_end37-_ZL9mul_mat_fI7__half2Li32ELi13ELi4ELb1EEvPKT_PKfPKiPfiiiiiiiiiiiiiiii
                                        ; -- End function
	.set _ZL9mul_mat_fI7__half2Li32ELi13ELi4ELb1EEvPKT_PKfPKiPfiiiiiiiiiiiiiiii.num_vgpr, max(3, .L_ZL14no_device_codePKciS0_iS0_.num_vgpr)
	.set _ZL9mul_mat_fI7__half2Li32ELi13ELi4ELb1EEvPKT_PKfPKiPfiiiiiiiiiiiiiiii.num_agpr, max(0, .L_ZL14no_device_codePKciS0_iS0_.num_agpr)
	.set _ZL9mul_mat_fI7__half2Li32ELi13ELi4ELb1EEvPKT_PKfPKiPfiiiiiiiiiiiiiiii.numbered_sgpr, max(33, .L_ZL14no_device_codePKciS0_iS0_.numbered_sgpr)
	.set _ZL9mul_mat_fI7__half2Li32ELi13ELi4ELb1EEvPKT_PKfPKiPfiiiiiiiiiiiiiiii.num_named_barrier, max(0, .L_ZL14no_device_codePKciS0_iS0_.num_named_barrier)
	.set _ZL9mul_mat_fI7__half2Li32ELi13ELi4ELb1EEvPKT_PKfPKiPfiiiiiiiiiiiiiiii.private_seg_size, 0+max(.L_ZL14no_device_codePKciS0_iS0_.private_seg_size)
	.set _ZL9mul_mat_fI7__half2Li32ELi13ELi4ELb1EEvPKT_PKfPKiPfiiiiiiiiiiiiiiii.uses_vcc, or(1, .L_ZL14no_device_codePKciS0_iS0_.uses_vcc)
	.set _ZL9mul_mat_fI7__half2Li32ELi13ELi4ELb1EEvPKT_PKfPKiPfiiiiiiiiiiiiiiii.uses_flat_scratch, or(0, .L_ZL14no_device_codePKciS0_iS0_.uses_flat_scratch)
	.set _ZL9mul_mat_fI7__half2Li32ELi13ELi4ELb1EEvPKT_PKfPKiPfiiiiiiiiiiiiiiii.has_dyn_sized_stack, or(0, .L_ZL14no_device_codePKciS0_iS0_.has_dyn_sized_stack)
	.set _ZL9mul_mat_fI7__half2Li32ELi13ELi4ELb1EEvPKT_PKfPKiPfiiiiiiiiiiiiiiii.has_recursion, or(0, .L_ZL14no_device_codePKciS0_iS0_.has_recursion)
	.set _ZL9mul_mat_fI7__half2Li32ELi13ELi4ELb1EEvPKT_PKfPKiPfiiiiiiiiiiiiiiii.has_indirect_call, or(0, .L_ZL14no_device_codePKciS0_iS0_.has_indirect_call)
	.section	.AMDGPU.csdata,"",@progbits
; Kernel info:
; codeLenInByte = 72
; TotalNumSgprs: 40
; NumVgprs: 38
; NumAgprs: 0
; TotalNumVgprs: 38
; ScratchSize: 16
; MemoryBound: 0
; FloatMode: 240
; IeeeMode: 1
; LDSByteSize: 0 bytes/workgroup (compile time only)
; SGPRBlocks: 4
; VGPRBlocks: 4
; NumSGPRsForWavesPerEU: 40
; NumVGPRsForWavesPerEU: 38
; AccumOffset: 40
; Occupancy: 8
; WaveLimiterHint : 1
; COMPUTE_PGM_RSRC2:SCRATCH_EN: 1
; COMPUTE_PGM_RSRC2:USER_SGPR: 2
; COMPUTE_PGM_RSRC2:TRAP_HANDLER: 0
; COMPUTE_PGM_RSRC2:TGID_X_EN: 1
; COMPUTE_PGM_RSRC2:TGID_Y_EN: 0
; COMPUTE_PGM_RSRC2:TGID_Z_EN: 0
; COMPUTE_PGM_RSRC2:TIDIG_COMP_CNT: 0
; COMPUTE_PGM_RSRC3_GFX90A:ACCUM_OFFSET: 9
; COMPUTE_PGM_RSRC3_GFX90A:TG_SPLIT: 0
	.section	.text._ZL9mul_mat_fI7__half2Li32ELi13ELi4ELb0EEvPKT_PKfPKiPfiiiiiiiiiiiiiiii,"axG",@progbits,_ZL9mul_mat_fI7__half2Li32ELi13ELi4ELb0EEvPKT_PKfPKiPfiiiiiiiiiiiiiiii,comdat
	.globl	_ZL9mul_mat_fI7__half2Li32ELi13ELi4ELb0EEvPKT_PKfPKiPfiiiiiiiiiiiiiiii ; -- Begin function _ZL9mul_mat_fI7__half2Li32ELi13ELi4ELb0EEvPKT_PKfPKiPfiiiiiiiiiiiiiiii
	.p2align	8
	.type	_ZL9mul_mat_fI7__half2Li32ELi13ELi4ELb0EEvPKT_PKfPKiPfiiiiiiiiiiiiiiii,@function
_ZL9mul_mat_fI7__half2Li32ELi13ELi4ELb0EEvPKT_PKfPKiPfiiiiiiiiiiiiiiii: ; @_ZL9mul_mat_fI7__half2Li32ELi13ELi4ELb0EEvPKT_PKfPKiPfiiiiiiiiiiiiiiii
; %bb.0:
	s_add_u32 s8, s0, 0x60
	s_addc_u32 s9, s1, 0
	s_getpc_b64 s[0:1]
	s_add_u32 s0, s0, __FUNCTION__._ZL9mul_mat_fIfLi32ELi13ELi1ELb1EEvPKT_PKfPKiPfiiiiiiiiiiiiiiii@rel32@lo+4
	s_addc_u32 s1, s1, __FUNCTION__._ZL9mul_mat_fIfLi32ELi13ELi1ELb1EEvPKT_PKfPKiPfiiiiiiiiiiiiiiii@rel32@hi+12
	s_getpc_b64 s[2:3]
	s_add_u32 s2, s2, _ZL14no_device_codePKciS0_iS0_@rel32@lo+4
	s_addc_u32 s3, s3, _ZL14no_device_codePKciS0_iS0_@rel32@hi+12
	v_mov_b32_e32 v0, 64
	v_mov_b32_e32 v1, s0
	;; [unrolled: 1-line block ×3, first 2 shown]
	s_mov_b32 s32, 0
	s_swappc_b64 s[30:31], s[2:3]
	.section	.rodata,"a",@progbits
	.p2align	6, 0x0
	.amdhsa_kernel _ZL9mul_mat_fI7__half2Li32ELi13ELi4ELb0EEvPKT_PKfPKiPfiiiiiiiiiiiiiiii
		.amdhsa_group_segment_fixed_size 0
		.amdhsa_private_segment_fixed_size 16
		.amdhsa_kernarg_size 352
		.amdhsa_user_sgpr_count 2
		.amdhsa_user_sgpr_dispatch_ptr 0
		.amdhsa_user_sgpr_queue_ptr 0
		.amdhsa_user_sgpr_kernarg_segment_ptr 1
		.amdhsa_user_sgpr_dispatch_id 0
		.amdhsa_user_sgpr_kernarg_preload_length 0
		.amdhsa_user_sgpr_kernarg_preload_offset 0
		.amdhsa_user_sgpr_private_segment_size 0
		.amdhsa_uses_dynamic_stack 0
		.amdhsa_enable_private_segment 1
		.amdhsa_system_sgpr_workgroup_id_x 1
		.amdhsa_system_sgpr_workgroup_id_y 0
		.amdhsa_system_sgpr_workgroup_id_z 0
		.amdhsa_system_sgpr_workgroup_info 0
		.amdhsa_system_vgpr_workitem_id 0
		.amdhsa_next_free_vgpr 38
		.amdhsa_next_free_sgpr 34
		.amdhsa_accum_offset 40
		.amdhsa_reserve_vcc 1
		.amdhsa_float_round_mode_32 0
		.amdhsa_float_round_mode_16_64 0
		.amdhsa_float_denorm_mode_32 3
		.amdhsa_float_denorm_mode_16_64 3
		.amdhsa_dx10_clamp 1
		.amdhsa_ieee_mode 1
		.amdhsa_fp16_overflow 0
		.amdhsa_tg_split 0
		.amdhsa_exception_fp_ieee_invalid_op 0
		.amdhsa_exception_fp_denorm_src 0
		.amdhsa_exception_fp_ieee_div_zero 0
		.amdhsa_exception_fp_ieee_overflow 0
		.amdhsa_exception_fp_ieee_underflow 0
		.amdhsa_exception_fp_ieee_inexact 0
		.amdhsa_exception_int_div_zero 0
	.end_amdhsa_kernel
	.section	.text._ZL9mul_mat_fI7__half2Li32ELi13ELi4ELb0EEvPKT_PKfPKiPfiiiiiiiiiiiiiiii,"axG",@progbits,_ZL9mul_mat_fI7__half2Li32ELi13ELi4ELb0EEvPKT_PKfPKiPfiiiiiiiiiiiiiiii,comdat
.Lfunc_end38:
	.size	_ZL9mul_mat_fI7__half2Li32ELi13ELi4ELb0EEvPKT_PKfPKiPfiiiiiiiiiiiiiiii, .Lfunc_end38-_ZL9mul_mat_fI7__half2Li32ELi13ELi4ELb0EEvPKT_PKfPKiPfiiiiiiiiiiiiiiii
                                        ; -- End function
	.set _ZL9mul_mat_fI7__half2Li32ELi13ELi4ELb0EEvPKT_PKfPKiPfiiiiiiiiiiiiiiii.num_vgpr, max(3, .L_ZL14no_device_codePKciS0_iS0_.num_vgpr)
	.set _ZL9mul_mat_fI7__half2Li32ELi13ELi4ELb0EEvPKT_PKfPKiPfiiiiiiiiiiiiiiii.num_agpr, max(0, .L_ZL14no_device_codePKciS0_iS0_.num_agpr)
	.set _ZL9mul_mat_fI7__half2Li32ELi13ELi4ELb0EEvPKT_PKfPKiPfiiiiiiiiiiiiiiii.numbered_sgpr, max(33, .L_ZL14no_device_codePKciS0_iS0_.numbered_sgpr)
	.set _ZL9mul_mat_fI7__half2Li32ELi13ELi4ELb0EEvPKT_PKfPKiPfiiiiiiiiiiiiiiii.num_named_barrier, max(0, .L_ZL14no_device_codePKciS0_iS0_.num_named_barrier)
	.set _ZL9mul_mat_fI7__half2Li32ELi13ELi4ELb0EEvPKT_PKfPKiPfiiiiiiiiiiiiiiii.private_seg_size, 0+max(.L_ZL14no_device_codePKciS0_iS0_.private_seg_size)
	.set _ZL9mul_mat_fI7__half2Li32ELi13ELi4ELb0EEvPKT_PKfPKiPfiiiiiiiiiiiiiiii.uses_vcc, or(1, .L_ZL14no_device_codePKciS0_iS0_.uses_vcc)
	.set _ZL9mul_mat_fI7__half2Li32ELi13ELi4ELb0EEvPKT_PKfPKiPfiiiiiiiiiiiiiiii.uses_flat_scratch, or(0, .L_ZL14no_device_codePKciS0_iS0_.uses_flat_scratch)
	.set _ZL9mul_mat_fI7__half2Li32ELi13ELi4ELb0EEvPKT_PKfPKiPfiiiiiiiiiiiiiiii.has_dyn_sized_stack, or(0, .L_ZL14no_device_codePKciS0_iS0_.has_dyn_sized_stack)
	.set _ZL9mul_mat_fI7__half2Li32ELi13ELi4ELb0EEvPKT_PKfPKiPfiiiiiiiiiiiiiiii.has_recursion, or(0, .L_ZL14no_device_codePKciS0_iS0_.has_recursion)
	.set _ZL9mul_mat_fI7__half2Li32ELi13ELi4ELb0EEvPKT_PKfPKiPfiiiiiiiiiiiiiiii.has_indirect_call, or(0, .L_ZL14no_device_codePKciS0_iS0_.has_indirect_call)
	.section	.AMDGPU.csdata,"",@progbits
; Kernel info:
; codeLenInByte = 72
; TotalNumSgprs: 40
; NumVgprs: 38
; NumAgprs: 0
; TotalNumVgprs: 38
; ScratchSize: 16
; MemoryBound: 0
; FloatMode: 240
; IeeeMode: 1
; LDSByteSize: 0 bytes/workgroup (compile time only)
; SGPRBlocks: 4
; VGPRBlocks: 4
; NumSGPRsForWavesPerEU: 40
; NumVGPRsForWavesPerEU: 38
; AccumOffset: 40
; Occupancy: 8
; WaveLimiterHint : 1
; COMPUTE_PGM_RSRC2:SCRATCH_EN: 1
; COMPUTE_PGM_RSRC2:USER_SGPR: 2
; COMPUTE_PGM_RSRC2:TRAP_HANDLER: 0
; COMPUTE_PGM_RSRC2:TGID_X_EN: 1
; COMPUTE_PGM_RSRC2:TGID_Y_EN: 0
; COMPUTE_PGM_RSRC2:TGID_Z_EN: 0
; COMPUTE_PGM_RSRC2:TIDIG_COMP_CNT: 0
; COMPUTE_PGM_RSRC3_GFX90A:ACCUM_OFFSET: 9
; COMPUTE_PGM_RSRC3_GFX90A:TG_SPLIT: 0
	.section	.text._ZL13mul_mat_f_idsI7__half2Li32ELi13ELi5EEvPKT_PKfPKiS7_S7_Pfiiiiiiiiiiiiii15HIP_vector_typeIjLj3EESA_,"axG",@progbits,_ZL13mul_mat_f_idsI7__half2Li32ELi13ELi5EEvPKT_PKfPKiS7_S7_Pfiiiiiiiiiiiiii15HIP_vector_typeIjLj3EESA_,comdat
	.globl	_ZL13mul_mat_f_idsI7__half2Li32ELi13ELi5EEvPKT_PKfPKiS7_S7_Pfiiiiiiiiiiiiii15HIP_vector_typeIjLj3EESA_ ; -- Begin function _ZL13mul_mat_f_idsI7__half2Li32ELi13ELi5EEvPKT_PKfPKiS7_S7_Pfiiiiiiiiiiiiii15HIP_vector_typeIjLj3EESA_
	.p2align	8
	.type	_ZL13mul_mat_f_idsI7__half2Li32ELi13ELi5EEvPKT_PKfPKiS7_S7_Pfiiiiiiiiiiiiii15HIP_vector_typeIjLj3EESA_,@function
_ZL13mul_mat_f_idsI7__half2Li32ELi13ELi5EEvPKT_PKfPKiS7_S7_Pfiiiiiiiiiiiiii15HIP_vector_typeIjLj3EESA_: ; @_ZL13mul_mat_f_idsI7__half2Li32ELi13ELi5EEvPKT_PKfPKiS7_S7_Pfiiiiiiiiiiiiii15HIP_vector_typeIjLj3EESA_
; %bb.0:
	s_add_u32 s8, s0, 0x80
	s_addc_u32 s9, s1, 0
	s_getpc_b64 s[0:1]
	s_add_u32 s0, s0, __FUNCTION__._ZL13mul_mat_f_idsIfLi32ELi13ELi1EEvPKT_PKfPKiS6_S6_Pfiiiiiiiiiiiiii15HIP_vector_typeIjLj3EES9_@rel32@lo+4
	s_addc_u32 s1, s1, __FUNCTION__._ZL13mul_mat_f_idsIfLi32ELi13ELi1EEvPKT_PKfPKiS6_S6_Pfiiiiiiiiiiiiii15HIP_vector_typeIjLj3EES9_@rel32@hi+12
	s_getpc_b64 s[2:3]
	s_add_u32 s2, s2, _ZL14no_device_codePKciS0_iS0_@rel32@lo+4
	s_addc_u32 s3, s3, _ZL14no_device_codePKciS0_iS0_@rel32@hi+12
	v_mov_b32_e32 v0, 0x13b
	v_mov_b32_e32 v1, s0
	;; [unrolled: 1-line block ×3, first 2 shown]
	s_mov_b32 s32, 0
	s_swappc_b64 s[30:31], s[2:3]
	.section	.rodata,"a",@progbits
	.p2align	6, 0x0
	.amdhsa_kernel _ZL13mul_mat_f_idsI7__half2Li32ELi13ELi5EEvPKT_PKfPKiS7_S7_Pfiiiiiiiiiiiiii15HIP_vector_typeIjLj3EESA_
		.amdhsa_group_segment_fixed_size 0
		.amdhsa_private_segment_fixed_size 16
		.amdhsa_kernarg_size 384
		.amdhsa_user_sgpr_count 2
		.amdhsa_user_sgpr_dispatch_ptr 0
		.amdhsa_user_sgpr_queue_ptr 0
		.amdhsa_user_sgpr_kernarg_segment_ptr 1
		.amdhsa_user_sgpr_dispatch_id 0
		.amdhsa_user_sgpr_kernarg_preload_length 0
		.amdhsa_user_sgpr_kernarg_preload_offset 0
		.amdhsa_user_sgpr_private_segment_size 0
		.amdhsa_uses_dynamic_stack 0
		.amdhsa_enable_private_segment 1
		.amdhsa_system_sgpr_workgroup_id_x 1
		.amdhsa_system_sgpr_workgroup_id_y 0
		.amdhsa_system_sgpr_workgroup_id_z 0
		.amdhsa_system_sgpr_workgroup_info 0
		.amdhsa_system_vgpr_workitem_id 0
		.amdhsa_next_free_vgpr 38
		.amdhsa_next_free_sgpr 34
		.amdhsa_accum_offset 40
		.amdhsa_reserve_vcc 1
		.amdhsa_float_round_mode_32 0
		.amdhsa_float_round_mode_16_64 0
		.amdhsa_float_denorm_mode_32 3
		.amdhsa_float_denorm_mode_16_64 3
		.amdhsa_dx10_clamp 1
		.amdhsa_ieee_mode 1
		.amdhsa_fp16_overflow 0
		.amdhsa_tg_split 0
		.amdhsa_exception_fp_ieee_invalid_op 0
		.amdhsa_exception_fp_denorm_src 0
		.amdhsa_exception_fp_ieee_div_zero 0
		.amdhsa_exception_fp_ieee_overflow 0
		.amdhsa_exception_fp_ieee_underflow 0
		.amdhsa_exception_fp_ieee_inexact 0
		.amdhsa_exception_int_div_zero 0
	.end_amdhsa_kernel
	.section	.text._ZL13mul_mat_f_idsI7__half2Li32ELi13ELi5EEvPKT_PKfPKiS7_S7_Pfiiiiiiiiiiiiii15HIP_vector_typeIjLj3EESA_,"axG",@progbits,_ZL13mul_mat_f_idsI7__half2Li32ELi13ELi5EEvPKT_PKfPKiS7_S7_Pfiiiiiiiiiiiiii15HIP_vector_typeIjLj3EESA_,comdat
.Lfunc_end39:
	.size	_ZL13mul_mat_f_idsI7__half2Li32ELi13ELi5EEvPKT_PKfPKiS7_S7_Pfiiiiiiiiiiiiii15HIP_vector_typeIjLj3EESA_, .Lfunc_end39-_ZL13mul_mat_f_idsI7__half2Li32ELi13ELi5EEvPKT_PKfPKiS7_S7_Pfiiiiiiiiiiiiii15HIP_vector_typeIjLj3EESA_
                                        ; -- End function
	.set _ZL13mul_mat_f_idsI7__half2Li32ELi13ELi5EEvPKT_PKfPKiS7_S7_Pfiiiiiiiiiiiiii15HIP_vector_typeIjLj3EESA_.num_vgpr, max(3, .L_ZL14no_device_codePKciS0_iS0_.num_vgpr)
	.set _ZL13mul_mat_f_idsI7__half2Li32ELi13ELi5EEvPKT_PKfPKiS7_S7_Pfiiiiiiiiiiiiii15HIP_vector_typeIjLj3EESA_.num_agpr, max(0, .L_ZL14no_device_codePKciS0_iS0_.num_agpr)
	.set _ZL13mul_mat_f_idsI7__half2Li32ELi13ELi5EEvPKT_PKfPKiS7_S7_Pfiiiiiiiiiiiiii15HIP_vector_typeIjLj3EESA_.numbered_sgpr, max(33, .L_ZL14no_device_codePKciS0_iS0_.numbered_sgpr)
	.set _ZL13mul_mat_f_idsI7__half2Li32ELi13ELi5EEvPKT_PKfPKiS7_S7_Pfiiiiiiiiiiiiii15HIP_vector_typeIjLj3EESA_.num_named_barrier, max(0, .L_ZL14no_device_codePKciS0_iS0_.num_named_barrier)
	.set _ZL13mul_mat_f_idsI7__half2Li32ELi13ELi5EEvPKT_PKfPKiS7_S7_Pfiiiiiiiiiiiiii15HIP_vector_typeIjLj3EESA_.private_seg_size, 0+max(.L_ZL14no_device_codePKciS0_iS0_.private_seg_size)
	.set _ZL13mul_mat_f_idsI7__half2Li32ELi13ELi5EEvPKT_PKfPKiS7_S7_Pfiiiiiiiiiiiiii15HIP_vector_typeIjLj3EESA_.uses_vcc, or(1, .L_ZL14no_device_codePKciS0_iS0_.uses_vcc)
	.set _ZL13mul_mat_f_idsI7__half2Li32ELi13ELi5EEvPKT_PKfPKiS7_S7_Pfiiiiiiiiiiiiii15HIP_vector_typeIjLj3EESA_.uses_flat_scratch, or(0, .L_ZL14no_device_codePKciS0_iS0_.uses_flat_scratch)
	.set _ZL13mul_mat_f_idsI7__half2Li32ELi13ELi5EEvPKT_PKfPKiS7_S7_Pfiiiiiiiiiiiiii15HIP_vector_typeIjLj3EESA_.has_dyn_sized_stack, or(0, .L_ZL14no_device_codePKciS0_iS0_.has_dyn_sized_stack)
	.set _ZL13mul_mat_f_idsI7__half2Li32ELi13ELi5EEvPKT_PKfPKiS7_S7_Pfiiiiiiiiiiiiii15HIP_vector_typeIjLj3EESA_.has_recursion, or(0, .L_ZL14no_device_codePKciS0_iS0_.has_recursion)
	.set _ZL13mul_mat_f_idsI7__half2Li32ELi13ELi5EEvPKT_PKfPKiS7_S7_Pfiiiiiiiiiiiiii15HIP_vector_typeIjLj3EESA_.has_indirect_call, or(0, .L_ZL14no_device_codePKciS0_iS0_.has_indirect_call)
	.section	.AMDGPU.csdata,"",@progbits
; Kernel info:
; codeLenInByte = 76
; TotalNumSgprs: 40
; NumVgprs: 38
; NumAgprs: 0
; TotalNumVgprs: 38
; ScratchSize: 16
; MemoryBound: 0
; FloatMode: 240
; IeeeMode: 1
; LDSByteSize: 0 bytes/workgroup (compile time only)
; SGPRBlocks: 4
; VGPRBlocks: 4
; NumSGPRsForWavesPerEU: 40
; NumVGPRsForWavesPerEU: 38
; AccumOffset: 40
; Occupancy: 8
; WaveLimiterHint : 1
; COMPUTE_PGM_RSRC2:SCRATCH_EN: 1
; COMPUTE_PGM_RSRC2:USER_SGPR: 2
; COMPUTE_PGM_RSRC2:TRAP_HANDLER: 0
; COMPUTE_PGM_RSRC2:TGID_X_EN: 1
; COMPUTE_PGM_RSRC2:TGID_Y_EN: 0
; COMPUTE_PGM_RSRC2:TGID_Z_EN: 0
; COMPUTE_PGM_RSRC2:TIDIG_COMP_CNT: 0
; COMPUTE_PGM_RSRC3_GFX90A:ACCUM_OFFSET: 9
; COMPUTE_PGM_RSRC3_GFX90A:TG_SPLIT: 0
	.section	.text._ZL9mul_mat_fI7__half2Li32ELi13ELi5ELb1EEvPKT_PKfPKiPfiiiiiiiiiiiiiiii,"axG",@progbits,_ZL9mul_mat_fI7__half2Li32ELi13ELi5ELb1EEvPKT_PKfPKiPfiiiiiiiiiiiiiiii,comdat
	.globl	_ZL9mul_mat_fI7__half2Li32ELi13ELi5ELb1EEvPKT_PKfPKiPfiiiiiiiiiiiiiiii ; -- Begin function _ZL9mul_mat_fI7__half2Li32ELi13ELi5ELb1EEvPKT_PKfPKiPfiiiiiiiiiiiiiiii
	.p2align	8
	.type	_ZL9mul_mat_fI7__half2Li32ELi13ELi5ELb1EEvPKT_PKfPKiPfiiiiiiiiiiiiiiii,@function
_ZL9mul_mat_fI7__half2Li32ELi13ELi5ELb1EEvPKT_PKfPKiPfiiiiiiiiiiiiiiii: ; @_ZL9mul_mat_fI7__half2Li32ELi13ELi5ELb1EEvPKT_PKfPKiPfiiiiiiiiiiiiiiii
; %bb.0:
	s_add_u32 s8, s0, 0x60
	s_addc_u32 s9, s1, 0
	s_getpc_b64 s[0:1]
	s_add_u32 s0, s0, __FUNCTION__._ZL9mul_mat_fIfLi32ELi13ELi1ELb1EEvPKT_PKfPKiPfiiiiiiiiiiiiiiii@rel32@lo+4
	s_addc_u32 s1, s1, __FUNCTION__._ZL9mul_mat_fIfLi32ELi13ELi1ELb1EEvPKT_PKfPKiPfiiiiiiiiiiiiiiii@rel32@hi+12
	s_getpc_b64 s[2:3]
	s_add_u32 s2, s2, _ZL14no_device_codePKciS0_iS0_@rel32@lo+4
	s_addc_u32 s3, s3, _ZL14no_device_codePKciS0_iS0_@rel32@hi+12
	v_mov_b32_e32 v0, 64
	v_mov_b32_e32 v1, s0
	;; [unrolled: 1-line block ×3, first 2 shown]
	s_mov_b32 s32, 0
	s_swappc_b64 s[30:31], s[2:3]
	.section	.rodata,"a",@progbits
	.p2align	6, 0x0
	.amdhsa_kernel _ZL9mul_mat_fI7__half2Li32ELi13ELi5ELb1EEvPKT_PKfPKiPfiiiiiiiiiiiiiiii
		.amdhsa_group_segment_fixed_size 0
		.amdhsa_private_segment_fixed_size 16
		.amdhsa_kernarg_size 352
		.amdhsa_user_sgpr_count 2
		.amdhsa_user_sgpr_dispatch_ptr 0
		.amdhsa_user_sgpr_queue_ptr 0
		.amdhsa_user_sgpr_kernarg_segment_ptr 1
		.amdhsa_user_sgpr_dispatch_id 0
		.amdhsa_user_sgpr_kernarg_preload_length 0
		.amdhsa_user_sgpr_kernarg_preload_offset 0
		.amdhsa_user_sgpr_private_segment_size 0
		.amdhsa_uses_dynamic_stack 0
		.amdhsa_enable_private_segment 1
		.amdhsa_system_sgpr_workgroup_id_x 1
		.amdhsa_system_sgpr_workgroup_id_y 0
		.amdhsa_system_sgpr_workgroup_id_z 0
		.amdhsa_system_sgpr_workgroup_info 0
		.amdhsa_system_vgpr_workitem_id 0
		.amdhsa_next_free_vgpr 38
		.amdhsa_next_free_sgpr 34
		.amdhsa_accum_offset 40
		.amdhsa_reserve_vcc 1
		.amdhsa_float_round_mode_32 0
		.amdhsa_float_round_mode_16_64 0
		.amdhsa_float_denorm_mode_32 3
		.amdhsa_float_denorm_mode_16_64 3
		.amdhsa_dx10_clamp 1
		.amdhsa_ieee_mode 1
		.amdhsa_fp16_overflow 0
		.amdhsa_tg_split 0
		.amdhsa_exception_fp_ieee_invalid_op 0
		.amdhsa_exception_fp_denorm_src 0
		.amdhsa_exception_fp_ieee_div_zero 0
		.amdhsa_exception_fp_ieee_overflow 0
		.amdhsa_exception_fp_ieee_underflow 0
		.amdhsa_exception_fp_ieee_inexact 0
		.amdhsa_exception_int_div_zero 0
	.end_amdhsa_kernel
	.section	.text._ZL9mul_mat_fI7__half2Li32ELi13ELi5ELb1EEvPKT_PKfPKiPfiiiiiiiiiiiiiiii,"axG",@progbits,_ZL9mul_mat_fI7__half2Li32ELi13ELi5ELb1EEvPKT_PKfPKiPfiiiiiiiiiiiiiiii,comdat
.Lfunc_end40:
	.size	_ZL9mul_mat_fI7__half2Li32ELi13ELi5ELb1EEvPKT_PKfPKiPfiiiiiiiiiiiiiiii, .Lfunc_end40-_ZL9mul_mat_fI7__half2Li32ELi13ELi5ELb1EEvPKT_PKfPKiPfiiiiiiiiiiiiiiii
                                        ; -- End function
	.set _ZL9mul_mat_fI7__half2Li32ELi13ELi5ELb1EEvPKT_PKfPKiPfiiiiiiiiiiiiiiii.num_vgpr, max(3, .L_ZL14no_device_codePKciS0_iS0_.num_vgpr)
	.set _ZL9mul_mat_fI7__half2Li32ELi13ELi5ELb1EEvPKT_PKfPKiPfiiiiiiiiiiiiiiii.num_agpr, max(0, .L_ZL14no_device_codePKciS0_iS0_.num_agpr)
	.set _ZL9mul_mat_fI7__half2Li32ELi13ELi5ELb1EEvPKT_PKfPKiPfiiiiiiiiiiiiiiii.numbered_sgpr, max(33, .L_ZL14no_device_codePKciS0_iS0_.numbered_sgpr)
	.set _ZL9mul_mat_fI7__half2Li32ELi13ELi5ELb1EEvPKT_PKfPKiPfiiiiiiiiiiiiiiii.num_named_barrier, max(0, .L_ZL14no_device_codePKciS0_iS0_.num_named_barrier)
	.set _ZL9mul_mat_fI7__half2Li32ELi13ELi5ELb1EEvPKT_PKfPKiPfiiiiiiiiiiiiiiii.private_seg_size, 0+max(.L_ZL14no_device_codePKciS0_iS0_.private_seg_size)
	.set _ZL9mul_mat_fI7__half2Li32ELi13ELi5ELb1EEvPKT_PKfPKiPfiiiiiiiiiiiiiiii.uses_vcc, or(1, .L_ZL14no_device_codePKciS0_iS0_.uses_vcc)
	.set _ZL9mul_mat_fI7__half2Li32ELi13ELi5ELb1EEvPKT_PKfPKiPfiiiiiiiiiiiiiiii.uses_flat_scratch, or(0, .L_ZL14no_device_codePKciS0_iS0_.uses_flat_scratch)
	.set _ZL9mul_mat_fI7__half2Li32ELi13ELi5ELb1EEvPKT_PKfPKiPfiiiiiiiiiiiiiiii.has_dyn_sized_stack, or(0, .L_ZL14no_device_codePKciS0_iS0_.has_dyn_sized_stack)
	.set _ZL9mul_mat_fI7__half2Li32ELi13ELi5ELb1EEvPKT_PKfPKiPfiiiiiiiiiiiiiiii.has_recursion, or(0, .L_ZL14no_device_codePKciS0_iS0_.has_recursion)
	.set _ZL9mul_mat_fI7__half2Li32ELi13ELi5ELb1EEvPKT_PKfPKiPfiiiiiiiiiiiiiiii.has_indirect_call, or(0, .L_ZL14no_device_codePKciS0_iS0_.has_indirect_call)
	.section	.AMDGPU.csdata,"",@progbits
; Kernel info:
; codeLenInByte = 72
; TotalNumSgprs: 40
; NumVgprs: 38
; NumAgprs: 0
; TotalNumVgprs: 38
; ScratchSize: 16
; MemoryBound: 0
; FloatMode: 240
; IeeeMode: 1
; LDSByteSize: 0 bytes/workgroup (compile time only)
; SGPRBlocks: 4
; VGPRBlocks: 4
; NumSGPRsForWavesPerEU: 40
; NumVGPRsForWavesPerEU: 38
; AccumOffset: 40
; Occupancy: 8
; WaveLimiterHint : 1
; COMPUTE_PGM_RSRC2:SCRATCH_EN: 1
; COMPUTE_PGM_RSRC2:USER_SGPR: 2
; COMPUTE_PGM_RSRC2:TRAP_HANDLER: 0
; COMPUTE_PGM_RSRC2:TGID_X_EN: 1
; COMPUTE_PGM_RSRC2:TGID_Y_EN: 0
; COMPUTE_PGM_RSRC2:TGID_Z_EN: 0
; COMPUTE_PGM_RSRC2:TIDIG_COMP_CNT: 0
; COMPUTE_PGM_RSRC3_GFX90A:ACCUM_OFFSET: 9
; COMPUTE_PGM_RSRC3_GFX90A:TG_SPLIT: 0
	.section	.text._ZL9mul_mat_fI7__half2Li32ELi13ELi5ELb0EEvPKT_PKfPKiPfiiiiiiiiiiiiiiii,"axG",@progbits,_ZL9mul_mat_fI7__half2Li32ELi13ELi5ELb0EEvPKT_PKfPKiPfiiiiiiiiiiiiiiii,comdat
	.globl	_ZL9mul_mat_fI7__half2Li32ELi13ELi5ELb0EEvPKT_PKfPKiPfiiiiiiiiiiiiiiii ; -- Begin function _ZL9mul_mat_fI7__half2Li32ELi13ELi5ELb0EEvPKT_PKfPKiPfiiiiiiiiiiiiiiii
	.p2align	8
	.type	_ZL9mul_mat_fI7__half2Li32ELi13ELi5ELb0EEvPKT_PKfPKiPfiiiiiiiiiiiiiiii,@function
_ZL9mul_mat_fI7__half2Li32ELi13ELi5ELb0EEvPKT_PKfPKiPfiiiiiiiiiiiiiiii: ; @_ZL9mul_mat_fI7__half2Li32ELi13ELi5ELb0EEvPKT_PKfPKiPfiiiiiiiiiiiiiiii
; %bb.0:
	s_add_u32 s8, s0, 0x60
	s_addc_u32 s9, s1, 0
	s_getpc_b64 s[0:1]
	s_add_u32 s0, s0, __FUNCTION__._ZL9mul_mat_fIfLi32ELi13ELi1ELb1EEvPKT_PKfPKiPfiiiiiiiiiiiiiiii@rel32@lo+4
	s_addc_u32 s1, s1, __FUNCTION__._ZL9mul_mat_fIfLi32ELi13ELi1ELb1EEvPKT_PKfPKiPfiiiiiiiiiiiiiiii@rel32@hi+12
	s_getpc_b64 s[2:3]
	s_add_u32 s2, s2, _ZL14no_device_codePKciS0_iS0_@rel32@lo+4
	s_addc_u32 s3, s3, _ZL14no_device_codePKciS0_iS0_@rel32@hi+12
	v_mov_b32_e32 v0, 64
	v_mov_b32_e32 v1, s0
	;; [unrolled: 1-line block ×3, first 2 shown]
	s_mov_b32 s32, 0
	s_swappc_b64 s[30:31], s[2:3]
	.section	.rodata,"a",@progbits
	.p2align	6, 0x0
	.amdhsa_kernel _ZL9mul_mat_fI7__half2Li32ELi13ELi5ELb0EEvPKT_PKfPKiPfiiiiiiiiiiiiiiii
		.amdhsa_group_segment_fixed_size 0
		.amdhsa_private_segment_fixed_size 16
		.amdhsa_kernarg_size 352
		.amdhsa_user_sgpr_count 2
		.amdhsa_user_sgpr_dispatch_ptr 0
		.amdhsa_user_sgpr_queue_ptr 0
		.amdhsa_user_sgpr_kernarg_segment_ptr 1
		.amdhsa_user_sgpr_dispatch_id 0
		.amdhsa_user_sgpr_kernarg_preload_length 0
		.amdhsa_user_sgpr_kernarg_preload_offset 0
		.amdhsa_user_sgpr_private_segment_size 0
		.amdhsa_uses_dynamic_stack 0
		.amdhsa_enable_private_segment 1
		.amdhsa_system_sgpr_workgroup_id_x 1
		.amdhsa_system_sgpr_workgroup_id_y 0
		.amdhsa_system_sgpr_workgroup_id_z 0
		.amdhsa_system_sgpr_workgroup_info 0
		.amdhsa_system_vgpr_workitem_id 0
		.amdhsa_next_free_vgpr 38
		.amdhsa_next_free_sgpr 34
		.amdhsa_accum_offset 40
		.amdhsa_reserve_vcc 1
		.amdhsa_float_round_mode_32 0
		.amdhsa_float_round_mode_16_64 0
		.amdhsa_float_denorm_mode_32 3
		.amdhsa_float_denorm_mode_16_64 3
		.amdhsa_dx10_clamp 1
		.amdhsa_ieee_mode 1
		.amdhsa_fp16_overflow 0
		.amdhsa_tg_split 0
		.amdhsa_exception_fp_ieee_invalid_op 0
		.amdhsa_exception_fp_denorm_src 0
		.amdhsa_exception_fp_ieee_div_zero 0
		.amdhsa_exception_fp_ieee_overflow 0
		.amdhsa_exception_fp_ieee_underflow 0
		.amdhsa_exception_fp_ieee_inexact 0
		.amdhsa_exception_int_div_zero 0
	.end_amdhsa_kernel
	.section	.text._ZL9mul_mat_fI7__half2Li32ELi13ELi5ELb0EEvPKT_PKfPKiPfiiiiiiiiiiiiiiii,"axG",@progbits,_ZL9mul_mat_fI7__half2Li32ELi13ELi5ELb0EEvPKT_PKfPKiPfiiiiiiiiiiiiiiii,comdat
.Lfunc_end41:
	.size	_ZL9mul_mat_fI7__half2Li32ELi13ELi5ELb0EEvPKT_PKfPKiPfiiiiiiiiiiiiiiii, .Lfunc_end41-_ZL9mul_mat_fI7__half2Li32ELi13ELi5ELb0EEvPKT_PKfPKiPfiiiiiiiiiiiiiiii
                                        ; -- End function
	.set _ZL9mul_mat_fI7__half2Li32ELi13ELi5ELb0EEvPKT_PKfPKiPfiiiiiiiiiiiiiiii.num_vgpr, max(3, .L_ZL14no_device_codePKciS0_iS0_.num_vgpr)
	.set _ZL9mul_mat_fI7__half2Li32ELi13ELi5ELb0EEvPKT_PKfPKiPfiiiiiiiiiiiiiiii.num_agpr, max(0, .L_ZL14no_device_codePKciS0_iS0_.num_agpr)
	.set _ZL9mul_mat_fI7__half2Li32ELi13ELi5ELb0EEvPKT_PKfPKiPfiiiiiiiiiiiiiiii.numbered_sgpr, max(33, .L_ZL14no_device_codePKciS0_iS0_.numbered_sgpr)
	.set _ZL9mul_mat_fI7__half2Li32ELi13ELi5ELb0EEvPKT_PKfPKiPfiiiiiiiiiiiiiiii.num_named_barrier, max(0, .L_ZL14no_device_codePKciS0_iS0_.num_named_barrier)
	.set _ZL9mul_mat_fI7__half2Li32ELi13ELi5ELb0EEvPKT_PKfPKiPfiiiiiiiiiiiiiiii.private_seg_size, 0+max(.L_ZL14no_device_codePKciS0_iS0_.private_seg_size)
	.set _ZL9mul_mat_fI7__half2Li32ELi13ELi5ELb0EEvPKT_PKfPKiPfiiiiiiiiiiiiiiii.uses_vcc, or(1, .L_ZL14no_device_codePKciS0_iS0_.uses_vcc)
	.set _ZL9mul_mat_fI7__half2Li32ELi13ELi5ELb0EEvPKT_PKfPKiPfiiiiiiiiiiiiiiii.uses_flat_scratch, or(0, .L_ZL14no_device_codePKciS0_iS0_.uses_flat_scratch)
	.set _ZL9mul_mat_fI7__half2Li32ELi13ELi5ELb0EEvPKT_PKfPKiPfiiiiiiiiiiiiiiii.has_dyn_sized_stack, or(0, .L_ZL14no_device_codePKciS0_iS0_.has_dyn_sized_stack)
	.set _ZL9mul_mat_fI7__half2Li32ELi13ELi5ELb0EEvPKT_PKfPKiPfiiiiiiiiiiiiiiii.has_recursion, or(0, .L_ZL14no_device_codePKciS0_iS0_.has_recursion)
	.set _ZL9mul_mat_fI7__half2Li32ELi13ELi5ELb0EEvPKT_PKfPKiPfiiiiiiiiiiiiiiii.has_indirect_call, or(0, .L_ZL14no_device_codePKciS0_iS0_.has_indirect_call)
	.section	.AMDGPU.csdata,"",@progbits
; Kernel info:
; codeLenInByte = 72
; TotalNumSgprs: 40
; NumVgprs: 38
; NumAgprs: 0
; TotalNumVgprs: 38
; ScratchSize: 16
; MemoryBound: 0
; FloatMode: 240
; IeeeMode: 1
; LDSByteSize: 0 bytes/workgroup (compile time only)
; SGPRBlocks: 4
; VGPRBlocks: 4
; NumSGPRsForWavesPerEU: 40
; NumVGPRsForWavesPerEU: 38
; AccumOffset: 40
; Occupancy: 8
; WaveLimiterHint : 1
; COMPUTE_PGM_RSRC2:SCRATCH_EN: 1
; COMPUTE_PGM_RSRC2:USER_SGPR: 2
; COMPUTE_PGM_RSRC2:TRAP_HANDLER: 0
; COMPUTE_PGM_RSRC2:TGID_X_EN: 1
; COMPUTE_PGM_RSRC2:TGID_Y_EN: 0
; COMPUTE_PGM_RSRC2:TGID_Z_EN: 0
; COMPUTE_PGM_RSRC2:TIDIG_COMP_CNT: 0
; COMPUTE_PGM_RSRC3_GFX90A:ACCUM_OFFSET: 9
; COMPUTE_PGM_RSRC3_GFX90A:TG_SPLIT: 0
	.section	.text._ZL13mul_mat_f_idsI7__half2Li32ELi13ELi6EEvPKT_PKfPKiS7_S7_Pfiiiiiiiiiiiiii15HIP_vector_typeIjLj3EESA_,"axG",@progbits,_ZL13mul_mat_f_idsI7__half2Li32ELi13ELi6EEvPKT_PKfPKiS7_S7_Pfiiiiiiiiiiiiii15HIP_vector_typeIjLj3EESA_,comdat
	.globl	_ZL13mul_mat_f_idsI7__half2Li32ELi13ELi6EEvPKT_PKfPKiS7_S7_Pfiiiiiiiiiiiiii15HIP_vector_typeIjLj3EESA_ ; -- Begin function _ZL13mul_mat_f_idsI7__half2Li32ELi13ELi6EEvPKT_PKfPKiS7_S7_Pfiiiiiiiiiiiiii15HIP_vector_typeIjLj3EESA_
	.p2align	8
	.type	_ZL13mul_mat_f_idsI7__half2Li32ELi13ELi6EEvPKT_PKfPKiS7_S7_Pfiiiiiiiiiiiiii15HIP_vector_typeIjLj3EESA_,@function
_ZL13mul_mat_f_idsI7__half2Li32ELi13ELi6EEvPKT_PKfPKiS7_S7_Pfiiiiiiiiiiiiii15HIP_vector_typeIjLj3EESA_: ; @_ZL13mul_mat_f_idsI7__half2Li32ELi13ELi6EEvPKT_PKfPKiS7_S7_Pfiiiiiiiiiiiiii15HIP_vector_typeIjLj3EESA_
; %bb.0:
	s_add_u32 s8, s0, 0x80
	s_addc_u32 s9, s1, 0
	s_getpc_b64 s[0:1]
	s_add_u32 s0, s0, __FUNCTION__._ZL13mul_mat_f_idsIfLi32ELi13ELi1EEvPKT_PKfPKiS6_S6_Pfiiiiiiiiiiiiii15HIP_vector_typeIjLj3EES9_@rel32@lo+4
	s_addc_u32 s1, s1, __FUNCTION__._ZL13mul_mat_f_idsIfLi32ELi13ELi1EEvPKT_PKfPKiS6_S6_Pfiiiiiiiiiiiiii15HIP_vector_typeIjLj3EES9_@rel32@hi+12
	s_getpc_b64 s[2:3]
	s_add_u32 s2, s2, _ZL14no_device_codePKciS0_iS0_@rel32@lo+4
	s_addc_u32 s3, s3, _ZL14no_device_codePKciS0_iS0_@rel32@hi+12
	v_mov_b32_e32 v0, 0x13b
	v_mov_b32_e32 v1, s0
	;; [unrolled: 1-line block ×3, first 2 shown]
	s_mov_b32 s32, 0
	s_swappc_b64 s[30:31], s[2:3]
	.section	.rodata,"a",@progbits
	.p2align	6, 0x0
	.amdhsa_kernel _ZL13mul_mat_f_idsI7__half2Li32ELi13ELi6EEvPKT_PKfPKiS7_S7_Pfiiiiiiiiiiiiii15HIP_vector_typeIjLj3EESA_
		.amdhsa_group_segment_fixed_size 0
		.amdhsa_private_segment_fixed_size 16
		.amdhsa_kernarg_size 384
		.amdhsa_user_sgpr_count 2
		.amdhsa_user_sgpr_dispatch_ptr 0
		.amdhsa_user_sgpr_queue_ptr 0
		.amdhsa_user_sgpr_kernarg_segment_ptr 1
		.amdhsa_user_sgpr_dispatch_id 0
		.amdhsa_user_sgpr_kernarg_preload_length 0
		.amdhsa_user_sgpr_kernarg_preload_offset 0
		.amdhsa_user_sgpr_private_segment_size 0
		.amdhsa_uses_dynamic_stack 0
		.amdhsa_enable_private_segment 1
		.amdhsa_system_sgpr_workgroup_id_x 1
		.amdhsa_system_sgpr_workgroup_id_y 0
		.amdhsa_system_sgpr_workgroup_id_z 0
		.amdhsa_system_sgpr_workgroup_info 0
		.amdhsa_system_vgpr_workitem_id 0
		.amdhsa_next_free_vgpr 38
		.amdhsa_next_free_sgpr 34
		.amdhsa_accum_offset 40
		.amdhsa_reserve_vcc 1
		.amdhsa_float_round_mode_32 0
		.amdhsa_float_round_mode_16_64 0
		.amdhsa_float_denorm_mode_32 3
		.amdhsa_float_denorm_mode_16_64 3
		.amdhsa_dx10_clamp 1
		.amdhsa_ieee_mode 1
		.amdhsa_fp16_overflow 0
		.amdhsa_tg_split 0
		.amdhsa_exception_fp_ieee_invalid_op 0
		.amdhsa_exception_fp_denorm_src 0
		.amdhsa_exception_fp_ieee_div_zero 0
		.amdhsa_exception_fp_ieee_overflow 0
		.amdhsa_exception_fp_ieee_underflow 0
		.amdhsa_exception_fp_ieee_inexact 0
		.amdhsa_exception_int_div_zero 0
	.end_amdhsa_kernel
	.section	.text._ZL13mul_mat_f_idsI7__half2Li32ELi13ELi6EEvPKT_PKfPKiS7_S7_Pfiiiiiiiiiiiiii15HIP_vector_typeIjLj3EESA_,"axG",@progbits,_ZL13mul_mat_f_idsI7__half2Li32ELi13ELi6EEvPKT_PKfPKiS7_S7_Pfiiiiiiiiiiiiii15HIP_vector_typeIjLj3EESA_,comdat
.Lfunc_end42:
	.size	_ZL13mul_mat_f_idsI7__half2Li32ELi13ELi6EEvPKT_PKfPKiS7_S7_Pfiiiiiiiiiiiiii15HIP_vector_typeIjLj3EESA_, .Lfunc_end42-_ZL13mul_mat_f_idsI7__half2Li32ELi13ELi6EEvPKT_PKfPKiS7_S7_Pfiiiiiiiiiiiiii15HIP_vector_typeIjLj3EESA_
                                        ; -- End function
	.set _ZL13mul_mat_f_idsI7__half2Li32ELi13ELi6EEvPKT_PKfPKiS7_S7_Pfiiiiiiiiiiiiii15HIP_vector_typeIjLj3EESA_.num_vgpr, max(3, .L_ZL14no_device_codePKciS0_iS0_.num_vgpr)
	.set _ZL13mul_mat_f_idsI7__half2Li32ELi13ELi6EEvPKT_PKfPKiS7_S7_Pfiiiiiiiiiiiiii15HIP_vector_typeIjLj3EESA_.num_agpr, max(0, .L_ZL14no_device_codePKciS0_iS0_.num_agpr)
	.set _ZL13mul_mat_f_idsI7__half2Li32ELi13ELi6EEvPKT_PKfPKiS7_S7_Pfiiiiiiiiiiiiii15HIP_vector_typeIjLj3EESA_.numbered_sgpr, max(33, .L_ZL14no_device_codePKciS0_iS0_.numbered_sgpr)
	.set _ZL13mul_mat_f_idsI7__half2Li32ELi13ELi6EEvPKT_PKfPKiS7_S7_Pfiiiiiiiiiiiiii15HIP_vector_typeIjLj3EESA_.num_named_barrier, max(0, .L_ZL14no_device_codePKciS0_iS0_.num_named_barrier)
	.set _ZL13mul_mat_f_idsI7__half2Li32ELi13ELi6EEvPKT_PKfPKiS7_S7_Pfiiiiiiiiiiiiii15HIP_vector_typeIjLj3EESA_.private_seg_size, 0+max(.L_ZL14no_device_codePKciS0_iS0_.private_seg_size)
	.set _ZL13mul_mat_f_idsI7__half2Li32ELi13ELi6EEvPKT_PKfPKiS7_S7_Pfiiiiiiiiiiiiii15HIP_vector_typeIjLj3EESA_.uses_vcc, or(1, .L_ZL14no_device_codePKciS0_iS0_.uses_vcc)
	.set _ZL13mul_mat_f_idsI7__half2Li32ELi13ELi6EEvPKT_PKfPKiS7_S7_Pfiiiiiiiiiiiiii15HIP_vector_typeIjLj3EESA_.uses_flat_scratch, or(0, .L_ZL14no_device_codePKciS0_iS0_.uses_flat_scratch)
	.set _ZL13mul_mat_f_idsI7__half2Li32ELi13ELi6EEvPKT_PKfPKiS7_S7_Pfiiiiiiiiiiiiii15HIP_vector_typeIjLj3EESA_.has_dyn_sized_stack, or(0, .L_ZL14no_device_codePKciS0_iS0_.has_dyn_sized_stack)
	.set _ZL13mul_mat_f_idsI7__half2Li32ELi13ELi6EEvPKT_PKfPKiS7_S7_Pfiiiiiiiiiiiiii15HIP_vector_typeIjLj3EESA_.has_recursion, or(0, .L_ZL14no_device_codePKciS0_iS0_.has_recursion)
	.set _ZL13mul_mat_f_idsI7__half2Li32ELi13ELi6EEvPKT_PKfPKiS7_S7_Pfiiiiiiiiiiiiii15HIP_vector_typeIjLj3EESA_.has_indirect_call, or(0, .L_ZL14no_device_codePKciS0_iS0_.has_indirect_call)
	.section	.AMDGPU.csdata,"",@progbits
; Kernel info:
; codeLenInByte = 76
; TotalNumSgprs: 40
; NumVgprs: 38
; NumAgprs: 0
; TotalNumVgprs: 38
; ScratchSize: 16
; MemoryBound: 0
; FloatMode: 240
; IeeeMode: 1
; LDSByteSize: 0 bytes/workgroup (compile time only)
; SGPRBlocks: 4
; VGPRBlocks: 4
; NumSGPRsForWavesPerEU: 40
; NumVGPRsForWavesPerEU: 38
; AccumOffset: 40
; Occupancy: 8
; WaveLimiterHint : 1
; COMPUTE_PGM_RSRC2:SCRATCH_EN: 1
; COMPUTE_PGM_RSRC2:USER_SGPR: 2
; COMPUTE_PGM_RSRC2:TRAP_HANDLER: 0
; COMPUTE_PGM_RSRC2:TGID_X_EN: 1
; COMPUTE_PGM_RSRC2:TGID_Y_EN: 0
; COMPUTE_PGM_RSRC2:TGID_Z_EN: 0
; COMPUTE_PGM_RSRC2:TIDIG_COMP_CNT: 0
; COMPUTE_PGM_RSRC3_GFX90A:ACCUM_OFFSET: 9
; COMPUTE_PGM_RSRC3_GFX90A:TG_SPLIT: 0
	.section	.text._ZL9mul_mat_fI7__half2Li32ELi13ELi6ELb1EEvPKT_PKfPKiPfiiiiiiiiiiiiiiii,"axG",@progbits,_ZL9mul_mat_fI7__half2Li32ELi13ELi6ELb1EEvPKT_PKfPKiPfiiiiiiiiiiiiiiii,comdat
	.globl	_ZL9mul_mat_fI7__half2Li32ELi13ELi6ELb1EEvPKT_PKfPKiPfiiiiiiiiiiiiiiii ; -- Begin function _ZL9mul_mat_fI7__half2Li32ELi13ELi6ELb1EEvPKT_PKfPKiPfiiiiiiiiiiiiiiii
	.p2align	8
	.type	_ZL9mul_mat_fI7__half2Li32ELi13ELi6ELb1EEvPKT_PKfPKiPfiiiiiiiiiiiiiiii,@function
_ZL9mul_mat_fI7__half2Li32ELi13ELi6ELb1EEvPKT_PKfPKiPfiiiiiiiiiiiiiiii: ; @_ZL9mul_mat_fI7__half2Li32ELi13ELi6ELb1EEvPKT_PKfPKiPfiiiiiiiiiiiiiiii
; %bb.0:
	s_add_u32 s8, s0, 0x60
	s_addc_u32 s9, s1, 0
	s_getpc_b64 s[0:1]
	s_add_u32 s0, s0, __FUNCTION__._ZL9mul_mat_fIfLi32ELi13ELi1ELb1EEvPKT_PKfPKiPfiiiiiiiiiiiiiiii@rel32@lo+4
	s_addc_u32 s1, s1, __FUNCTION__._ZL9mul_mat_fIfLi32ELi13ELi1ELb1EEvPKT_PKfPKiPfiiiiiiiiiiiiiiii@rel32@hi+12
	s_getpc_b64 s[2:3]
	s_add_u32 s2, s2, _ZL14no_device_codePKciS0_iS0_@rel32@lo+4
	s_addc_u32 s3, s3, _ZL14no_device_codePKciS0_iS0_@rel32@hi+12
	v_mov_b32_e32 v0, 64
	v_mov_b32_e32 v1, s0
	;; [unrolled: 1-line block ×3, first 2 shown]
	s_mov_b32 s32, 0
	s_swappc_b64 s[30:31], s[2:3]
	.section	.rodata,"a",@progbits
	.p2align	6, 0x0
	.amdhsa_kernel _ZL9mul_mat_fI7__half2Li32ELi13ELi6ELb1EEvPKT_PKfPKiPfiiiiiiiiiiiiiiii
		.amdhsa_group_segment_fixed_size 0
		.amdhsa_private_segment_fixed_size 16
		.amdhsa_kernarg_size 352
		.amdhsa_user_sgpr_count 2
		.amdhsa_user_sgpr_dispatch_ptr 0
		.amdhsa_user_sgpr_queue_ptr 0
		.amdhsa_user_sgpr_kernarg_segment_ptr 1
		.amdhsa_user_sgpr_dispatch_id 0
		.amdhsa_user_sgpr_kernarg_preload_length 0
		.amdhsa_user_sgpr_kernarg_preload_offset 0
		.amdhsa_user_sgpr_private_segment_size 0
		.amdhsa_uses_dynamic_stack 0
		.amdhsa_enable_private_segment 1
		.amdhsa_system_sgpr_workgroup_id_x 1
		.amdhsa_system_sgpr_workgroup_id_y 0
		.amdhsa_system_sgpr_workgroup_id_z 0
		.amdhsa_system_sgpr_workgroup_info 0
		.amdhsa_system_vgpr_workitem_id 0
		.amdhsa_next_free_vgpr 38
		.amdhsa_next_free_sgpr 34
		.amdhsa_accum_offset 40
		.amdhsa_reserve_vcc 1
		.amdhsa_float_round_mode_32 0
		.amdhsa_float_round_mode_16_64 0
		.amdhsa_float_denorm_mode_32 3
		.amdhsa_float_denorm_mode_16_64 3
		.amdhsa_dx10_clamp 1
		.amdhsa_ieee_mode 1
		.amdhsa_fp16_overflow 0
		.amdhsa_tg_split 0
		.amdhsa_exception_fp_ieee_invalid_op 0
		.amdhsa_exception_fp_denorm_src 0
		.amdhsa_exception_fp_ieee_div_zero 0
		.amdhsa_exception_fp_ieee_overflow 0
		.amdhsa_exception_fp_ieee_underflow 0
		.amdhsa_exception_fp_ieee_inexact 0
		.amdhsa_exception_int_div_zero 0
	.end_amdhsa_kernel
	.section	.text._ZL9mul_mat_fI7__half2Li32ELi13ELi6ELb1EEvPKT_PKfPKiPfiiiiiiiiiiiiiiii,"axG",@progbits,_ZL9mul_mat_fI7__half2Li32ELi13ELi6ELb1EEvPKT_PKfPKiPfiiiiiiiiiiiiiiii,comdat
.Lfunc_end43:
	.size	_ZL9mul_mat_fI7__half2Li32ELi13ELi6ELb1EEvPKT_PKfPKiPfiiiiiiiiiiiiiiii, .Lfunc_end43-_ZL9mul_mat_fI7__half2Li32ELi13ELi6ELb1EEvPKT_PKfPKiPfiiiiiiiiiiiiiiii
                                        ; -- End function
	.set _ZL9mul_mat_fI7__half2Li32ELi13ELi6ELb1EEvPKT_PKfPKiPfiiiiiiiiiiiiiiii.num_vgpr, max(3, .L_ZL14no_device_codePKciS0_iS0_.num_vgpr)
	.set _ZL9mul_mat_fI7__half2Li32ELi13ELi6ELb1EEvPKT_PKfPKiPfiiiiiiiiiiiiiiii.num_agpr, max(0, .L_ZL14no_device_codePKciS0_iS0_.num_agpr)
	.set _ZL9mul_mat_fI7__half2Li32ELi13ELi6ELb1EEvPKT_PKfPKiPfiiiiiiiiiiiiiiii.numbered_sgpr, max(33, .L_ZL14no_device_codePKciS0_iS0_.numbered_sgpr)
	.set _ZL9mul_mat_fI7__half2Li32ELi13ELi6ELb1EEvPKT_PKfPKiPfiiiiiiiiiiiiiiii.num_named_barrier, max(0, .L_ZL14no_device_codePKciS0_iS0_.num_named_barrier)
	.set _ZL9mul_mat_fI7__half2Li32ELi13ELi6ELb1EEvPKT_PKfPKiPfiiiiiiiiiiiiiiii.private_seg_size, 0+max(.L_ZL14no_device_codePKciS0_iS0_.private_seg_size)
	.set _ZL9mul_mat_fI7__half2Li32ELi13ELi6ELb1EEvPKT_PKfPKiPfiiiiiiiiiiiiiiii.uses_vcc, or(1, .L_ZL14no_device_codePKciS0_iS0_.uses_vcc)
	.set _ZL9mul_mat_fI7__half2Li32ELi13ELi6ELb1EEvPKT_PKfPKiPfiiiiiiiiiiiiiiii.uses_flat_scratch, or(0, .L_ZL14no_device_codePKciS0_iS0_.uses_flat_scratch)
	.set _ZL9mul_mat_fI7__half2Li32ELi13ELi6ELb1EEvPKT_PKfPKiPfiiiiiiiiiiiiiiii.has_dyn_sized_stack, or(0, .L_ZL14no_device_codePKciS0_iS0_.has_dyn_sized_stack)
	.set _ZL9mul_mat_fI7__half2Li32ELi13ELi6ELb1EEvPKT_PKfPKiPfiiiiiiiiiiiiiiii.has_recursion, or(0, .L_ZL14no_device_codePKciS0_iS0_.has_recursion)
	.set _ZL9mul_mat_fI7__half2Li32ELi13ELi6ELb1EEvPKT_PKfPKiPfiiiiiiiiiiiiiiii.has_indirect_call, or(0, .L_ZL14no_device_codePKciS0_iS0_.has_indirect_call)
	.section	.AMDGPU.csdata,"",@progbits
; Kernel info:
; codeLenInByte = 72
; TotalNumSgprs: 40
; NumVgprs: 38
; NumAgprs: 0
; TotalNumVgprs: 38
; ScratchSize: 16
; MemoryBound: 0
; FloatMode: 240
; IeeeMode: 1
; LDSByteSize: 0 bytes/workgroup (compile time only)
; SGPRBlocks: 4
; VGPRBlocks: 4
; NumSGPRsForWavesPerEU: 40
; NumVGPRsForWavesPerEU: 38
; AccumOffset: 40
; Occupancy: 8
; WaveLimiterHint : 1
; COMPUTE_PGM_RSRC2:SCRATCH_EN: 1
; COMPUTE_PGM_RSRC2:USER_SGPR: 2
; COMPUTE_PGM_RSRC2:TRAP_HANDLER: 0
; COMPUTE_PGM_RSRC2:TGID_X_EN: 1
; COMPUTE_PGM_RSRC2:TGID_Y_EN: 0
; COMPUTE_PGM_RSRC2:TGID_Z_EN: 0
; COMPUTE_PGM_RSRC2:TIDIG_COMP_CNT: 0
; COMPUTE_PGM_RSRC3_GFX90A:ACCUM_OFFSET: 9
; COMPUTE_PGM_RSRC3_GFX90A:TG_SPLIT: 0
	.section	.text._ZL9mul_mat_fI7__half2Li32ELi13ELi6ELb0EEvPKT_PKfPKiPfiiiiiiiiiiiiiiii,"axG",@progbits,_ZL9mul_mat_fI7__half2Li32ELi13ELi6ELb0EEvPKT_PKfPKiPfiiiiiiiiiiiiiiii,comdat
	.globl	_ZL9mul_mat_fI7__half2Li32ELi13ELi6ELb0EEvPKT_PKfPKiPfiiiiiiiiiiiiiiii ; -- Begin function _ZL9mul_mat_fI7__half2Li32ELi13ELi6ELb0EEvPKT_PKfPKiPfiiiiiiiiiiiiiiii
	.p2align	8
	.type	_ZL9mul_mat_fI7__half2Li32ELi13ELi6ELb0EEvPKT_PKfPKiPfiiiiiiiiiiiiiiii,@function
_ZL9mul_mat_fI7__half2Li32ELi13ELi6ELb0EEvPKT_PKfPKiPfiiiiiiiiiiiiiiii: ; @_ZL9mul_mat_fI7__half2Li32ELi13ELi6ELb0EEvPKT_PKfPKiPfiiiiiiiiiiiiiiii
; %bb.0:
	s_add_u32 s8, s0, 0x60
	s_addc_u32 s9, s1, 0
	s_getpc_b64 s[0:1]
	s_add_u32 s0, s0, __FUNCTION__._ZL9mul_mat_fIfLi32ELi13ELi1ELb1EEvPKT_PKfPKiPfiiiiiiiiiiiiiiii@rel32@lo+4
	s_addc_u32 s1, s1, __FUNCTION__._ZL9mul_mat_fIfLi32ELi13ELi1ELb1EEvPKT_PKfPKiPfiiiiiiiiiiiiiiii@rel32@hi+12
	s_getpc_b64 s[2:3]
	s_add_u32 s2, s2, _ZL14no_device_codePKciS0_iS0_@rel32@lo+4
	s_addc_u32 s3, s3, _ZL14no_device_codePKciS0_iS0_@rel32@hi+12
	v_mov_b32_e32 v0, 64
	v_mov_b32_e32 v1, s0
	v_mov_b32_e32 v2, s1
	s_mov_b32 s32, 0
	s_swappc_b64 s[30:31], s[2:3]
	.section	.rodata,"a",@progbits
	.p2align	6, 0x0
	.amdhsa_kernel _ZL9mul_mat_fI7__half2Li32ELi13ELi6ELb0EEvPKT_PKfPKiPfiiiiiiiiiiiiiiii
		.amdhsa_group_segment_fixed_size 0
		.amdhsa_private_segment_fixed_size 16
		.amdhsa_kernarg_size 352
		.amdhsa_user_sgpr_count 2
		.amdhsa_user_sgpr_dispatch_ptr 0
		.amdhsa_user_sgpr_queue_ptr 0
		.amdhsa_user_sgpr_kernarg_segment_ptr 1
		.amdhsa_user_sgpr_dispatch_id 0
		.amdhsa_user_sgpr_kernarg_preload_length 0
		.amdhsa_user_sgpr_kernarg_preload_offset 0
		.amdhsa_user_sgpr_private_segment_size 0
		.amdhsa_uses_dynamic_stack 0
		.amdhsa_enable_private_segment 1
		.amdhsa_system_sgpr_workgroup_id_x 1
		.amdhsa_system_sgpr_workgroup_id_y 0
		.amdhsa_system_sgpr_workgroup_id_z 0
		.amdhsa_system_sgpr_workgroup_info 0
		.amdhsa_system_vgpr_workitem_id 0
		.amdhsa_next_free_vgpr 38
		.amdhsa_next_free_sgpr 34
		.amdhsa_accum_offset 40
		.amdhsa_reserve_vcc 1
		.amdhsa_float_round_mode_32 0
		.amdhsa_float_round_mode_16_64 0
		.amdhsa_float_denorm_mode_32 3
		.amdhsa_float_denorm_mode_16_64 3
		.amdhsa_dx10_clamp 1
		.amdhsa_ieee_mode 1
		.amdhsa_fp16_overflow 0
		.amdhsa_tg_split 0
		.amdhsa_exception_fp_ieee_invalid_op 0
		.amdhsa_exception_fp_denorm_src 0
		.amdhsa_exception_fp_ieee_div_zero 0
		.amdhsa_exception_fp_ieee_overflow 0
		.amdhsa_exception_fp_ieee_underflow 0
		.amdhsa_exception_fp_ieee_inexact 0
		.amdhsa_exception_int_div_zero 0
	.end_amdhsa_kernel
	.section	.text._ZL9mul_mat_fI7__half2Li32ELi13ELi6ELb0EEvPKT_PKfPKiPfiiiiiiiiiiiiiiii,"axG",@progbits,_ZL9mul_mat_fI7__half2Li32ELi13ELi6ELb0EEvPKT_PKfPKiPfiiiiiiiiiiiiiiii,comdat
.Lfunc_end44:
	.size	_ZL9mul_mat_fI7__half2Li32ELi13ELi6ELb0EEvPKT_PKfPKiPfiiiiiiiiiiiiiiii, .Lfunc_end44-_ZL9mul_mat_fI7__half2Li32ELi13ELi6ELb0EEvPKT_PKfPKiPfiiiiiiiiiiiiiiii
                                        ; -- End function
	.set _ZL9mul_mat_fI7__half2Li32ELi13ELi6ELb0EEvPKT_PKfPKiPfiiiiiiiiiiiiiiii.num_vgpr, max(3, .L_ZL14no_device_codePKciS0_iS0_.num_vgpr)
	.set _ZL9mul_mat_fI7__half2Li32ELi13ELi6ELb0EEvPKT_PKfPKiPfiiiiiiiiiiiiiiii.num_agpr, max(0, .L_ZL14no_device_codePKciS0_iS0_.num_agpr)
	.set _ZL9mul_mat_fI7__half2Li32ELi13ELi6ELb0EEvPKT_PKfPKiPfiiiiiiiiiiiiiiii.numbered_sgpr, max(33, .L_ZL14no_device_codePKciS0_iS0_.numbered_sgpr)
	.set _ZL9mul_mat_fI7__half2Li32ELi13ELi6ELb0EEvPKT_PKfPKiPfiiiiiiiiiiiiiiii.num_named_barrier, max(0, .L_ZL14no_device_codePKciS0_iS0_.num_named_barrier)
	.set _ZL9mul_mat_fI7__half2Li32ELi13ELi6ELb0EEvPKT_PKfPKiPfiiiiiiiiiiiiiiii.private_seg_size, 0+max(.L_ZL14no_device_codePKciS0_iS0_.private_seg_size)
	.set _ZL9mul_mat_fI7__half2Li32ELi13ELi6ELb0EEvPKT_PKfPKiPfiiiiiiiiiiiiiiii.uses_vcc, or(1, .L_ZL14no_device_codePKciS0_iS0_.uses_vcc)
	.set _ZL9mul_mat_fI7__half2Li32ELi13ELi6ELb0EEvPKT_PKfPKiPfiiiiiiiiiiiiiiii.uses_flat_scratch, or(0, .L_ZL14no_device_codePKciS0_iS0_.uses_flat_scratch)
	.set _ZL9mul_mat_fI7__half2Li32ELi13ELi6ELb0EEvPKT_PKfPKiPfiiiiiiiiiiiiiiii.has_dyn_sized_stack, or(0, .L_ZL14no_device_codePKciS0_iS0_.has_dyn_sized_stack)
	.set _ZL9mul_mat_fI7__half2Li32ELi13ELi6ELb0EEvPKT_PKfPKiPfiiiiiiiiiiiiiiii.has_recursion, or(0, .L_ZL14no_device_codePKciS0_iS0_.has_recursion)
	.set _ZL9mul_mat_fI7__half2Li32ELi13ELi6ELb0EEvPKT_PKfPKiPfiiiiiiiiiiiiiiii.has_indirect_call, or(0, .L_ZL14no_device_codePKciS0_iS0_.has_indirect_call)
	.section	.AMDGPU.csdata,"",@progbits
; Kernel info:
; codeLenInByte = 72
; TotalNumSgprs: 40
; NumVgprs: 38
; NumAgprs: 0
; TotalNumVgprs: 38
; ScratchSize: 16
; MemoryBound: 0
; FloatMode: 240
; IeeeMode: 1
; LDSByteSize: 0 bytes/workgroup (compile time only)
; SGPRBlocks: 4
; VGPRBlocks: 4
; NumSGPRsForWavesPerEU: 40
; NumVGPRsForWavesPerEU: 38
; AccumOffset: 40
; Occupancy: 8
; WaveLimiterHint : 1
; COMPUTE_PGM_RSRC2:SCRATCH_EN: 1
; COMPUTE_PGM_RSRC2:USER_SGPR: 2
; COMPUTE_PGM_RSRC2:TRAP_HANDLER: 0
; COMPUTE_PGM_RSRC2:TGID_X_EN: 1
; COMPUTE_PGM_RSRC2:TGID_Y_EN: 0
; COMPUTE_PGM_RSRC2:TGID_Z_EN: 0
; COMPUTE_PGM_RSRC2:TIDIG_COMP_CNT: 0
; COMPUTE_PGM_RSRC3_GFX90A:ACCUM_OFFSET: 9
; COMPUTE_PGM_RSRC3_GFX90A:TG_SPLIT: 0
	.section	.text._ZL13mul_mat_f_idsI7__half2Li32ELi13ELi7EEvPKT_PKfPKiS7_S7_Pfiiiiiiiiiiiiii15HIP_vector_typeIjLj3EESA_,"axG",@progbits,_ZL13mul_mat_f_idsI7__half2Li32ELi13ELi7EEvPKT_PKfPKiS7_S7_Pfiiiiiiiiiiiiii15HIP_vector_typeIjLj3EESA_,comdat
	.globl	_ZL13mul_mat_f_idsI7__half2Li32ELi13ELi7EEvPKT_PKfPKiS7_S7_Pfiiiiiiiiiiiiii15HIP_vector_typeIjLj3EESA_ ; -- Begin function _ZL13mul_mat_f_idsI7__half2Li32ELi13ELi7EEvPKT_PKfPKiS7_S7_Pfiiiiiiiiiiiiii15HIP_vector_typeIjLj3EESA_
	.p2align	8
	.type	_ZL13mul_mat_f_idsI7__half2Li32ELi13ELi7EEvPKT_PKfPKiS7_S7_Pfiiiiiiiiiiiiii15HIP_vector_typeIjLj3EESA_,@function
_ZL13mul_mat_f_idsI7__half2Li32ELi13ELi7EEvPKT_PKfPKiS7_S7_Pfiiiiiiiiiiiiii15HIP_vector_typeIjLj3EESA_: ; @_ZL13mul_mat_f_idsI7__half2Li32ELi13ELi7EEvPKT_PKfPKiS7_S7_Pfiiiiiiiiiiiiii15HIP_vector_typeIjLj3EESA_
; %bb.0:
	s_add_u32 s8, s0, 0x80
	s_addc_u32 s9, s1, 0
	s_getpc_b64 s[0:1]
	s_add_u32 s0, s0, __FUNCTION__._ZL13mul_mat_f_idsIfLi32ELi13ELi1EEvPKT_PKfPKiS6_S6_Pfiiiiiiiiiiiiii15HIP_vector_typeIjLj3EES9_@rel32@lo+4
	s_addc_u32 s1, s1, __FUNCTION__._ZL13mul_mat_f_idsIfLi32ELi13ELi1EEvPKT_PKfPKiS6_S6_Pfiiiiiiiiiiiiii15HIP_vector_typeIjLj3EES9_@rel32@hi+12
	s_getpc_b64 s[2:3]
	s_add_u32 s2, s2, _ZL14no_device_codePKciS0_iS0_@rel32@lo+4
	s_addc_u32 s3, s3, _ZL14no_device_codePKciS0_iS0_@rel32@hi+12
	v_mov_b32_e32 v0, 0x13b
	v_mov_b32_e32 v1, s0
	;; [unrolled: 1-line block ×3, first 2 shown]
	s_mov_b32 s32, 0
	s_swappc_b64 s[30:31], s[2:3]
	.section	.rodata,"a",@progbits
	.p2align	6, 0x0
	.amdhsa_kernel _ZL13mul_mat_f_idsI7__half2Li32ELi13ELi7EEvPKT_PKfPKiS7_S7_Pfiiiiiiiiiiiiii15HIP_vector_typeIjLj3EESA_
		.amdhsa_group_segment_fixed_size 0
		.amdhsa_private_segment_fixed_size 16
		.amdhsa_kernarg_size 384
		.amdhsa_user_sgpr_count 2
		.amdhsa_user_sgpr_dispatch_ptr 0
		.amdhsa_user_sgpr_queue_ptr 0
		.amdhsa_user_sgpr_kernarg_segment_ptr 1
		.amdhsa_user_sgpr_dispatch_id 0
		.amdhsa_user_sgpr_kernarg_preload_length 0
		.amdhsa_user_sgpr_kernarg_preload_offset 0
		.amdhsa_user_sgpr_private_segment_size 0
		.amdhsa_uses_dynamic_stack 0
		.amdhsa_enable_private_segment 1
		.amdhsa_system_sgpr_workgroup_id_x 1
		.amdhsa_system_sgpr_workgroup_id_y 0
		.amdhsa_system_sgpr_workgroup_id_z 0
		.amdhsa_system_sgpr_workgroup_info 0
		.amdhsa_system_vgpr_workitem_id 0
		.amdhsa_next_free_vgpr 38
		.amdhsa_next_free_sgpr 34
		.amdhsa_accum_offset 40
		.amdhsa_reserve_vcc 1
		.amdhsa_float_round_mode_32 0
		.amdhsa_float_round_mode_16_64 0
		.amdhsa_float_denorm_mode_32 3
		.amdhsa_float_denorm_mode_16_64 3
		.amdhsa_dx10_clamp 1
		.amdhsa_ieee_mode 1
		.amdhsa_fp16_overflow 0
		.amdhsa_tg_split 0
		.amdhsa_exception_fp_ieee_invalid_op 0
		.amdhsa_exception_fp_denorm_src 0
		.amdhsa_exception_fp_ieee_div_zero 0
		.amdhsa_exception_fp_ieee_overflow 0
		.amdhsa_exception_fp_ieee_underflow 0
		.amdhsa_exception_fp_ieee_inexact 0
		.amdhsa_exception_int_div_zero 0
	.end_amdhsa_kernel
	.section	.text._ZL13mul_mat_f_idsI7__half2Li32ELi13ELi7EEvPKT_PKfPKiS7_S7_Pfiiiiiiiiiiiiii15HIP_vector_typeIjLj3EESA_,"axG",@progbits,_ZL13mul_mat_f_idsI7__half2Li32ELi13ELi7EEvPKT_PKfPKiS7_S7_Pfiiiiiiiiiiiiii15HIP_vector_typeIjLj3EESA_,comdat
.Lfunc_end45:
	.size	_ZL13mul_mat_f_idsI7__half2Li32ELi13ELi7EEvPKT_PKfPKiS7_S7_Pfiiiiiiiiiiiiii15HIP_vector_typeIjLj3EESA_, .Lfunc_end45-_ZL13mul_mat_f_idsI7__half2Li32ELi13ELi7EEvPKT_PKfPKiS7_S7_Pfiiiiiiiiiiiiii15HIP_vector_typeIjLj3EESA_
                                        ; -- End function
	.set _ZL13mul_mat_f_idsI7__half2Li32ELi13ELi7EEvPKT_PKfPKiS7_S7_Pfiiiiiiiiiiiiii15HIP_vector_typeIjLj3EESA_.num_vgpr, max(3, .L_ZL14no_device_codePKciS0_iS0_.num_vgpr)
	.set _ZL13mul_mat_f_idsI7__half2Li32ELi13ELi7EEvPKT_PKfPKiS7_S7_Pfiiiiiiiiiiiiii15HIP_vector_typeIjLj3EESA_.num_agpr, max(0, .L_ZL14no_device_codePKciS0_iS0_.num_agpr)
	.set _ZL13mul_mat_f_idsI7__half2Li32ELi13ELi7EEvPKT_PKfPKiS7_S7_Pfiiiiiiiiiiiiii15HIP_vector_typeIjLj3EESA_.numbered_sgpr, max(33, .L_ZL14no_device_codePKciS0_iS0_.numbered_sgpr)
	.set _ZL13mul_mat_f_idsI7__half2Li32ELi13ELi7EEvPKT_PKfPKiS7_S7_Pfiiiiiiiiiiiiii15HIP_vector_typeIjLj3EESA_.num_named_barrier, max(0, .L_ZL14no_device_codePKciS0_iS0_.num_named_barrier)
	.set _ZL13mul_mat_f_idsI7__half2Li32ELi13ELi7EEvPKT_PKfPKiS7_S7_Pfiiiiiiiiiiiiii15HIP_vector_typeIjLj3EESA_.private_seg_size, 0+max(.L_ZL14no_device_codePKciS0_iS0_.private_seg_size)
	.set _ZL13mul_mat_f_idsI7__half2Li32ELi13ELi7EEvPKT_PKfPKiS7_S7_Pfiiiiiiiiiiiiii15HIP_vector_typeIjLj3EESA_.uses_vcc, or(1, .L_ZL14no_device_codePKciS0_iS0_.uses_vcc)
	.set _ZL13mul_mat_f_idsI7__half2Li32ELi13ELi7EEvPKT_PKfPKiS7_S7_Pfiiiiiiiiiiiiii15HIP_vector_typeIjLj3EESA_.uses_flat_scratch, or(0, .L_ZL14no_device_codePKciS0_iS0_.uses_flat_scratch)
	.set _ZL13mul_mat_f_idsI7__half2Li32ELi13ELi7EEvPKT_PKfPKiS7_S7_Pfiiiiiiiiiiiiii15HIP_vector_typeIjLj3EESA_.has_dyn_sized_stack, or(0, .L_ZL14no_device_codePKciS0_iS0_.has_dyn_sized_stack)
	.set _ZL13mul_mat_f_idsI7__half2Li32ELi13ELi7EEvPKT_PKfPKiS7_S7_Pfiiiiiiiiiiiiii15HIP_vector_typeIjLj3EESA_.has_recursion, or(0, .L_ZL14no_device_codePKciS0_iS0_.has_recursion)
	.set _ZL13mul_mat_f_idsI7__half2Li32ELi13ELi7EEvPKT_PKfPKiS7_S7_Pfiiiiiiiiiiiiii15HIP_vector_typeIjLj3EESA_.has_indirect_call, or(0, .L_ZL14no_device_codePKciS0_iS0_.has_indirect_call)
	.section	.AMDGPU.csdata,"",@progbits
; Kernel info:
; codeLenInByte = 76
; TotalNumSgprs: 40
; NumVgprs: 38
; NumAgprs: 0
; TotalNumVgprs: 38
; ScratchSize: 16
; MemoryBound: 0
; FloatMode: 240
; IeeeMode: 1
; LDSByteSize: 0 bytes/workgroup (compile time only)
; SGPRBlocks: 4
; VGPRBlocks: 4
; NumSGPRsForWavesPerEU: 40
; NumVGPRsForWavesPerEU: 38
; AccumOffset: 40
; Occupancy: 8
; WaveLimiterHint : 1
; COMPUTE_PGM_RSRC2:SCRATCH_EN: 1
; COMPUTE_PGM_RSRC2:USER_SGPR: 2
; COMPUTE_PGM_RSRC2:TRAP_HANDLER: 0
; COMPUTE_PGM_RSRC2:TGID_X_EN: 1
; COMPUTE_PGM_RSRC2:TGID_Y_EN: 0
; COMPUTE_PGM_RSRC2:TGID_Z_EN: 0
; COMPUTE_PGM_RSRC2:TIDIG_COMP_CNT: 0
; COMPUTE_PGM_RSRC3_GFX90A:ACCUM_OFFSET: 9
; COMPUTE_PGM_RSRC3_GFX90A:TG_SPLIT: 0
	.section	.text._ZL9mul_mat_fI7__half2Li32ELi13ELi7ELb1EEvPKT_PKfPKiPfiiiiiiiiiiiiiiii,"axG",@progbits,_ZL9mul_mat_fI7__half2Li32ELi13ELi7ELb1EEvPKT_PKfPKiPfiiiiiiiiiiiiiiii,comdat
	.globl	_ZL9mul_mat_fI7__half2Li32ELi13ELi7ELb1EEvPKT_PKfPKiPfiiiiiiiiiiiiiiii ; -- Begin function _ZL9mul_mat_fI7__half2Li32ELi13ELi7ELb1EEvPKT_PKfPKiPfiiiiiiiiiiiiiiii
	.p2align	8
	.type	_ZL9mul_mat_fI7__half2Li32ELi13ELi7ELb1EEvPKT_PKfPKiPfiiiiiiiiiiiiiiii,@function
_ZL9mul_mat_fI7__half2Li32ELi13ELi7ELb1EEvPKT_PKfPKiPfiiiiiiiiiiiiiiii: ; @_ZL9mul_mat_fI7__half2Li32ELi13ELi7ELb1EEvPKT_PKfPKiPfiiiiiiiiiiiiiiii
; %bb.0:
	s_add_u32 s8, s0, 0x60
	s_addc_u32 s9, s1, 0
	s_getpc_b64 s[0:1]
	s_add_u32 s0, s0, __FUNCTION__._ZL9mul_mat_fIfLi32ELi13ELi1ELb1EEvPKT_PKfPKiPfiiiiiiiiiiiiiiii@rel32@lo+4
	s_addc_u32 s1, s1, __FUNCTION__._ZL9mul_mat_fIfLi32ELi13ELi1ELb1EEvPKT_PKfPKiPfiiiiiiiiiiiiiiii@rel32@hi+12
	s_getpc_b64 s[2:3]
	s_add_u32 s2, s2, _ZL14no_device_codePKciS0_iS0_@rel32@lo+4
	s_addc_u32 s3, s3, _ZL14no_device_codePKciS0_iS0_@rel32@hi+12
	v_mov_b32_e32 v0, 64
	v_mov_b32_e32 v1, s0
	v_mov_b32_e32 v2, s1
	s_mov_b32 s32, 0
	s_swappc_b64 s[30:31], s[2:3]
	.section	.rodata,"a",@progbits
	.p2align	6, 0x0
	.amdhsa_kernel _ZL9mul_mat_fI7__half2Li32ELi13ELi7ELb1EEvPKT_PKfPKiPfiiiiiiiiiiiiiiii
		.amdhsa_group_segment_fixed_size 0
		.amdhsa_private_segment_fixed_size 16
		.amdhsa_kernarg_size 352
		.amdhsa_user_sgpr_count 2
		.amdhsa_user_sgpr_dispatch_ptr 0
		.amdhsa_user_sgpr_queue_ptr 0
		.amdhsa_user_sgpr_kernarg_segment_ptr 1
		.amdhsa_user_sgpr_dispatch_id 0
		.amdhsa_user_sgpr_kernarg_preload_length 0
		.amdhsa_user_sgpr_kernarg_preload_offset 0
		.amdhsa_user_sgpr_private_segment_size 0
		.amdhsa_uses_dynamic_stack 0
		.amdhsa_enable_private_segment 1
		.amdhsa_system_sgpr_workgroup_id_x 1
		.amdhsa_system_sgpr_workgroup_id_y 0
		.amdhsa_system_sgpr_workgroup_id_z 0
		.amdhsa_system_sgpr_workgroup_info 0
		.amdhsa_system_vgpr_workitem_id 0
		.amdhsa_next_free_vgpr 38
		.amdhsa_next_free_sgpr 34
		.amdhsa_accum_offset 40
		.amdhsa_reserve_vcc 1
		.amdhsa_float_round_mode_32 0
		.amdhsa_float_round_mode_16_64 0
		.amdhsa_float_denorm_mode_32 3
		.amdhsa_float_denorm_mode_16_64 3
		.amdhsa_dx10_clamp 1
		.amdhsa_ieee_mode 1
		.amdhsa_fp16_overflow 0
		.amdhsa_tg_split 0
		.amdhsa_exception_fp_ieee_invalid_op 0
		.amdhsa_exception_fp_denorm_src 0
		.amdhsa_exception_fp_ieee_div_zero 0
		.amdhsa_exception_fp_ieee_overflow 0
		.amdhsa_exception_fp_ieee_underflow 0
		.amdhsa_exception_fp_ieee_inexact 0
		.amdhsa_exception_int_div_zero 0
	.end_amdhsa_kernel
	.section	.text._ZL9mul_mat_fI7__half2Li32ELi13ELi7ELb1EEvPKT_PKfPKiPfiiiiiiiiiiiiiiii,"axG",@progbits,_ZL9mul_mat_fI7__half2Li32ELi13ELi7ELb1EEvPKT_PKfPKiPfiiiiiiiiiiiiiiii,comdat
.Lfunc_end46:
	.size	_ZL9mul_mat_fI7__half2Li32ELi13ELi7ELb1EEvPKT_PKfPKiPfiiiiiiiiiiiiiiii, .Lfunc_end46-_ZL9mul_mat_fI7__half2Li32ELi13ELi7ELb1EEvPKT_PKfPKiPfiiiiiiiiiiiiiiii
                                        ; -- End function
	.set _ZL9mul_mat_fI7__half2Li32ELi13ELi7ELb1EEvPKT_PKfPKiPfiiiiiiiiiiiiiiii.num_vgpr, max(3, .L_ZL14no_device_codePKciS0_iS0_.num_vgpr)
	.set _ZL9mul_mat_fI7__half2Li32ELi13ELi7ELb1EEvPKT_PKfPKiPfiiiiiiiiiiiiiiii.num_agpr, max(0, .L_ZL14no_device_codePKciS0_iS0_.num_agpr)
	.set _ZL9mul_mat_fI7__half2Li32ELi13ELi7ELb1EEvPKT_PKfPKiPfiiiiiiiiiiiiiiii.numbered_sgpr, max(33, .L_ZL14no_device_codePKciS0_iS0_.numbered_sgpr)
	.set _ZL9mul_mat_fI7__half2Li32ELi13ELi7ELb1EEvPKT_PKfPKiPfiiiiiiiiiiiiiiii.num_named_barrier, max(0, .L_ZL14no_device_codePKciS0_iS0_.num_named_barrier)
	.set _ZL9mul_mat_fI7__half2Li32ELi13ELi7ELb1EEvPKT_PKfPKiPfiiiiiiiiiiiiiiii.private_seg_size, 0+max(.L_ZL14no_device_codePKciS0_iS0_.private_seg_size)
	.set _ZL9mul_mat_fI7__half2Li32ELi13ELi7ELb1EEvPKT_PKfPKiPfiiiiiiiiiiiiiiii.uses_vcc, or(1, .L_ZL14no_device_codePKciS0_iS0_.uses_vcc)
	.set _ZL9mul_mat_fI7__half2Li32ELi13ELi7ELb1EEvPKT_PKfPKiPfiiiiiiiiiiiiiiii.uses_flat_scratch, or(0, .L_ZL14no_device_codePKciS0_iS0_.uses_flat_scratch)
	.set _ZL9mul_mat_fI7__half2Li32ELi13ELi7ELb1EEvPKT_PKfPKiPfiiiiiiiiiiiiiiii.has_dyn_sized_stack, or(0, .L_ZL14no_device_codePKciS0_iS0_.has_dyn_sized_stack)
	.set _ZL9mul_mat_fI7__half2Li32ELi13ELi7ELb1EEvPKT_PKfPKiPfiiiiiiiiiiiiiiii.has_recursion, or(0, .L_ZL14no_device_codePKciS0_iS0_.has_recursion)
	.set _ZL9mul_mat_fI7__half2Li32ELi13ELi7ELb1EEvPKT_PKfPKiPfiiiiiiiiiiiiiiii.has_indirect_call, or(0, .L_ZL14no_device_codePKciS0_iS0_.has_indirect_call)
	.section	.AMDGPU.csdata,"",@progbits
; Kernel info:
; codeLenInByte = 72
; TotalNumSgprs: 40
; NumVgprs: 38
; NumAgprs: 0
; TotalNumVgprs: 38
; ScratchSize: 16
; MemoryBound: 0
; FloatMode: 240
; IeeeMode: 1
; LDSByteSize: 0 bytes/workgroup (compile time only)
; SGPRBlocks: 4
; VGPRBlocks: 4
; NumSGPRsForWavesPerEU: 40
; NumVGPRsForWavesPerEU: 38
; AccumOffset: 40
; Occupancy: 8
; WaveLimiterHint : 1
; COMPUTE_PGM_RSRC2:SCRATCH_EN: 1
; COMPUTE_PGM_RSRC2:USER_SGPR: 2
; COMPUTE_PGM_RSRC2:TRAP_HANDLER: 0
; COMPUTE_PGM_RSRC2:TGID_X_EN: 1
; COMPUTE_PGM_RSRC2:TGID_Y_EN: 0
; COMPUTE_PGM_RSRC2:TGID_Z_EN: 0
; COMPUTE_PGM_RSRC2:TIDIG_COMP_CNT: 0
; COMPUTE_PGM_RSRC3_GFX90A:ACCUM_OFFSET: 9
; COMPUTE_PGM_RSRC3_GFX90A:TG_SPLIT: 0
	.section	.text._ZL9mul_mat_fI7__half2Li32ELi13ELi7ELb0EEvPKT_PKfPKiPfiiiiiiiiiiiiiiii,"axG",@progbits,_ZL9mul_mat_fI7__half2Li32ELi13ELi7ELb0EEvPKT_PKfPKiPfiiiiiiiiiiiiiiii,comdat
	.globl	_ZL9mul_mat_fI7__half2Li32ELi13ELi7ELb0EEvPKT_PKfPKiPfiiiiiiiiiiiiiiii ; -- Begin function _ZL9mul_mat_fI7__half2Li32ELi13ELi7ELb0EEvPKT_PKfPKiPfiiiiiiiiiiiiiiii
	.p2align	8
	.type	_ZL9mul_mat_fI7__half2Li32ELi13ELi7ELb0EEvPKT_PKfPKiPfiiiiiiiiiiiiiiii,@function
_ZL9mul_mat_fI7__half2Li32ELi13ELi7ELb0EEvPKT_PKfPKiPfiiiiiiiiiiiiiiii: ; @_ZL9mul_mat_fI7__half2Li32ELi13ELi7ELb0EEvPKT_PKfPKiPfiiiiiiiiiiiiiiii
; %bb.0:
	s_add_u32 s8, s0, 0x60
	s_addc_u32 s9, s1, 0
	s_getpc_b64 s[0:1]
	s_add_u32 s0, s0, __FUNCTION__._ZL9mul_mat_fIfLi32ELi13ELi1ELb1EEvPKT_PKfPKiPfiiiiiiiiiiiiiiii@rel32@lo+4
	s_addc_u32 s1, s1, __FUNCTION__._ZL9mul_mat_fIfLi32ELi13ELi1ELb1EEvPKT_PKfPKiPfiiiiiiiiiiiiiiii@rel32@hi+12
	s_getpc_b64 s[2:3]
	s_add_u32 s2, s2, _ZL14no_device_codePKciS0_iS0_@rel32@lo+4
	s_addc_u32 s3, s3, _ZL14no_device_codePKciS0_iS0_@rel32@hi+12
	v_mov_b32_e32 v0, 64
	v_mov_b32_e32 v1, s0
	;; [unrolled: 1-line block ×3, first 2 shown]
	s_mov_b32 s32, 0
	s_swappc_b64 s[30:31], s[2:3]
	.section	.rodata,"a",@progbits
	.p2align	6, 0x0
	.amdhsa_kernel _ZL9mul_mat_fI7__half2Li32ELi13ELi7ELb0EEvPKT_PKfPKiPfiiiiiiiiiiiiiiii
		.amdhsa_group_segment_fixed_size 0
		.amdhsa_private_segment_fixed_size 16
		.amdhsa_kernarg_size 352
		.amdhsa_user_sgpr_count 2
		.amdhsa_user_sgpr_dispatch_ptr 0
		.amdhsa_user_sgpr_queue_ptr 0
		.amdhsa_user_sgpr_kernarg_segment_ptr 1
		.amdhsa_user_sgpr_dispatch_id 0
		.amdhsa_user_sgpr_kernarg_preload_length 0
		.amdhsa_user_sgpr_kernarg_preload_offset 0
		.amdhsa_user_sgpr_private_segment_size 0
		.amdhsa_uses_dynamic_stack 0
		.amdhsa_enable_private_segment 1
		.amdhsa_system_sgpr_workgroup_id_x 1
		.amdhsa_system_sgpr_workgroup_id_y 0
		.amdhsa_system_sgpr_workgroup_id_z 0
		.amdhsa_system_sgpr_workgroup_info 0
		.amdhsa_system_vgpr_workitem_id 0
		.amdhsa_next_free_vgpr 38
		.amdhsa_next_free_sgpr 34
		.amdhsa_accum_offset 40
		.amdhsa_reserve_vcc 1
		.amdhsa_float_round_mode_32 0
		.amdhsa_float_round_mode_16_64 0
		.amdhsa_float_denorm_mode_32 3
		.amdhsa_float_denorm_mode_16_64 3
		.amdhsa_dx10_clamp 1
		.amdhsa_ieee_mode 1
		.amdhsa_fp16_overflow 0
		.amdhsa_tg_split 0
		.amdhsa_exception_fp_ieee_invalid_op 0
		.amdhsa_exception_fp_denorm_src 0
		.amdhsa_exception_fp_ieee_div_zero 0
		.amdhsa_exception_fp_ieee_overflow 0
		.amdhsa_exception_fp_ieee_underflow 0
		.amdhsa_exception_fp_ieee_inexact 0
		.amdhsa_exception_int_div_zero 0
	.end_amdhsa_kernel
	.section	.text._ZL9mul_mat_fI7__half2Li32ELi13ELi7ELb0EEvPKT_PKfPKiPfiiiiiiiiiiiiiiii,"axG",@progbits,_ZL9mul_mat_fI7__half2Li32ELi13ELi7ELb0EEvPKT_PKfPKiPfiiiiiiiiiiiiiiii,comdat
.Lfunc_end47:
	.size	_ZL9mul_mat_fI7__half2Li32ELi13ELi7ELb0EEvPKT_PKfPKiPfiiiiiiiiiiiiiiii, .Lfunc_end47-_ZL9mul_mat_fI7__half2Li32ELi13ELi7ELb0EEvPKT_PKfPKiPfiiiiiiiiiiiiiiii
                                        ; -- End function
	.set _ZL9mul_mat_fI7__half2Li32ELi13ELi7ELb0EEvPKT_PKfPKiPfiiiiiiiiiiiiiiii.num_vgpr, max(3, .L_ZL14no_device_codePKciS0_iS0_.num_vgpr)
	.set _ZL9mul_mat_fI7__half2Li32ELi13ELi7ELb0EEvPKT_PKfPKiPfiiiiiiiiiiiiiiii.num_agpr, max(0, .L_ZL14no_device_codePKciS0_iS0_.num_agpr)
	.set _ZL9mul_mat_fI7__half2Li32ELi13ELi7ELb0EEvPKT_PKfPKiPfiiiiiiiiiiiiiiii.numbered_sgpr, max(33, .L_ZL14no_device_codePKciS0_iS0_.numbered_sgpr)
	.set _ZL9mul_mat_fI7__half2Li32ELi13ELi7ELb0EEvPKT_PKfPKiPfiiiiiiiiiiiiiiii.num_named_barrier, max(0, .L_ZL14no_device_codePKciS0_iS0_.num_named_barrier)
	.set _ZL9mul_mat_fI7__half2Li32ELi13ELi7ELb0EEvPKT_PKfPKiPfiiiiiiiiiiiiiiii.private_seg_size, 0+max(.L_ZL14no_device_codePKciS0_iS0_.private_seg_size)
	.set _ZL9mul_mat_fI7__half2Li32ELi13ELi7ELb0EEvPKT_PKfPKiPfiiiiiiiiiiiiiiii.uses_vcc, or(1, .L_ZL14no_device_codePKciS0_iS0_.uses_vcc)
	.set _ZL9mul_mat_fI7__half2Li32ELi13ELi7ELb0EEvPKT_PKfPKiPfiiiiiiiiiiiiiiii.uses_flat_scratch, or(0, .L_ZL14no_device_codePKciS0_iS0_.uses_flat_scratch)
	.set _ZL9mul_mat_fI7__half2Li32ELi13ELi7ELb0EEvPKT_PKfPKiPfiiiiiiiiiiiiiiii.has_dyn_sized_stack, or(0, .L_ZL14no_device_codePKciS0_iS0_.has_dyn_sized_stack)
	.set _ZL9mul_mat_fI7__half2Li32ELi13ELi7ELb0EEvPKT_PKfPKiPfiiiiiiiiiiiiiiii.has_recursion, or(0, .L_ZL14no_device_codePKciS0_iS0_.has_recursion)
	.set _ZL9mul_mat_fI7__half2Li32ELi13ELi7ELb0EEvPKT_PKfPKiPfiiiiiiiiiiiiiiii.has_indirect_call, or(0, .L_ZL14no_device_codePKciS0_iS0_.has_indirect_call)
	.section	.AMDGPU.csdata,"",@progbits
; Kernel info:
; codeLenInByte = 72
; TotalNumSgprs: 40
; NumVgprs: 38
; NumAgprs: 0
; TotalNumVgprs: 38
; ScratchSize: 16
; MemoryBound: 0
; FloatMode: 240
; IeeeMode: 1
; LDSByteSize: 0 bytes/workgroup (compile time only)
; SGPRBlocks: 4
; VGPRBlocks: 4
; NumSGPRsForWavesPerEU: 40
; NumVGPRsForWavesPerEU: 38
; AccumOffset: 40
; Occupancy: 8
; WaveLimiterHint : 1
; COMPUTE_PGM_RSRC2:SCRATCH_EN: 1
; COMPUTE_PGM_RSRC2:USER_SGPR: 2
; COMPUTE_PGM_RSRC2:TRAP_HANDLER: 0
; COMPUTE_PGM_RSRC2:TGID_X_EN: 1
; COMPUTE_PGM_RSRC2:TGID_Y_EN: 0
; COMPUTE_PGM_RSRC2:TGID_Z_EN: 0
; COMPUTE_PGM_RSRC2:TIDIG_COMP_CNT: 0
; COMPUTE_PGM_RSRC3_GFX90A:ACCUM_OFFSET: 9
; COMPUTE_PGM_RSRC3_GFX90A:TG_SPLIT: 0
	.section	.text._ZL13mul_mat_f_idsI7__half2Li32ELi13ELi8EEvPKT_PKfPKiS7_S7_Pfiiiiiiiiiiiiii15HIP_vector_typeIjLj3EESA_,"axG",@progbits,_ZL13mul_mat_f_idsI7__half2Li32ELi13ELi8EEvPKT_PKfPKiS7_S7_Pfiiiiiiiiiiiiii15HIP_vector_typeIjLj3EESA_,comdat
	.globl	_ZL13mul_mat_f_idsI7__half2Li32ELi13ELi8EEvPKT_PKfPKiS7_S7_Pfiiiiiiiiiiiiii15HIP_vector_typeIjLj3EESA_ ; -- Begin function _ZL13mul_mat_f_idsI7__half2Li32ELi13ELi8EEvPKT_PKfPKiS7_S7_Pfiiiiiiiiiiiiii15HIP_vector_typeIjLj3EESA_
	.p2align	8
	.type	_ZL13mul_mat_f_idsI7__half2Li32ELi13ELi8EEvPKT_PKfPKiS7_S7_Pfiiiiiiiiiiiiii15HIP_vector_typeIjLj3EESA_,@function
_ZL13mul_mat_f_idsI7__half2Li32ELi13ELi8EEvPKT_PKfPKiS7_S7_Pfiiiiiiiiiiiiii15HIP_vector_typeIjLj3EESA_: ; @_ZL13mul_mat_f_idsI7__half2Li32ELi13ELi8EEvPKT_PKfPKiS7_S7_Pfiiiiiiiiiiiiii15HIP_vector_typeIjLj3EESA_
; %bb.0:
	s_add_u32 s8, s0, 0x80
	s_addc_u32 s9, s1, 0
	s_getpc_b64 s[0:1]
	s_add_u32 s0, s0, __FUNCTION__._ZL13mul_mat_f_idsIfLi32ELi13ELi1EEvPKT_PKfPKiS6_S6_Pfiiiiiiiiiiiiii15HIP_vector_typeIjLj3EES9_@rel32@lo+4
	s_addc_u32 s1, s1, __FUNCTION__._ZL13mul_mat_f_idsIfLi32ELi13ELi1EEvPKT_PKfPKiS6_S6_Pfiiiiiiiiiiiiii15HIP_vector_typeIjLj3EES9_@rel32@hi+12
	s_getpc_b64 s[2:3]
	s_add_u32 s2, s2, _ZL14no_device_codePKciS0_iS0_@rel32@lo+4
	s_addc_u32 s3, s3, _ZL14no_device_codePKciS0_iS0_@rel32@hi+12
	v_mov_b32_e32 v0, 0x13b
	v_mov_b32_e32 v1, s0
	;; [unrolled: 1-line block ×3, first 2 shown]
	s_mov_b32 s32, 0
	s_swappc_b64 s[30:31], s[2:3]
	.section	.rodata,"a",@progbits
	.p2align	6, 0x0
	.amdhsa_kernel _ZL13mul_mat_f_idsI7__half2Li32ELi13ELi8EEvPKT_PKfPKiS7_S7_Pfiiiiiiiiiiiiii15HIP_vector_typeIjLj3EESA_
		.amdhsa_group_segment_fixed_size 0
		.amdhsa_private_segment_fixed_size 16
		.amdhsa_kernarg_size 384
		.amdhsa_user_sgpr_count 2
		.amdhsa_user_sgpr_dispatch_ptr 0
		.amdhsa_user_sgpr_queue_ptr 0
		.amdhsa_user_sgpr_kernarg_segment_ptr 1
		.amdhsa_user_sgpr_dispatch_id 0
		.amdhsa_user_sgpr_kernarg_preload_length 0
		.amdhsa_user_sgpr_kernarg_preload_offset 0
		.amdhsa_user_sgpr_private_segment_size 0
		.amdhsa_uses_dynamic_stack 0
		.amdhsa_enable_private_segment 1
		.amdhsa_system_sgpr_workgroup_id_x 1
		.amdhsa_system_sgpr_workgroup_id_y 0
		.amdhsa_system_sgpr_workgroup_id_z 0
		.amdhsa_system_sgpr_workgroup_info 0
		.amdhsa_system_vgpr_workitem_id 0
		.amdhsa_next_free_vgpr 38
		.amdhsa_next_free_sgpr 34
		.amdhsa_accum_offset 40
		.amdhsa_reserve_vcc 1
		.amdhsa_float_round_mode_32 0
		.amdhsa_float_round_mode_16_64 0
		.amdhsa_float_denorm_mode_32 3
		.amdhsa_float_denorm_mode_16_64 3
		.amdhsa_dx10_clamp 1
		.amdhsa_ieee_mode 1
		.amdhsa_fp16_overflow 0
		.amdhsa_tg_split 0
		.amdhsa_exception_fp_ieee_invalid_op 0
		.amdhsa_exception_fp_denorm_src 0
		.amdhsa_exception_fp_ieee_div_zero 0
		.amdhsa_exception_fp_ieee_overflow 0
		.amdhsa_exception_fp_ieee_underflow 0
		.amdhsa_exception_fp_ieee_inexact 0
		.amdhsa_exception_int_div_zero 0
	.end_amdhsa_kernel
	.section	.text._ZL13mul_mat_f_idsI7__half2Li32ELi13ELi8EEvPKT_PKfPKiS7_S7_Pfiiiiiiiiiiiiii15HIP_vector_typeIjLj3EESA_,"axG",@progbits,_ZL13mul_mat_f_idsI7__half2Li32ELi13ELi8EEvPKT_PKfPKiS7_S7_Pfiiiiiiiiiiiiii15HIP_vector_typeIjLj3EESA_,comdat
.Lfunc_end48:
	.size	_ZL13mul_mat_f_idsI7__half2Li32ELi13ELi8EEvPKT_PKfPKiS7_S7_Pfiiiiiiiiiiiiii15HIP_vector_typeIjLj3EESA_, .Lfunc_end48-_ZL13mul_mat_f_idsI7__half2Li32ELi13ELi8EEvPKT_PKfPKiS7_S7_Pfiiiiiiiiiiiiii15HIP_vector_typeIjLj3EESA_
                                        ; -- End function
	.set _ZL13mul_mat_f_idsI7__half2Li32ELi13ELi8EEvPKT_PKfPKiS7_S7_Pfiiiiiiiiiiiiii15HIP_vector_typeIjLj3EESA_.num_vgpr, max(3, .L_ZL14no_device_codePKciS0_iS0_.num_vgpr)
	.set _ZL13mul_mat_f_idsI7__half2Li32ELi13ELi8EEvPKT_PKfPKiS7_S7_Pfiiiiiiiiiiiiii15HIP_vector_typeIjLj3EESA_.num_agpr, max(0, .L_ZL14no_device_codePKciS0_iS0_.num_agpr)
	.set _ZL13mul_mat_f_idsI7__half2Li32ELi13ELi8EEvPKT_PKfPKiS7_S7_Pfiiiiiiiiiiiiii15HIP_vector_typeIjLj3EESA_.numbered_sgpr, max(33, .L_ZL14no_device_codePKciS0_iS0_.numbered_sgpr)
	.set _ZL13mul_mat_f_idsI7__half2Li32ELi13ELi8EEvPKT_PKfPKiS7_S7_Pfiiiiiiiiiiiiii15HIP_vector_typeIjLj3EESA_.num_named_barrier, max(0, .L_ZL14no_device_codePKciS0_iS0_.num_named_barrier)
	.set _ZL13mul_mat_f_idsI7__half2Li32ELi13ELi8EEvPKT_PKfPKiS7_S7_Pfiiiiiiiiiiiiii15HIP_vector_typeIjLj3EESA_.private_seg_size, 0+max(.L_ZL14no_device_codePKciS0_iS0_.private_seg_size)
	.set _ZL13mul_mat_f_idsI7__half2Li32ELi13ELi8EEvPKT_PKfPKiS7_S7_Pfiiiiiiiiiiiiii15HIP_vector_typeIjLj3EESA_.uses_vcc, or(1, .L_ZL14no_device_codePKciS0_iS0_.uses_vcc)
	.set _ZL13mul_mat_f_idsI7__half2Li32ELi13ELi8EEvPKT_PKfPKiS7_S7_Pfiiiiiiiiiiiiii15HIP_vector_typeIjLj3EESA_.uses_flat_scratch, or(0, .L_ZL14no_device_codePKciS0_iS0_.uses_flat_scratch)
	.set _ZL13mul_mat_f_idsI7__half2Li32ELi13ELi8EEvPKT_PKfPKiS7_S7_Pfiiiiiiiiiiiiii15HIP_vector_typeIjLj3EESA_.has_dyn_sized_stack, or(0, .L_ZL14no_device_codePKciS0_iS0_.has_dyn_sized_stack)
	.set _ZL13mul_mat_f_idsI7__half2Li32ELi13ELi8EEvPKT_PKfPKiS7_S7_Pfiiiiiiiiiiiiii15HIP_vector_typeIjLj3EESA_.has_recursion, or(0, .L_ZL14no_device_codePKciS0_iS0_.has_recursion)
	.set _ZL13mul_mat_f_idsI7__half2Li32ELi13ELi8EEvPKT_PKfPKiS7_S7_Pfiiiiiiiiiiiiii15HIP_vector_typeIjLj3EESA_.has_indirect_call, or(0, .L_ZL14no_device_codePKciS0_iS0_.has_indirect_call)
	.section	.AMDGPU.csdata,"",@progbits
; Kernel info:
; codeLenInByte = 76
; TotalNumSgprs: 40
; NumVgprs: 38
; NumAgprs: 0
; TotalNumVgprs: 38
; ScratchSize: 16
; MemoryBound: 0
; FloatMode: 240
; IeeeMode: 1
; LDSByteSize: 0 bytes/workgroup (compile time only)
; SGPRBlocks: 4
; VGPRBlocks: 4
; NumSGPRsForWavesPerEU: 40
; NumVGPRsForWavesPerEU: 38
; AccumOffset: 40
; Occupancy: 8
; WaveLimiterHint : 1
; COMPUTE_PGM_RSRC2:SCRATCH_EN: 1
; COMPUTE_PGM_RSRC2:USER_SGPR: 2
; COMPUTE_PGM_RSRC2:TRAP_HANDLER: 0
; COMPUTE_PGM_RSRC2:TGID_X_EN: 1
; COMPUTE_PGM_RSRC2:TGID_Y_EN: 0
; COMPUTE_PGM_RSRC2:TGID_Z_EN: 0
; COMPUTE_PGM_RSRC2:TIDIG_COMP_CNT: 0
; COMPUTE_PGM_RSRC3_GFX90A:ACCUM_OFFSET: 9
; COMPUTE_PGM_RSRC3_GFX90A:TG_SPLIT: 0
	.section	.text._ZL9mul_mat_fI7__half2Li32ELi13ELi8ELb1EEvPKT_PKfPKiPfiiiiiiiiiiiiiiii,"axG",@progbits,_ZL9mul_mat_fI7__half2Li32ELi13ELi8ELb1EEvPKT_PKfPKiPfiiiiiiiiiiiiiiii,comdat
	.globl	_ZL9mul_mat_fI7__half2Li32ELi13ELi8ELb1EEvPKT_PKfPKiPfiiiiiiiiiiiiiiii ; -- Begin function _ZL9mul_mat_fI7__half2Li32ELi13ELi8ELb1EEvPKT_PKfPKiPfiiiiiiiiiiiiiiii
	.p2align	8
	.type	_ZL9mul_mat_fI7__half2Li32ELi13ELi8ELb1EEvPKT_PKfPKiPfiiiiiiiiiiiiiiii,@function
_ZL9mul_mat_fI7__half2Li32ELi13ELi8ELb1EEvPKT_PKfPKiPfiiiiiiiiiiiiiiii: ; @_ZL9mul_mat_fI7__half2Li32ELi13ELi8ELb1EEvPKT_PKfPKiPfiiiiiiiiiiiiiiii
; %bb.0:
	s_add_u32 s8, s0, 0x60
	s_addc_u32 s9, s1, 0
	s_getpc_b64 s[0:1]
	s_add_u32 s0, s0, __FUNCTION__._ZL9mul_mat_fIfLi32ELi13ELi1ELb1EEvPKT_PKfPKiPfiiiiiiiiiiiiiiii@rel32@lo+4
	s_addc_u32 s1, s1, __FUNCTION__._ZL9mul_mat_fIfLi32ELi13ELi1ELb1EEvPKT_PKfPKiPfiiiiiiiiiiiiiiii@rel32@hi+12
	s_getpc_b64 s[2:3]
	s_add_u32 s2, s2, _ZL14no_device_codePKciS0_iS0_@rel32@lo+4
	s_addc_u32 s3, s3, _ZL14no_device_codePKciS0_iS0_@rel32@hi+12
	v_mov_b32_e32 v0, 64
	v_mov_b32_e32 v1, s0
	;; [unrolled: 1-line block ×3, first 2 shown]
	s_mov_b32 s32, 0
	s_swappc_b64 s[30:31], s[2:3]
	.section	.rodata,"a",@progbits
	.p2align	6, 0x0
	.amdhsa_kernel _ZL9mul_mat_fI7__half2Li32ELi13ELi8ELb1EEvPKT_PKfPKiPfiiiiiiiiiiiiiiii
		.amdhsa_group_segment_fixed_size 0
		.amdhsa_private_segment_fixed_size 16
		.amdhsa_kernarg_size 352
		.amdhsa_user_sgpr_count 2
		.amdhsa_user_sgpr_dispatch_ptr 0
		.amdhsa_user_sgpr_queue_ptr 0
		.amdhsa_user_sgpr_kernarg_segment_ptr 1
		.amdhsa_user_sgpr_dispatch_id 0
		.amdhsa_user_sgpr_kernarg_preload_length 0
		.amdhsa_user_sgpr_kernarg_preload_offset 0
		.amdhsa_user_sgpr_private_segment_size 0
		.amdhsa_uses_dynamic_stack 0
		.amdhsa_enable_private_segment 1
		.amdhsa_system_sgpr_workgroup_id_x 1
		.amdhsa_system_sgpr_workgroup_id_y 0
		.amdhsa_system_sgpr_workgroup_id_z 0
		.amdhsa_system_sgpr_workgroup_info 0
		.amdhsa_system_vgpr_workitem_id 0
		.amdhsa_next_free_vgpr 38
		.amdhsa_next_free_sgpr 34
		.amdhsa_accum_offset 40
		.amdhsa_reserve_vcc 1
		.amdhsa_float_round_mode_32 0
		.amdhsa_float_round_mode_16_64 0
		.amdhsa_float_denorm_mode_32 3
		.amdhsa_float_denorm_mode_16_64 3
		.amdhsa_dx10_clamp 1
		.amdhsa_ieee_mode 1
		.amdhsa_fp16_overflow 0
		.amdhsa_tg_split 0
		.amdhsa_exception_fp_ieee_invalid_op 0
		.amdhsa_exception_fp_denorm_src 0
		.amdhsa_exception_fp_ieee_div_zero 0
		.amdhsa_exception_fp_ieee_overflow 0
		.amdhsa_exception_fp_ieee_underflow 0
		.amdhsa_exception_fp_ieee_inexact 0
		.amdhsa_exception_int_div_zero 0
	.end_amdhsa_kernel
	.section	.text._ZL9mul_mat_fI7__half2Li32ELi13ELi8ELb1EEvPKT_PKfPKiPfiiiiiiiiiiiiiiii,"axG",@progbits,_ZL9mul_mat_fI7__half2Li32ELi13ELi8ELb1EEvPKT_PKfPKiPfiiiiiiiiiiiiiiii,comdat
.Lfunc_end49:
	.size	_ZL9mul_mat_fI7__half2Li32ELi13ELi8ELb1EEvPKT_PKfPKiPfiiiiiiiiiiiiiiii, .Lfunc_end49-_ZL9mul_mat_fI7__half2Li32ELi13ELi8ELb1EEvPKT_PKfPKiPfiiiiiiiiiiiiiiii
                                        ; -- End function
	.set _ZL9mul_mat_fI7__half2Li32ELi13ELi8ELb1EEvPKT_PKfPKiPfiiiiiiiiiiiiiiii.num_vgpr, max(3, .L_ZL14no_device_codePKciS0_iS0_.num_vgpr)
	.set _ZL9mul_mat_fI7__half2Li32ELi13ELi8ELb1EEvPKT_PKfPKiPfiiiiiiiiiiiiiiii.num_agpr, max(0, .L_ZL14no_device_codePKciS0_iS0_.num_agpr)
	.set _ZL9mul_mat_fI7__half2Li32ELi13ELi8ELb1EEvPKT_PKfPKiPfiiiiiiiiiiiiiiii.numbered_sgpr, max(33, .L_ZL14no_device_codePKciS0_iS0_.numbered_sgpr)
	.set _ZL9mul_mat_fI7__half2Li32ELi13ELi8ELb1EEvPKT_PKfPKiPfiiiiiiiiiiiiiiii.num_named_barrier, max(0, .L_ZL14no_device_codePKciS0_iS0_.num_named_barrier)
	.set _ZL9mul_mat_fI7__half2Li32ELi13ELi8ELb1EEvPKT_PKfPKiPfiiiiiiiiiiiiiiii.private_seg_size, 0+max(.L_ZL14no_device_codePKciS0_iS0_.private_seg_size)
	.set _ZL9mul_mat_fI7__half2Li32ELi13ELi8ELb1EEvPKT_PKfPKiPfiiiiiiiiiiiiiiii.uses_vcc, or(1, .L_ZL14no_device_codePKciS0_iS0_.uses_vcc)
	.set _ZL9mul_mat_fI7__half2Li32ELi13ELi8ELb1EEvPKT_PKfPKiPfiiiiiiiiiiiiiiii.uses_flat_scratch, or(0, .L_ZL14no_device_codePKciS0_iS0_.uses_flat_scratch)
	.set _ZL9mul_mat_fI7__half2Li32ELi13ELi8ELb1EEvPKT_PKfPKiPfiiiiiiiiiiiiiiii.has_dyn_sized_stack, or(0, .L_ZL14no_device_codePKciS0_iS0_.has_dyn_sized_stack)
	.set _ZL9mul_mat_fI7__half2Li32ELi13ELi8ELb1EEvPKT_PKfPKiPfiiiiiiiiiiiiiiii.has_recursion, or(0, .L_ZL14no_device_codePKciS0_iS0_.has_recursion)
	.set _ZL9mul_mat_fI7__half2Li32ELi13ELi8ELb1EEvPKT_PKfPKiPfiiiiiiiiiiiiiiii.has_indirect_call, or(0, .L_ZL14no_device_codePKciS0_iS0_.has_indirect_call)
	.section	.AMDGPU.csdata,"",@progbits
; Kernel info:
; codeLenInByte = 72
; TotalNumSgprs: 40
; NumVgprs: 38
; NumAgprs: 0
; TotalNumVgprs: 38
; ScratchSize: 16
; MemoryBound: 0
; FloatMode: 240
; IeeeMode: 1
; LDSByteSize: 0 bytes/workgroup (compile time only)
; SGPRBlocks: 4
; VGPRBlocks: 4
; NumSGPRsForWavesPerEU: 40
; NumVGPRsForWavesPerEU: 38
; AccumOffset: 40
; Occupancy: 8
; WaveLimiterHint : 1
; COMPUTE_PGM_RSRC2:SCRATCH_EN: 1
; COMPUTE_PGM_RSRC2:USER_SGPR: 2
; COMPUTE_PGM_RSRC2:TRAP_HANDLER: 0
; COMPUTE_PGM_RSRC2:TGID_X_EN: 1
; COMPUTE_PGM_RSRC2:TGID_Y_EN: 0
; COMPUTE_PGM_RSRC2:TGID_Z_EN: 0
; COMPUTE_PGM_RSRC2:TIDIG_COMP_CNT: 0
; COMPUTE_PGM_RSRC3_GFX90A:ACCUM_OFFSET: 9
; COMPUTE_PGM_RSRC3_GFX90A:TG_SPLIT: 0
	.section	.text._ZL9mul_mat_fI7__half2Li32ELi13ELi8ELb0EEvPKT_PKfPKiPfiiiiiiiiiiiiiiii,"axG",@progbits,_ZL9mul_mat_fI7__half2Li32ELi13ELi8ELb0EEvPKT_PKfPKiPfiiiiiiiiiiiiiiii,comdat
	.globl	_ZL9mul_mat_fI7__half2Li32ELi13ELi8ELb0EEvPKT_PKfPKiPfiiiiiiiiiiiiiiii ; -- Begin function _ZL9mul_mat_fI7__half2Li32ELi13ELi8ELb0EEvPKT_PKfPKiPfiiiiiiiiiiiiiiii
	.p2align	8
	.type	_ZL9mul_mat_fI7__half2Li32ELi13ELi8ELb0EEvPKT_PKfPKiPfiiiiiiiiiiiiiiii,@function
_ZL9mul_mat_fI7__half2Li32ELi13ELi8ELb0EEvPKT_PKfPKiPfiiiiiiiiiiiiiiii: ; @_ZL9mul_mat_fI7__half2Li32ELi13ELi8ELb0EEvPKT_PKfPKiPfiiiiiiiiiiiiiiii
; %bb.0:
	s_add_u32 s8, s0, 0x60
	s_addc_u32 s9, s1, 0
	s_getpc_b64 s[0:1]
	s_add_u32 s0, s0, __FUNCTION__._ZL9mul_mat_fIfLi32ELi13ELi1ELb1EEvPKT_PKfPKiPfiiiiiiiiiiiiiiii@rel32@lo+4
	s_addc_u32 s1, s1, __FUNCTION__._ZL9mul_mat_fIfLi32ELi13ELi1ELb1EEvPKT_PKfPKiPfiiiiiiiiiiiiiiii@rel32@hi+12
	s_getpc_b64 s[2:3]
	s_add_u32 s2, s2, _ZL14no_device_codePKciS0_iS0_@rel32@lo+4
	s_addc_u32 s3, s3, _ZL14no_device_codePKciS0_iS0_@rel32@hi+12
	v_mov_b32_e32 v0, 64
	v_mov_b32_e32 v1, s0
	;; [unrolled: 1-line block ×3, first 2 shown]
	s_mov_b32 s32, 0
	s_swappc_b64 s[30:31], s[2:3]
	.section	.rodata,"a",@progbits
	.p2align	6, 0x0
	.amdhsa_kernel _ZL9mul_mat_fI7__half2Li32ELi13ELi8ELb0EEvPKT_PKfPKiPfiiiiiiiiiiiiiiii
		.amdhsa_group_segment_fixed_size 0
		.amdhsa_private_segment_fixed_size 16
		.amdhsa_kernarg_size 352
		.amdhsa_user_sgpr_count 2
		.amdhsa_user_sgpr_dispatch_ptr 0
		.amdhsa_user_sgpr_queue_ptr 0
		.amdhsa_user_sgpr_kernarg_segment_ptr 1
		.amdhsa_user_sgpr_dispatch_id 0
		.amdhsa_user_sgpr_kernarg_preload_length 0
		.amdhsa_user_sgpr_kernarg_preload_offset 0
		.amdhsa_user_sgpr_private_segment_size 0
		.amdhsa_uses_dynamic_stack 0
		.amdhsa_enable_private_segment 1
		.amdhsa_system_sgpr_workgroup_id_x 1
		.amdhsa_system_sgpr_workgroup_id_y 0
		.amdhsa_system_sgpr_workgroup_id_z 0
		.amdhsa_system_sgpr_workgroup_info 0
		.amdhsa_system_vgpr_workitem_id 0
		.amdhsa_next_free_vgpr 38
		.amdhsa_next_free_sgpr 34
		.amdhsa_accum_offset 40
		.amdhsa_reserve_vcc 1
		.amdhsa_float_round_mode_32 0
		.amdhsa_float_round_mode_16_64 0
		.amdhsa_float_denorm_mode_32 3
		.amdhsa_float_denorm_mode_16_64 3
		.amdhsa_dx10_clamp 1
		.amdhsa_ieee_mode 1
		.amdhsa_fp16_overflow 0
		.amdhsa_tg_split 0
		.amdhsa_exception_fp_ieee_invalid_op 0
		.amdhsa_exception_fp_denorm_src 0
		.amdhsa_exception_fp_ieee_div_zero 0
		.amdhsa_exception_fp_ieee_overflow 0
		.amdhsa_exception_fp_ieee_underflow 0
		.amdhsa_exception_fp_ieee_inexact 0
		.amdhsa_exception_int_div_zero 0
	.end_amdhsa_kernel
	.section	.text._ZL9mul_mat_fI7__half2Li32ELi13ELi8ELb0EEvPKT_PKfPKiPfiiiiiiiiiiiiiiii,"axG",@progbits,_ZL9mul_mat_fI7__half2Li32ELi13ELi8ELb0EEvPKT_PKfPKiPfiiiiiiiiiiiiiiii,comdat
.Lfunc_end50:
	.size	_ZL9mul_mat_fI7__half2Li32ELi13ELi8ELb0EEvPKT_PKfPKiPfiiiiiiiiiiiiiiii, .Lfunc_end50-_ZL9mul_mat_fI7__half2Li32ELi13ELi8ELb0EEvPKT_PKfPKiPfiiiiiiiiiiiiiiii
                                        ; -- End function
	.set _ZL9mul_mat_fI7__half2Li32ELi13ELi8ELb0EEvPKT_PKfPKiPfiiiiiiiiiiiiiiii.num_vgpr, max(3, .L_ZL14no_device_codePKciS0_iS0_.num_vgpr)
	.set _ZL9mul_mat_fI7__half2Li32ELi13ELi8ELb0EEvPKT_PKfPKiPfiiiiiiiiiiiiiiii.num_agpr, max(0, .L_ZL14no_device_codePKciS0_iS0_.num_agpr)
	.set _ZL9mul_mat_fI7__half2Li32ELi13ELi8ELb0EEvPKT_PKfPKiPfiiiiiiiiiiiiiiii.numbered_sgpr, max(33, .L_ZL14no_device_codePKciS0_iS0_.numbered_sgpr)
	.set _ZL9mul_mat_fI7__half2Li32ELi13ELi8ELb0EEvPKT_PKfPKiPfiiiiiiiiiiiiiiii.num_named_barrier, max(0, .L_ZL14no_device_codePKciS0_iS0_.num_named_barrier)
	.set _ZL9mul_mat_fI7__half2Li32ELi13ELi8ELb0EEvPKT_PKfPKiPfiiiiiiiiiiiiiiii.private_seg_size, 0+max(.L_ZL14no_device_codePKciS0_iS0_.private_seg_size)
	.set _ZL9mul_mat_fI7__half2Li32ELi13ELi8ELb0EEvPKT_PKfPKiPfiiiiiiiiiiiiiiii.uses_vcc, or(1, .L_ZL14no_device_codePKciS0_iS0_.uses_vcc)
	.set _ZL9mul_mat_fI7__half2Li32ELi13ELi8ELb0EEvPKT_PKfPKiPfiiiiiiiiiiiiiiii.uses_flat_scratch, or(0, .L_ZL14no_device_codePKciS0_iS0_.uses_flat_scratch)
	.set _ZL9mul_mat_fI7__half2Li32ELi13ELi8ELb0EEvPKT_PKfPKiPfiiiiiiiiiiiiiiii.has_dyn_sized_stack, or(0, .L_ZL14no_device_codePKciS0_iS0_.has_dyn_sized_stack)
	.set _ZL9mul_mat_fI7__half2Li32ELi13ELi8ELb0EEvPKT_PKfPKiPfiiiiiiiiiiiiiiii.has_recursion, or(0, .L_ZL14no_device_codePKciS0_iS0_.has_recursion)
	.set _ZL9mul_mat_fI7__half2Li32ELi13ELi8ELb0EEvPKT_PKfPKiPfiiiiiiiiiiiiiiii.has_indirect_call, or(0, .L_ZL14no_device_codePKciS0_iS0_.has_indirect_call)
	.section	.AMDGPU.csdata,"",@progbits
; Kernel info:
; codeLenInByte = 72
; TotalNumSgprs: 40
; NumVgprs: 38
; NumAgprs: 0
; TotalNumVgprs: 38
; ScratchSize: 16
; MemoryBound: 0
; FloatMode: 240
; IeeeMode: 1
; LDSByteSize: 0 bytes/workgroup (compile time only)
; SGPRBlocks: 4
; VGPRBlocks: 4
; NumSGPRsForWavesPerEU: 40
; NumVGPRsForWavesPerEU: 38
; AccumOffset: 40
; Occupancy: 8
; WaveLimiterHint : 1
; COMPUTE_PGM_RSRC2:SCRATCH_EN: 1
; COMPUTE_PGM_RSRC2:USER_SGPR: 2
; COMPUTE_PGM_RSRC2:TRAP_HANDLER: 0
; COMPUTE_PGM_RSRC2:TGID_X_EN: 1
; COMPUTE_PGM_RSRC2:TGID_Y_EN: 0
; COMPUTE_PGM_RSRC2:TGID_Z_EN: 0
; COMPUTE_PGM_RSRC2:TIDIG_COMP_CNT: 0
; COMPUTE_PGM_RSRC3_GFX90A:ACCUM_OFFSET: 9
; COMPUTE_PGM_RSRC3_GFX90A:TG_SPLIT: 0
	.section	.text._ZL13mul_mat_f_idsI15__hip_bfloat162Li32ELi13ELi1EEvPKT_PKfPKiS7_S7_Pfiiiiiiiiiiiiii15HIP_vector_typeIjLj3EESA_,"axG",@progbits,_ZL13mul_mat_f_idsI15__hip_bfloat162Li32ELi13ELi1EEvPKT_PKfPKiS7_S7_Pfiiiiiiiiiiiiii15HIP_vector_typeIjLj3EESA_,comdat
	.globl	_ZL13mul_mat_f_idsI15__hip_bfloat162Li32ELi13ELi1EEvPKT_PKfPKiS7_S7_Pfiiiiiiiiiiiiii15HIP_vector_typeIjLj3EESA_ ; -- Begin function _ZL13mul_mat_f_idsI15__hip_bfloat162Li32ELi13ELi1EEvPKT_PKfPKiS7_S7_Pfiiiiiiiiiiiiii15HIP_vector_typeIjLj3EESA_
	.p2align	8
	.type	_ZL13mul_mat_f_idsI15__hip_bfloat162Li32ELi13ELi1EEvPKT_PKfPKiS7_S7_Pfiiiiiiiiiiiiii15HIP_vector_typeIjLj3EESA_,@function
_ZL13mul_mat_f_idsI15__hip_bfloat162Li32ELi13ELi1EEvPKT_PKfPKiS7_S7_Pfiiiiiiiiiiiiii15HIP_vector_typeIjLj3EESA_: ; @_ZL13mul_mat_f_idsI15__hip_bfloat162Li32ELi13ELi1EEvPKT_PKfPKiS7_S7_Pfiiiiiiiiiiiiii15HIP_vector_typeIjLj3EESA_
; %bb.0:
	s_add_u32 s8, s0, 0x80
	s_addc_u32 s9, s1, 0
	s_getpc_b64 s[0:1]
	s_add_u32 s0, s0, __FUNCTION__._ZL13mul_mat_f_idsIfLi32ELi13ELi1EEvPKT_PKfPKiS6_S6_Pfiiiiiiiiiiiiii15HIP_vector_typeIjLj3EES9_@rel32@lo+4
	s_addc_u32 s1, s1, __FUNCTION__._ZL13mul_mat_f_idsIfLi32ELi13ELi1EEvPKT_PKfPKiS6_S6_Pfiiiiiiiiiiiiii15HIP_vector_typeIjLj3EES9_@rel32@hi+12
	s_getpc_b64 s[2:3]
	s_add_u32 s2, s2, _ZL14no_device_codePKciS0_iS0_@rel32@lo+4
	s_addc_u32 s3, s3, _ZL14no_device_codePKciS0_iS0_@rel32@hi+12
	v_mov_b32_e32 v0, 0x13b
	v_mov_b32_e32 v1, s0
	;; [unrolled: 1-line block ×3, first 2 shown]
	s_mov_b32 s32, 0
	s_swappc_b64 s[30:31], s[2:3]
	.section	.rodata,"a",@progbits
	.p2align	6, 0x0
	.amdhsa_kernel _ZL13mul_mat_f_idsI15__hip_bfloat162Li32ELi13ELi1EEvPKT_PKfPKiS7_S7_Pfiiiiiiiiiiiiii15HIP_vector_typeIjLj3EESA_
		.amdhsa_group_segment_fixed_size 0
		.amdhsa_private_segment_fixed_size 16
		.amdhsa_kernarg_size 384
		.amdhsa_user_sgpr_count 2
		.amdhsa_user_sgpr_dispatch_ptr 0
		.amdhsa_user_sgpr_queue_ptr 0
		.amdhsa_user_sgpr_kernarg_segment_ptr 1
		.amdhsa_user_sgpr_dispatch_id 0
		.amdhsa_user_sgpr_kernarg_preload_length 0
		.amdhsa_user_sgpr_kernarg_preload_offset 0
		.amdhsa_user_sgpr_private_segment_size 0
		.amdhsa_uses_dynamic_stack 0
		.amdhsa_enable_private_segment 1
		.amdhsa_system_sgpr_workgroup_id_x 1
		.amdhsa_system_sgpr_workgroup_id_y 0
		.amdhsa_system_sgpr_workgroup_id_z 0
		.amdhsa_system_sgpr_workgroup_info 0
		.amdhsa_system_vgpr_workitem_id 0
		.amdhsa_next_free_vgpr 38
		.amdhsa_next_free_sgpr 34
		.amdhsa_accum_offset 40
		.amdhsa_reserve_vcc 1
		.amdhsa_float_round_mode_32 0
		.amdhsa_float_round_mode_16_64 0
		.amdhsa_float_denorm_mode_32 3
		.amdhsa_float_denorm_mode_16_64 3
		.amdhsa_dx10_clamp 1
		.amdhsa_ieee_mode 1
		.amdhsa_fp16_overflow 0
		.amdhsa_tg_split 0
		.amdhsa_exception_fp_ieee_invalid_op 0
		.amdhsa_exception_fp_denorm_src 0
		.amdhsa_exception_fp_ieee_div_zero 0
		.amdhsa_exception_fp_ieee_overflow 0
		.amdhsa_exception_fp_ieee_underflow 0
		.amdhsa_exception_fp_ieee_inexact 0
		.amdhsa_exception_int_div_zero 0
	.end_amdhsa_kernel
	.section	.text._ZL13mul_mat_f_idsI15__hip_bfloat162Li32ELi13ELi1EEvPKT_PKfPKiS7_S7_Pfiiiiiiiiiiiiii15HIP_vector_typeIjLj3EESA_,"axG",@progbits,_ZL13mul_mat_f_idsI15__hip_bfloat162Li32ELi13ELi1EEvPKT_PKfPKiS7_S7_Pfiiiiiiiiiiiiii15HIP_vector_typeIjLj3EESA_,comdat
.Lfunc_end51:
	.size	_ZL13mul_mat_f_idsI15__hip_bfloat162Li32ELi13ELi1EEvPKT_PKfPKiS7_S7_Pfiiiiiiiiiiiiii15HIP_vector_typeIjLj3EESA_, .Lfunc_end51-_ZL13mul_mat_f_idsI15__hip_bfloat162Li32ELi13ELi1EEvPKT_PKfPKiS7_S7_Pfiiiiiiiiiiiiii15HIP_vector_typeIjLj3EESA_
                                        ; -- End function
	.set _ZL13mul_mat_f_idsI15__hip_bfloat162Li32ELi13ELi1EEvPKT_PKfPKiS7_S7_Pfiiiiiiiiiiiiii15HIP_vector_typeIjLj3EESA_.num_vgpr, max(3, .L_ZL14no_device_codePKciS0_iS0_.num_vgpr)
	.set _ZL13mul_mat_f_idsI15__hip_bfloat162Li32ELi13ELi1EEvPKT_PKfPKiS7_S7_Pfiiiiiiiiiiiiii15HIP_vector_typeIjLj3EESA_.num_agpr, max(0, .L_ZL14no_device_codePKciS0_iS0_.num_agpr)
	.set _ZL13mul_mat_f_idsI15__hip_bfloat162Li32ELi13ELi1EEvPKT_PKfPKiS7_S7_Pfiiiiiiiiiiiiii15HIP_vector_typeIjLj3EESA_.numbered_sgpr, max(33, .L_ZL14no_device_codePKciS0_iS0_.numbered_sgpr)
	.set _ZL13mul_mat_f_idsI15__hip_bfloat162Li32ELi13ELi1EEvPKT_PKfPKiS7_S7_Pfiiiiiiiiiiiiii15HIP_vector_typeIjLj3EESA_.num_named_barrier, max(0, .L_ZL14no_device_codePKciS0_iS0_.num_named_barrier)
	.set _ZL13mul_mat_f_idsI15__hip_bfloat162Li32ELi13ELi1EEvPKT_PKfPKiS7_S7_Pfiiiiiiiiiiiiii15HIP_vector_typeIjLj3EESA_.private_seg_size, 0+max(.L_ZL14no_device_codePKciS0_iS0_.private_seg_size)
	.set _ZL13mul_mat_f_idsI15__hip_bfloat162Li32ELi13ELi1EEvPKT_PKfPKiS7_S7_Pfiiiiiiiiiiiiii15HIP_vector_typeIjLj3EESA_.uses_vcc, or(1, .L_ZL14no_device_codePKciS0_iS0_.uses_vcc)
	.set _ZL13mul_mat_f_idsI15__hip_bfloat162Li32ELi13ELi1EEvPKT_PKfPKiS7_S7_Pfiiiiiiiiiiiiii15HIP_vector_typeIjLj3EESA_.uses_flat_scratch, or(0, .L_ZL14no_device_codePKciS0_iS0_.uses_flat_scratch)
	.set _ZL13mul_mat_f_idsI15__hip_bfloat162Li32ELi13ELi1EEvPKT_PKfPKiS7_S7_Pfiiiiiiiiiiiiii15HIP_vector_typeIjLj3EESA_.has_dyn_sized_stack, or(0, .L_ZL14no_device_codePKciS0_iS0_.has_dyn_sized_stack)
	.set _ZL13mul_mat_f_idsI15__hip_bfloat162Li32ELi13ELi1EEvPKT_PKfPKiS7_S7_Pfiiiiiiiiiiiiii15HIP_vector_typeIjLj3EESA_.has_recursion, or(0, .L_ZL14no_device_codePKciS0_iS0_.has_recursion)
	.set _ZL13mul_mat_f_idsI15__hip_bfloat162Li32ELi13ELi1EEvPKT_PKfPKiS7_S7_Pfiiiiiiiiiiiiii15HIP_vector_typeIjLj3EESA_.has_indirect_call, or(0, .L_ZL14no_device_codePKciS0_iS0_.has_indirect_call)
	.section	.AMDGPU.csdata,"",@progbits
; Kernel info:
; codeLenInByte = 76
; TotalNumSgprs: 40
; NumVgprs: 38
; NumAgprs: 0
; TotalNumVgprs: 38
; ScratchSize: 16
; MemoryBound: 0
; FloatMode: 240
; IeeeMode: 1
; LDSByteSize: 0 bytes/workgroup (compile time only)
; SGPRBlocks: 4
; VGPRBlocks: 4
; NumSGPRsForWavesPerEU: 40
; NumVGPRsForWavesPerEU: 38
; AccumOffset: 40
; Occupancy: 8
; WaveLimiterHint : 1
; COMPUTE_PGM_RSRC2:SCRATCH_EN: 1
; COMPUTE_PGM_RSRC2:USER_SGPR: 2
; COMPUTE_PGM_RSRC2:TRAP_HANDLER: 0
; COMPUTE_PGM_RSRC2:TGID_X_EN: 1
; COMPUTE_PGM_RSRC2:TGID_Y_EN: 0
; COMPUTE_PGM_RSRC2:TGID_Z_EN: 0
; COMPUTE_PGM_RSRC2:TIDIG_COMP_CNT: 0
; COMPUTE_PGM_RSRC3_GFX90A:ACCUM_OFFSET: 9
; COMPUTE_PGM_RSRC3_GFX90A:TG_SPLIT: 0
	.section	.text._ZL9mul_mat_fI15__hip_bfloat162Li32ELi13ELi1ELb1EEvPKT_PKfPKiPfiiiiiiiiiiiiiiii,"axG",@progbits,_ZL9mul_mat_fI15__hip_bfloat162Li32ELi13ELi1ELb1EEvPKT_PKfPKiPfiiiiiiiiiiiiiiii,comdat
	.globl	_ZL9mul_mat_fI15__hip_bfloat162Li32ELi13ELi1ELb1EEvPKT_PKfPKiPfiiiiiiiiiiiiiiii ; -- Begin function _ZL9mul_mat_fI15__hip_bfloat162Li32ELi13ELi1ELb1EEvPKT_PKfPKiPfiiiiiiiiiiiiiiii
	.p2align	8
	.type	_ZL9mul_mat_fI15__hip_bfloat162Li32ELi13ELi1ELb1EEvPKT_PKfPKiPfiiiiiiiiiiiiiiii,@function
_ZL9mul_mat_fI15__hip_bfloat162Li32ELi13ELi1ELb1EEvPKT_PKfPKiPfiiiiiiiiiiiiiiii: ; @_ZL9mul_mat_fI15__hip_bfloat162Li32ELi13ELi1ELb1EEvPKT_PKfPKiPfiiiiiiiiiiiiiiii
; %bb.0:
	s_add_u32 s8, s0, 0x60
	s_addc_u32 s9, s1, 0
	s_getpc_b64 s[0:1]
	s_add_u32 s0, s0, __FUNCTION__._ZL9mul_mat_fIfLi32ELi13ELi1ELb1EEvPKT_PKfPKiPfiiiiiiiiiiiiiiii@rel32@lo+4
	s_addc_u32 s1, s1, __FUNCTION__._ZL9mul_mat_fIfLi32ELi13ELi1ELb1EEvPKT_PKfPKiPfiiiiiiiiiiiiiiii@rel32@hi+12
	s_getpc_b64 s[2:3]
	s_add_u32 s2, s2, _ZL14no_device_codePKciS0_iS0_@rel32@lo+4
	s_addc_u32 s3, s3, _ZL14no_device_codePKciS0_iS0_@rel32@hi+12
	v_mov_b32_e32 v0, 64
	v_mov_b32_e32 v1, s0
	;; [unrolled: 1-line block ×3, first 2 shown]
	s_mov_b32 s32, 0
	s_swappc_b64 s[30:31], s[2:3]
	.section	.rodata,"a",@progbits
	.p2align	6, 0x0
	.amdhsa_kernel _ZL9mul_mat_fI15__hip_bfloat162Li32ELi13ELi1ELb1EEvPKT_PKfPKiPfiiiiiiiiiiiiiiii
		.amdhsa_group_segment_fixed_size 0
		.amdhsa_private_segment_fixed_size 16
		.amdhsa_kernarg_size 352
		.amdhsa_user_sgpr_count 2
		.amdhsa_user_sgpr_dispatch_ptr 0
		.amdhsa_user_sgpr_queue_ptr 0
		.amdhsa_user_sgpr_kernarg_segment_ptr 1
		.amdhsa_user_sgpr_dispatch_id 0
		.amdhsa_user_sgpr_kernarg_preload_length 0
		.amdhsa_user_sgpr_kernarg_preload_offset 0
		.amdhsa_user_sgpr_private_segment_size 0
		.amdhsa_uses_dynamic_stack 0
		.amdhsa_enable_private_segment 1
		.amdhsa_system_sgpr_workgroup_id_x 1
		.amdhsa_system_sgpr_workgroup_id_y 0
		.amdhsa_system_sgpr_workgroup_id_z 0
		.amdhsa_system_sgpr_workgroup_info 0
		.amdhsa_system_vgpr_workitem_id 0
		.amdhsa_next_free_vgpr 38
		.amdhsa_next_free_sgpr 34
		.amdhsa_accum_offset 40
		.amdhsa_reserve_vcc 1
		.amdhsa_float_round_mode_32 0
		.amdhsa_float_round_mode_16_64 0
		.amdhsa_float_denorm_mode_32 3
		.amdhsa_float_denorm_mode_16_64 3
		.amdhsa_dx10_clamp 1
		.amdhsa_ieee_mode 1
		.amdhsa_fp16_overflow 0
		.amdhsa_tg_split 0
		.amdhsa_exception_fp_ieee_invalid_op 0
		.amdhsa_exception_fp_denorm_src 0
		.amdhsa_exception_fp_ieee_div_zero 0
		.amdhsa_exception_fp_ieee_overflow 0
		.amdhsa_exception_fp_ieee_underflow 0
		.amdhsa_exception_fp_ieee_inexact 0
		.amdhsa_exception_int_div_zero 0
	.end_amdhsa_kernel
	.section	.text._ZL9mul_mat_fI15__hip_bfloat162Li32ELi13ELi1ELb1EEvPKT_PKfPKiPfiiiiiiiiiiiiiiii,"axG",@progbits,_ZL9mul_mat_fI15__hip_bfloat162Li32ELi13ELi1ELb1EEvPKT_PKfPKiPfiiiiiiiiiiiiiiii,comdat
.Lfunc_end52:
	.size	_ZL9mul_mat_fI15__hip_bfloat162Li32ELi13ELi1ELb1EEvPKT_PKfPKiPfiiiiiiiiiiiiiiii, .Lfunc_end52-_ZL9mul_mat_fI15__hip_bfloat162Li32ELi13ELi1ELb1EEvPKT_PKfPKiPfiiiiiiiiiiiiiiii
                                        ; -- End function
	.set _ZL9mul_mat_fI15__hip_bfloat162Li32ELi13ELi1ELb1EEvPKT_PKfPKiPfiiiiiiiiiiiiiiii.num_vgpr, max(3, .L_ZL14no_device_codePKciS0_iS0_.num_vgpr)
	.set _ZL9mul_mat_fI15__hip_bfloat162Li32ELi13ELi1ELb1EEvPKT_PKfPKiPfiiiiiiiiiiiiiiii.num_agpr, max(0, .L_ZL14no_device_codePKciS0_iS0_.num_agpr)
	.set _ZL9mul_mat_fI15__hip_bfloat162Li32ELi13ELi1ELb1EEvPKT_PKfPKiPfiiiiiiiiiiiiiiii.numbered_sgpr, max(33, .L_ZL14no_device_codePKciS0_iS0_.numbered_sgpr)
	.set _ZL9mul_mat_fI15__hip_bfloat162Li32ELi13ELi1ELb1EEvPKT_PKfPKiPfiiiiiiiiiiiiiiii.num_named_barrier, max(0, .L_ZL14no_device_codePKciS0_iS0_.num_named_barrier)
	.set _ZL9mul_mat_fI15__hip_bfloat162Li32ELi13ELi1ELb1EEvPKT_PKfPKiPfiiiiiiiiiiiiiiii.private_seg_size, 0+max(.L_ZL14no_device_codePKciS0_iS0_.private_seg_size)
	.set _ZL9mul_mat_fI15__hip_bfloat162Li32ELi13ELi1ELb1EEvPKT_PKfPKiPfiiiiiiiiiiiiiiii.uses_vcc, or(1, .L_ZL14no_device_codePKciS0_iS0_.uses_vcc)
	.set _ZL9mul_mat_fI15__hip_bfloat162Li32ELi13ELi1ELb1EEvPKT_PKfPKiPfiiiiiiiiiiiiiiii.uses_flat_scratch, or(0, .L_ZL14no_device_codePKciS0_iS0_.uses_flat_scratch)
	.set _ZL9mul_mat_fI15__hip_bfloat162Li32ELi13ELi1ELb1EEvPKT_PKfPKiPfiiiiiiiiiiiiiiii.has_dyn_sized_stack, or(0, .L_ZL14no_device_codePKciS0_iS0_.has_dyn_sized_stack)
	.set _ZL9mul_mat_fI15__hip_bfloat162Li32ELi13ELi1ELb1EEvPKT_PKfPKiPfiiiiiiiiiiiiiiii.has_recursion, or(0, .L_ZL14no_device_codePKciS0_iS0_.has_recursion)
	.set _ZL9mul_mat_fI15__hip_bfloat162Li32ELi13ELi1ELb1EEvPKT_PKfPKiPfiiiiiiiiiiiiiiii.has_indirect_call, or(0, .L_ZL14no_device_codePKciS0_iS0_.has_indirect_call)
	.section	.AMDGPU.csdata,"",@progbits
; Kernel info:
; codeLenInByte = 72
; TotalNumSgprs: 40
; NumVgprs: 38
; NumAgprs: 0
; TotalNumVgprs: 38
; ScratchSize: 16
; MemoryBound: 0
; FloatMode: 240
; IeeeMode: 1
; LDSByteSize: 0 bytes/workgroup (compile time only)
; SGPRBlocks: 4
; VGPRBlocks: 4
; NumSGPRsForWavesPerEU: 40
; NumVGPRsForWavesPerEU: 38
; AccumOffset: 40
; Occupancy: 8
; WaveLimiterHint : 1
; COMPUTE_PGM_RSRC2:SCRATCH_EN: 1
; COMPUTE_PGM_RSRC2:USER_SGPR: 2
; COMPUTE_PGM_RSRC2:TRAP_HANDLER: 0
; COMPUTE_PGM_RSRC2:TGID_X_EN: 1
; COMPUTE_PGM_RSRC2:TGID_Y_EN: 0
; COMPUTE_PGM_RSRC2:TGID_Z_EN: 0
; COMPUTE_PGM_RSRC2:TIDIG_COMP_CNT: 0
; COMPUTE_PGM_RSRC3_GFX90A:ACCUM_OFFSET: 9
; COMPUTE_PGM_RSRC3_GFX90A:TG_SPLIT: 0
	.section	.text._ZL9mul_mat_fI15__hip_bfloat162Li32ELi13ELi1ELb0EEvPKT_PKfPKiPfiiiiiiiiiiiiiiii,"axG",@progbits,_ZL9mul_mat_fI15__hip_bfloat162Li32ELi13ELi1ELb0EEvPKT_PKfPKiPfiiiiiiiiiiiiiiii,comdat
	.globl	_ZL9mul_mat_fI15__hip_bfloat162Li32ELi13ELi1ELb0EEvPKT_PKfPKiPfiiiiiiiiiiiiiiii ; -- Begin function _ZL9mul_mat_fI15__hip_bfloat162Li32ELi13ELi1ELb0EEvPKT_PKfPKiPfiiiiiiiiiiiiiiii
	.p2align	8
	.type	_ZL9mul_mat_fI15__hip_bfloat162Li32ELi13ELi1ELb0EEvPKT_PKfPKiPfiiiiiiiiiiiiiiii,@function
_ZL9mul_mat_fI15__hip_bfloat162Li32ELi13ELi1ELb0EEvPKT_PKfPKiPfiiiiiiiiiiiiiiii: ; @_ZL9mul_mat_fI15__hip_bfloat162Li32ELi13ELi1ELb0EEvPKT_PKfPKiPfiiiiiiiiiiiiiiii
; %bb.0:
	s_add_u32 s8, s0, 0x60
	s_addc_u32 s9, s1, 0
	s_getpc_b64 s[0:1]
	s_add_u32 s0, s0, __FUNCTION__._ZL9mul_mat_fIfLi32ELi13ELi1ELb1EEvPKT_PKfPKiPfiiiiiiiiiiiiiiii@rel32@lo+4
	s_addc_u32 s1, s1, __FUNCTION__._ZL9mul_mat_fIfLi32ELi13ELi1ELb1EEvPKT_PKfPKiPfiiiiiiiiiiiiiiii@rel32@hi+12
	s_getpc_b64 s[2:3]
	s_add_u32 s2, s2, _ZL14no_device_codePKciS0_iS0_@rel32@lo+4
	s_addc_u32 s3, s3, _ZL14no_device_codePKciS0_iS0_@rel32@hi+12
	v_mov_b32_e32 v0, 64
	v_mov_b32_e32 v1, s0
	;; [unrolled: 1-line block ×3, first 2 shown]
	s_mov_b32 s32, 0
	s_swappc_b64 s[30:31], s[2:3]
	.section	.rodata,"a",@progbits
	.p2align	6, 0x0
	.amdhsa_kernel _ZL9mul_mat_fI15__hip_bfloat162Li32ELi13ELi1ELb0EEvPKT_PKfPKiPfiiiiiiiiiiiiiiii
		.amdhsa_group_segment_fixed_size 0
		.amdhsa_private_segment_fixed_size 16
		.amdhsa_kernarg_size 352
		.amdhsa_user_sgpr_count 2
		.amdhsa_user_sgpr_dispatch_ptr 0
		.amdhsa_user_sgpr_queue_ptr 0
		.amdhsa_user_sgpr_kernarg_segment_ptr 1
		.amdhsa_user_sgpr_dispatch_id 0
		.amdhsa_user_sgpr_kernarg_preload_length 0
		.amdhsa_user_sgpr_kernarg_preload_offset 0
		.amdhsa_user_sgpr_private_segment_size 0
		.amdhsa_uses_dynamic_stack 0
		.amdhsa_enable_private_segment 1
		.amdhsa_system_sgpr_workgroup_id_x 1
		.amdhsa_system_sgpr_workgroup_id_y 0
		.amdhsa_system_sgpr_workgroup_id_z 0
		.amdhsa_system_sgpr_workgroup_info 0
		.amdhsa_system_vgpr_workitem_id 0
		.amdhsa_next_free_vgpr 38
		.amdhsa_next_free_sgpr 34
		.amdhsa_accum_offset 40
		.amdhsa_reserve_vcc 1
		.amdhsa_float_round_mode_32 0
		.amdhsa_float_round_mode_16_64 0
		.amdhsa_float_denorm_mode_32 3
		.amdhsa_float_denorm_mode_16_64 3
		.amdhsa_dx10_clamp 1
		.amdhsa_ieee_mode 1
		.amdhsa_fp16_overflow 0
		.amdhsa_tg_split 0
		.amdhsa_exception_fp_ieee_invalid_op 0
		.amdhsa_exception_fp_denorm_src 0
		.amdhsa_exception_fp_ieee_div_zero 0
		.amdhsa_exception_fp_ieee_overflow 0
		.amdhsa_exception_fp_ieee_underflow 0
		.amdhsa_exception_fp_ieee_inexact 0
		.amdhsa_exception_int_div_zero 0
	.end_amdhsa_kernel
	.section	.text._ZL9mul_mat_fI15__hip_bfloat162Li32ELi13ELi1ELb0EEvPKT_PKfPKiPfiiiiiiiiiiiiiiii,"axG",@progbits,_ZL9mul_mat_fI15__hip_bfloat162Li32ELi13ELi1ELb0EEvPKT_PKfPKiPfiiiiiiiiiiiiiiii,comdat
.Lfunc_end53:
	.size	_ZL9mul_mat_fI15__hip_bfloat162Li32ELi13ELi1ELb0EEvPKT_PKfPKiPfiiiiiiiiiiiiiiii, .Lfunc_end53-_ZL9mul_mat_fI15__hip_bfloat162Li32ELi13ELi1ELb0EEvPKT_PKfPKiPfiiiiiiiiiiiiiiii
                                        ; -- End function
	.set _ZL9mul_mat_fI15__hip_bfloat162Li32ELi13ELi1ELb0EEvPKT_PKfPKiPfiiiiiiiiiiiiiiii.num_vgpr, max(3, .L_ZL14no_device_codePKciS0_iS0_.num_vgpr)
	.set _ZL9mul_mat_fI15__hip_bfloat162Li32ELi13ELi1ELb0EEvPKT_PKfPKiPfiiiiiiiiiiiiiiii.num_agpr, max(0, .L_ZL14no_device_codePKciS0_iS0_.num_agpr)
	.set _ZL9mul_mat_fI15__hip_bfloat162Li32ELi13ELi1ELb0EEvPKT_PKfPKiPfiiiiiiiiiiiiiiii.numbered_sgpr, max(33, .L_ZL14no_device_codePKciS0_iS0_.numbered_sgpr)
	.set _ZL9mul_mat_fI15__hip_bfloat162Li32ELi13ELi1ELb0EEvPKT_PKfPKiPfiiiiiiiiiiiiiiii.num_named_barrier, max(0, .L_ZL14no_device_codePKciS0_iS0_.num_named_barrier)
	.set _ZL9mul_mat_fI15__hip_bfloat162Li32ELi13ELi1ELb0EEvPKT_PKfPKiPfiiiiiiiiiiiiiiii.private_seg_size, 0+max(.L_ZL14no_device_codePKciS0_iS0_.private_seg_size)
	.set _ZL9mul_mat_fI15__hip_bfloat162Li32ELi13ELi1ELb0EEvPKT_PKfPKiPfiiiiiiiiiiiiiiii.uses_vcc, or(1, .L_ZL14no_device_codePKciS0_iS0_.uses_vcc)
	.set _ZL9mul_mat_fI15__hip_bfloat162Li32ELi13ELi1ELb0EEvPKT_PKfPKiPfiiiiiiiiiiiiiiii.uses_flat_scratch, or(0, .L_ZL14no_device_codePKciS0_iS0_.uses_flat_scratch)
	.set _ZL9mul_mat_fI15__hip_bfloat162Li32ELi13ELi1ELb0EEvPKT_PKfPKiPfiiiiiiiiiiiiiiii.has_dyn_sized_stack, or(0, .L_ZL14no_device_codePKciS0_iS0_.has_dyn_sized_stack)
	.set _ZL9mul_mat_fI15__hip_bfloat162Li32ELi13ELi1ELb0EEvPKT_PKfPKiPfiiiiiiiiiiiiiiii.has_recursion, or(0, .L_ZL14no_device_codePKciS0_iS0_.has_recursion)
	.set _ZL9mul_mat_fI15__hip_bfloat162Li32ELi13ELi1ELb0EEvPKT_PKfPKiPfiiiiiiiiiiiiiiii.has_indirect_call, or(0, .L_ZL14no_device_codePKciS0_iS0_.has_indirect_call)
	.section	.AMDGPU.csdata,"",@progbits
; Kernel info:
; codeLenInByte = 72
; TotalNumSgprs: 40
; NumVgprs: 38
; NumAgprs: 0
; TotalNumVgprs: 38
; ScratchSize: 16
; MemoryBound: 0
; FloatMode: 240
; IeeeMode: 1
; LDSByteSize: 0 bytes/workgroup (compile time only)
; SGPRBlocks: 4
; VGPRBlocks: 4
; NumSGPRsForWavesPerEU: 40
; NumVGPRsForWavesPerEU: 38
; AccumOffset: 40
; Occupancy: 8
; WaveLimiterHint : 1
; COMPUTE_PGM_RSRC2:SCRATCH_EN: 1
; COMPUTE_PGM_RSRC2:USER_SGPR: 2
; COMPUTE_PGM_RSRC2:TRAP_HANDLER: 0
; COMPUTE_PGM_RSRC2:TGID_X_EN: 1
; COMPUTE_PGM_RSRC2:TGID_Y_EN: 0
; COMPUTE_PGM_RSRC2:TGID_Z_EN: 0
; COMPUTE_PGM_RSRC2:TIDIG_COMP_CNT: 0
; COMPUTE_PGM_RSRC3_GFX90A:ACCUM_OFFSET: 9
; COMPUTE_PGM_RSRC3_GFX90A:TG_SPLIT: 0
	.section	.text._ZL13mul_mat_f_idsI15__hip_bfloat162Li32ELi13ELi2EEvPKT_PKfPKiS7_S7_Pfiiiiiiiiiiiiii15HIP_vector_typeIjLj3EESA_,"axG",@progbits,_ZL13mul_mat_f_idsI15__hip_bfloat162Li32ELi13ELi2EEvPKT_PKfPKiS7_S7_Pfiiiiiiiiiiiiii15HIP_vector_typeIjLj3EESA_,comdat
	.globl	_ZL13mul_mat_f_idsI15__hip_bfloat162Li32ELi13ELi2EEvPKT_PKfPKiS7_S7_Pfiiiiiiiiiiiiii15HIP_vector_typeIjLj3EESA_ ; -- Begin function _ZL13mul_mat_f_idsI15__hip_bfloat162Li32ELi13ELi2EEvPKT_PKfPKiS7_S7_Pfiiiiiiiiiiiiii15HIP_vector_typeIjLj3EESA_
	.p2align	8
	.type	_ZL13mul_mat_f_idsI15__hip_bfloat162Li32ELi13ELi2EEvPKT_PKfPKiS7_S7_Pfiiiiiiiiiiiiii15HIP_vector_typeIjLj3EESA_,@function
_ZL13mul_mat_f_idsI15__hip_bfloat162Li32ELi13ELi2EEvPKT_PKfPKiS7_S7_Pfiiiiiiiiiiiiii15HIP_vector_typeIjLj3EESA_: ; @_ZL13mul_mat_f_idsI15__hip_bfloat162Li32ELi13ELi2EEvPKT_PKfPKiS7_S7_Pfiiiiiiiiiiiiii15HIP_vector_typeIjLj3EESA_
; %bb.0:
	s_add_u32 s8, s0, 0x80
	s_addc_u32 s9, s1, 0
	s_getpc_b64 s[0:1]
	s_add_u32 s0, s0, __FUNCTION__._ZL13mul_mat_f_idsIfLi32ELi13ELi1EEvPKT_PKfPKiS6_S6_Pfiiiiiiiiiiiiii15HIP_vector_typeIjLj3EES9_@rel32@lo+4
	s_addc_u32 s1, s1, __FUNCTION__._ZL13mul_mat_f_idsIfLi32ELi13ELi1EEvPKT_PKfPKiS6_S6_Pfiiiiiiiiiiiiii15HIP_vector_typeIjLj3EES9_@rel32@hi+12
	s_getpc_b64 s[2:3]
	s_add_u32 s2, s2, _ZL14no_device_codePKciS0_iS0_@rel32@lo+4
	s_addc_u32 s3, s3, _ZL14no_device_codePKciS0_iS0_@rel32@hi+12
	v_mov_b32_e32 v0, 0x13b
	v_mov_b32_e32 v1, s0
	;; [unrolled: 1-line block ×3, first 2 shown]
	s_mov_b32 s32, 0
	s_swappc_b64 s[30:31], s[2:3]
	.section	.rodata,"a",@progbits
	.p2align	6, 0x0
	.amdhsa_kernel _ZL13mul_mat_f_idsI15__hip_bfloat162Li32ELi13ELi2EEvPKT_PKfPKiS7_S7_Pfiiiiiiiiiiiiii15HIP_vector_typeIjLj3EESA_
		.amdhsa_group_segment_fixed_size 0
		.amdhsa_private_segment_fixed_size 16
		.amdhsa_kernarg_size 384
		.amdhsa_user_sgpr_count 2
		.amdhsa_user_sgpr_dispatch_ptr 0
		.amdhsa_user_sgpr_queue_ptr 0
		.amdhsa_user_sgpr_kernarg_segment_ptr 1
		.amdhsa_user_sgpr_dispatch_id 0
		.amdhsa_user_sgpr_kernarg_preload_length 0
		.amdhsa_user_sgpr_kernarg_preload_offset 0
		.amdhsa_user_sgpr_private_segment_size 0
		.amdhsa_uses_dynamic_stack 0
		.amdhsa_enable_private_segment 1
		.amdhsa_system_sgpr_workgroup_id_x 1
		.amdhsa_system_sgpr_workgroup_id_y 0
		.amdhsa_system_sgpr_workgroup_id_z 0
		.amdhsa_system_sgpr_workgroup_info 0
		.amdhsa_system_vgpr_workitem_id 0
		.amdhsa_next_free_vgpr 38
		.amdhsa_next_free_sgpr 34
		.amdhsa_accum_offset 40
		.amdhsa_reserve_vcc 1
		.amdhsa_float_round_mode_32 0
		.amdhsa_float_round_mode_16_64 0
		.amdhsa_float_denorm_mode_32 3
		.amdhsa_float_denorm_mode_16_64 3
		.amdhsa_dx10_clamp 1
		.amdhsa_ieee_mode 1
		.amdhsa_fp16_overflow 0
		.amdhsa_tg_split 0
		.amdhsa_exception_fp_ieee_invalid_op 0
		.amdhsa_exception_fp_denorm_src 0
		.amdhsa_exception_fp_ieee_div_zero 0
		.amdhsa_exception_fp_ieee_overflow 0
		.amdhsa_exception_fp_ieee_underflow 0
		.amdhsa_exception_fp_ieee_inexact 0
		.amdhsa_exception_int_div_zero 0
	.end_amdhsa_kernel
	.section	.text._ZL13mul_mat_f_idsI15__hip_bfloat162Li32ELi13ELi2EEvPKT_PKfPKiS7_S7_Pfiiiiiiiiiiiiii15HIP_vector_typeIjLj3EESA_,"axG",@progbits,_ZL13mul_mat_f_idsI15__hip_bfloat162Li32ELi13ELi2EEvPKT_PKfPKiS7_S7_Pfiiiiiiiiiiiiii15HIP_vector_typeIjLj3EESA_,comdat
.Lfunc_end54:
	.size	_ZL13mul_mat_f_idsI15__hip_bfloat162Li32ELi13ELi2EEvPKT_PKfPKiS7_S7_Pfiiiiiiiiiiiiii15HIP_vector_typeIjLj3EESA_, .Lfunc_end54-_ZL13mul_mat_f_idsI15__hip_bfloat162Li32ELi13ELi2EEvPKT_PKfPKiS7_S7_Pfiiiiiiiiiiiiii15HIP_vector_typeIjLj3EESA_
                                        ; -- End function
	.set _ZL13mul_mat_f_idsI15__hip_bfloat162Li32ELi13ELi2EEvPKT_PKfPKiS7_S7_Pfiiiiiiiiiiiiii15HIP_vector_typeIjLj3EESA_.num_vgpr, max(3, .L_ZL14no_device_codePKciS0_iS0_.num_vgpr)
	.set _ZL13mul_mat_f_idsI15__hip_bfloat162Li32ELi13ELi2EEvPKT_PKfPKiS7_S7_Pfiiiiiiiiiiiiii15HIP_vector_typeIjLj3EESA_.num_agpr, max(0, .L_ZL14no_device_codePKciS0_iS0_.num_agpr)
	.set _ZL13mul_mat_f_idsI15__hip_bfloat162Li32ELi13ELi2EEvPKT_PKfPKiS7_S7_Pfiiiiiiiiiiiiii15HIP_vector_typeIjLj3EESA_.numbered_sgpr, max(33, .L_ZL14no_device_codePKciS0_iS0_.numbered_sgpr)
	.set _ZL13mul_mat_f_idsI15__hip_bfloat162Li32ELi13ELi2EEvPKT_PKfPKiS7_S7_Pfiiiiiiiiiiiiii15HIP_vector_typeIjLj3EESA_.num_named_barrier, max(0, .L_ZL14no_device_codePKciS0_iS0_.num_named_barrier)
	.set _ZL13mul_mat_f_idsI15__hip_bfloat162Li32ELi13ELi2EEvPKT_PKfPKiS7_S7_Pfiiiiiiiiiiiiii15HIP_vector_typeIjLj3EESA_.private_seg_size, 0+max(.L_ZL14no_device_codePKciS0_iS0_.private_seg_size)
	.set _ZL13mul_mat_f_idsI15__hip_bfloat162Li32ELi13ELi2EEvPKT_PKfPKiS7_S7_Pfiiiiiiiiiiiiii15HIP_vector_typeIjLj3EESA_.uses_vcc, or(1, .L_ZL14no_device_codePKciS0_iS0_.uses_vcc)
	.set _ZL13mul_mat_f_idsI15__hip_bfloat162Li32ELi13ELi2EEvPKT_PKfPKiS7_S7_Pfiiiiiiiiiiiiii15HIP_vector_typeIjLj3EESA_.uses_flat_scratch, or(0, .L_ZL14no_device_codePKciS0_iS0_.uses_flat_scratch)
	.set _ZL13mul_mat_f_idsI15__hip_bfloat162Li32ELi13ELi2EEvPKT_PKfPKiS7_S7_Pfiiiiiiiiiiiiii15HIP_vector_typeIjLj3EESA_.has_dyn_sized_stack, or(0, .L_ZL14no_device_codePKciS0_iS0_.has_dyn_sized_stack)
	.set _ZL13mul_mat_f_idsI15__hip_bfloat162Li32ELi13ELi2EEvPKT_PKfPKiS7_S7_Pfiiiiiiiiiiiiii15HIP_vector_typeIjLj3EESA_.has_recursion, or(0, .L_ZL14no_device_codePKciS0_iS0_.has_recursion)
	.set _ZL13mul_mat_f_idsI15__hip_bfloat162Li32ELi13ELi2EEvPKT_PKfPKiS7_S7_Pfiiiiiiiiiiiiii15HIP_vector_typeIjLj3EESA_.has_indirect_call, or(0, .L_ZL14no_device_codePKciS0_iS0_.has_indirect_call)
	.section	.AMDGPU.csdata,"",@progbits
; Kernel info:
; codeLenInByte = 76
; TotalNumSgprs: 40
; NumVgprs: 38
; NumAgprs: 0
; TotalNumVgprs: 38
; ScratchSize: 16
; MemoryBound: 0
; FloatMode: 240
; IeeeMode: 1
; LDSByteSize: 0 bytes/workgroup (compile time only)
; SGPRBlocks: 4
; VGPRBlocks: 4
; NumSGPRsForWavesPerEU: 40
; NumVGPRsForWavesPerEU: 38
; AccumOffset: 40
; Occupancy: 8
; WaveLimiterHint : 1
; COMPUTE_PGM_RSRC2:SCRATCH_EN: 1
; COMPUTE_PGM_RSRC2:USER_SGPR: 2
; COMPUTE_PGM_RSRC2:TRAP_HANDLER: 0
; COMPUTE_PGM_RSRC2:TGID_X_EN: 1
; COMPUTE_PGM_RSRC2:TGID_Y_EN: 0
; COMPUTE_PGM_RSRC2:TGID_Z_EN: 0
; COMPUTE_PGM_RSRC2:TIDIG_COMP_CNT: 0
; COMPUTE_PGM_RSRC3_GFX90A:ACCUM_OFFSET: 9
; COMPUTE_PGM_RSRC3_GFX90A:TG_SPLIT: 0
	.section	.text._ZL9mul_mat_fI15__hip_bfloat162Li32ELi13ELi2ELb1EEvPKT_PKfPKiPfiiiiiiiiiiiiiiii,"axG",@progbits,_ZL9mul_mat_fI15__hip_bfloat162Li32ELi13ELi2ELb1EEvPKT_PKfPKiPfiiiiiiiiiiiiiiii,comdat
	.globl	_ZL9mul_mat_fI15__hip_bfloat162Li32ELi13ELi2ELb1EEvPKT_PKfPKiPfiiiiiiiiiiiiiiii ; -- Begin function _ZL9mul_mat_fI15__hip_bfloat162Li32ELi13ELi2ELb1EEvPKT_PKfPKiPfiiiiiiiiiiiiiiii
	.p2align	8
	.type	_ZL9mul_mat_fI15__hip_bfloat162Li32ELi13ELi2ELb1EEvPKT_PKfPKiPfiiiiiiiiiiiiiiii,@function
_ZL9mul_mat_fI15__hip_bfloat162Li32ELi13ELi2ELb1EEvPKT_PKfPKiPfiiiiiiiiiiiiiiii: ; @_ZL9mul_mat_fI15__hip_bfloat162Li32ELi13ELi2ELb1EEvPKT_PKfPKiPfiiiiiiiiiiiiiiii
; %bb.0:
	s_add_u32 s8, s0, 0x60
	s_addc_u32 s9, s1, 0
	s_getpc_b64 s[0:1]
	s_add_u32 s0, s0, __FUNCTION__._ZL9mul_mat_fIfLi32ELi13ELi1ELb1EEvPKT_PKfPKiPfiiiiiiiiiiiiiiii@rel32@lo+4
	s_addc_u32 s1, s1, __FUNCTION__._ZL9mul_mat_fIfLi32ELi13ELi1ELb1EEvPKT_PKfPKiPfiiiiiiiiiiiiiiii@rel32@hi+12
	s_getpc_b64 s[2:3]
	s_add_u32 s2, s2, _ZL14no_device_codePKciS0_iS0_@rel32@lo+4
	s_addc_u32 s3, s3, _ZL14no_device_codePKciS0_iS0_@rel32@hi+12
	v_mov_b32_e32 v0, 64
	v_mov_b32_e32 v1, s0
	;; [unrolled: 1-line block ×3, first 2 shown]
	s_mov_b32 s32, 0
	s_swappc_b64 s[30:31], s[2:3]
	.section	.rodata,"a",@progbits
	.p2align	6, 0x0
	.amdhsa_kernel _ZL9mul_mat_fI15__hip_bfloat162Li32ELi13ELi2ELb1EEvPKT_PKfPKiPfiiiiiiiiiiiiiiii
		.amdhsa_group_segment_fixed_size 0
		.amdhsa_private_segment_fixed_size 16
		.amdhsa_kernarg_size 352
		.amdhsa_user_sgpr_count 2
		.amdhsa_user_sgpr_dispatch_ptr 0
		.amdhsa_user_sgpr_queue_ptr 0
		.amdhsa_user_sgpr_kernarg_segment_ptr 1
		.amdhsa_user_sgpr_dispatch_id 0
		.amdhsa_user_sgpr_kernarg_preload_length 0
		.amdhsa_user_sgpr_kernarg_preload_offset 0
		.amdhsa_user_sgpr_private_segment_size 0
		.amdhsa_uses_dynamic_stack 0
		.amdhsa_enable_private_segment 1
		.amdhsa_system_sgpr_workgroup_id_x 1
		.amdhsa_system_sgpr_workgroup_id_y 0
		.amdhsa_system_sgpr_workgroup_id_z 0
		.amdhsa_system_sgpr_workgroup_info 0
		.amdhsa_system_vgpr_workitem_id 0
		.amdhsa_next_free_vgpr 38
		.amdhsa_next_free_sgpr 34
		.amdhsa_accum_offset 40
		.amdhsa_reserve_vcc 1
		.amdhsa_float_round_mode_32 0
		.amdhsa_float_round_mode_16_64 0
		.amdhsa_float_denorm_mode_32 3
		.amdhsa_float_denorm_mode_16_64 3
		.amdhsa_dx10_clamp 1
		.amdhsa_ieee_mode 1
		.amdhsa_fp16_overflow 0
		.amdhsa_tg_split 0
		.amdhsa_exception_fp_ieee_invalid_op 0
		.amdhsa_exception_fp_denorm_src 0
		.amdhsa_exception_fp_ieee_div_zero 0
		.amdhsa_exception_fp_ieee_overflow 0
		.amdhsa_exception_fp_ieee_underflow 0
		.amdhsa_exception_fp_ieee_inexact 0
		.amdhsa_exception_int_div_zero 0
	.end_amdhsa_kernel
	.section	.text._ZL9mul_mat_fI15__hip_bfloat162Li32ELi13ELi2ELb1EEvPKT_PKfPKiPfiiiiiiiiiiiiiiii,"axG",@progbits,_ZL9mul_mat_fI15__hip_bfloat162Li32ELi13ELi2ELb1EEvPKT_PKfPKiPfiiiiiiiiiiiiiiii,comdat
.Lfunc_end55:
	.size	_ZL9mul_mat_fI15__hip_bfloat162Li32ELi13ELi2ELb1EEvPKT_PKfPKiPfiiiiiiiiiiiiiiii, .Lfunc_end55-_ZL9mul_mat_fI15__hip_bfloat162Li32ELi13ELi2ELb1EEvPKT_PKfPKiPfiiiiiiiiiiiiiiii
                                        ; -- End function
	.set _ZL9mul_mat_fI15__hip_bfloat162Li32ELi13ELi2ELb1EEvPKT_PKfPKiPfiiiiiiiiiiiiiiii.num_vgpr, max(3, .L_ZL14no_device_codePKciS0_iS0_.num_vgpr)
	.set _ZL9mul_mat_fI15__hip_bfloat162Li32ELi13ELi2ELb1EEvPKT_PKfPKiPfiiiiiiiiiiiiiiii.num_agpr, max(0, .L_ZL14no_device_codePKciS0_iS0_.num_agpr)
	.set _ZL9mul_mat_fI15__hip_bfloat162Li32ELi13ELi2ELb1EEvPKT_PKfPKiPfiiiiiiiiiiiiiiii.numbered_sgpr, max(33, .L_ZL14no_device_codePKciS0_iS0_.numbered_sgpr)
	.set _ZL9mul_mat_fI15__hip_bfloat162Li32ELi13ELi2ELb1EEvPKT_PKfPKiPfiiiiiiiiiiiiiiii.num_named_barrier, max(0, .L_ZL14no_device_codePKciS0_iS0_.num_named_barrier)
	.set _ZL9mul_mat_fI15__hip_bfloat162Li32ELi13ELi2ELb1EEvPKT_PKfPKiPfiiiiiiiiiiiiiiii.private_seg_size, 0+max(.L_ZL14no_device_codePKciS0_iS0_.private_seg_size)
	.set _ZL9mul_mat_fI15__hip_bfloat162Li32ELi13ELi2ELb1EEvPKT_PKfPKiPfiiiiiiiiiiiiiiii.uses_vcc, or(1, .L_ZL14no_device_codePKciS0_iS0_.uses_vcc)
	.set _ZL9mul_mat_fI15__hip_bfloat162Li32ELi13ELi2ELb1EEvPKT_PKfPKiPfiiiiiiiiiiiiiiii.uses_flat_scratch, or(0, .L_ZL14no_device_codePKciS0_iS0_.uses_flat_scratch)
	.set _ZL9mul_mat_fI15__hip_bfloat162Li32ELi13ELi2ELb1EEvPKT_PKfPKiPfiiiiiiiiiiiiiiii.has_dyn_sized_stack, or(0, .L_ZL14no_device_codePKciS0_iS0_.has_dyn_sized_stack)
	.set _ZL9mul_mat_fI15__hip_bfloat162Li32ELi13ELi2ELb1EEvPKT_PKfPKiPfiiiiiiiiiiiiiiii.has_recursion, or(0, .L_ZL14no_device_codePKciS0_iS0_.has_recursion)
	.set _ZL9mul_mat_fI15__hip_bfloat162Li32ELi13ELi2ELb1EEvPKT_PKfPKiPfiiiiiiiiiiiiiiii.has_indirect_call, or(0, .L_ZL14no_device_codePKciS0_iS0_.has_indirect_call)
	.section	.AMDGPU.csdata,"",@progbits
; Kernel info:
; codeLenInByte = 72
; TotalNumSgprs: 40
; NumVgprs: 38
; NumAgprs: 0
; TotalNumVgprs: 38
; ScratchSize: 16
; MemoryBound: 0
; FloatMode: 240
; IeeeMode: 1
; LDSByteSize: 0 bytes/workgroup (compile time only)
; SGPRBlocks: 4
; VGPRBlocks: 4
; NumSGPRsForWavesPerEU: 40
; NumVGPRsForWavesPerEU: 38
; AccumOffset: 40
; Occupancy: 8
; WaveLimiterHint : 1
; COMPUTE_PGM_RSRC2:SCRATCH_EN: 1
; COMPUTE_PGM_RSRC2:USER_SGPR: 2
; COMPUTE_PGM_RSRC2:TRAP_HANDLER: 0
; COMPUTE_PGM_RSRC2:TGID_X_EN: 1
; COMPUTE_PGM_RSRC2:TGID_Y_EN: 0
; COMPUTE_PGM_RSRC2:TGID_Z_EN: 0
; COMPUTE_PGM_RSRC2:TIDIG_COMP_CNT: 0
; COMPUTE_PGM_RSRC3_GFX90A:ACCUM_OFFSET: 9
; COMPUTE_PGM_RSRC3_GFX90A:TG_SPLIT: 0
	.section	.text._ZL9mul_mat_fI15__hip_bfloat162Li32ELi13ELi2ELb0EEvPKT_PKfPKiPfiiiiiiiiiiiiiiii,"axG",@progbits,_ZL9mul_mat_fI15__hip_bfloat162Li32ELi13ELi2ELb0EEvPKT_PKfPKiPfiiiiiiiiiiiiiiii,comdat
	.globl	_ZL9mul_mat_fI15__hip_bfloat162Li32ELi13ELi2ELb0EEvPKT_PKfPKiPfiiiiiiiiiiiiiiii ; -- Begin function _ZL9mul_mat_fI15__hip_bfloat162Li32ELi13ELi2ELb0EEvPKT_PKfPKiPfiiiiiiiiiiiiiiii
	.p2align	8
	.type	_ZL9mul_mat_fI15__hip_bfloat162Li32ELi13ELi2ELb0EEvPKT_PKfPKiPfiiiiiiiiiiiiiiii,@function
_ZL9mul_mat_fI15__hip_bfloat162Li32ELi13ELi2ELb0EEvPKT_PKfPKiPfiiiiiiiiiiiiiiii: ; @_ZL9mul_mat_fI15__hip_bfloat162Li32ELi13ELi2ELb0EEvPKT_PKfPKiPfiiiiiiiiiiiiiiii
; %bb.0:
	s_add_u32 s8, s0, 0x60
	s_addc_u32 s9, s1, 0
	s_getpc_b64 s[0:1]
	s_add_u32 s0, s0, __FUNCTION__._ZL9mul_mat_fIfLi32ELi13ELi1ELb1EEvPKT_PKfPKiPfiiiiiiiiiiiiiiii@rel32@lo+4
	s_addc_u32 s1, s1, __FUNCTION__._ZL9mul_mat_fIfLi32ELi13ELi1ELb1EEvPKT_PKfPKiPfiiiiiiiiiiiiiiii@rel32@hi+12
	s_getpc_b64 s[2:3]
	s_add_u32 s2, s2, _ZL14no_device_codePKciS0_iS0_@rel32@lo+4
	s_addc_u32 s3, s3, _ZL14no_device_codePKciS0_iS0_@rel32@hi+12
	v_mov_b32_e32 v0, 64
	v_mov_b32_e32 v1, s0
	;; [unrolled: 1-line block ×3, first 2 shown]
	s_mov_b32 s32, 0
	s_swappc_b64 s[30:31], s[2:3]
	.section	.rodata,"a",@progbits
	.p2align	6, 0x0
	.amdhsa_kernel _ZL9mul_mat_fI15__hip_bfloat162Li32ELi13ELi2ELb0EEvPKT_PKfPKiPfiiiiiiiiiiiiiiii
		.amdhsa_group_segment_fixed_size 0
		.amdhsa_private_segment_fixed_size 16
		.amdhsa_kernarg_size 352
		.amdhsa_user_sgpr_count 2
		.amdhsa_user_sgpr_dispatch_ptr 0
		.amdhsa_user_sgpr_queue_ptr 0
		.amdhsa_user_sgpr_kernarg_segment_ptr 1
		.amdhsa_user_sgpr_dispatch_id 0
		.amdhsa_user_sgpr_kernarg_preload_length 0
		.amdhsa_user_sgpr_kernarg_preload_offset 0
		.amdhsa_user_sgpr_private_segment_size 0
		.amdhsa_uses_dynamic_stack 0
		.amdhsa_enable_private_segment 1
		.amdhsa_system_sgpr_workgroup_id_x 1
		.amdhsa_system_sgpr_workgroup_id_y 0
		.amdhsa_system_sgpr_workgroup_id_z 0
		.amdhsa_system_sgpr_workgroup_info 0
		.amdhsa_system_vgpr_workitem_id 0
		.amdhsa_next_free_vgpr 38
		.amdhsa_next_free_sgpr 34
		.amdhsa_accum_offset 40
		.amdhsa_reserve_vcc 1
		.amdhsa_float_round_mode_32 0
		.amdhsa_float_round_mode_16_64 0
		.amdhsa_float_denorm_mode_32 3
		.amdhsa_float_denorm_mode_16_64 3
		.amdhsa_dx10_clamp 1
		.amdhsa_ieee_mode 1
		.amdhsa_fp16_overflow 0
		.amdhsa_tg_split 0
		.amdhsa_exception_fp_ieee_invalid_op 0
		.amdhsa_exception_fp_denorm_src 0
		.amdhsa_exception_fp_ieee_div_zero 0
		.amdhsa_exception_fp_ieee_overflow 0
		.amdhsa_exception_fp_ieee_underflow 0
		.amdhsa_exception_fp_ieee_inexact 0
		.amdhsa_exception_int_div_zero 0
	.end_amdhsa_kernel
	.section	.text._ZL9mul_mat_fI15__hip_bfloat162Li32ELi13ELi2ELb0EEvPKT_PKfPKiPfiiiiiiiiiiiiiiii,"axG",@progbits,_ZL9mul_mat_fI15__hip_bfloat162Li32ELi13ELi2ELb0EEvPKT_PKfPKiPfiiiiiiiiiiiiiiii,comdat
.Lfunc_end56:
	.size	_ZL9mul_mat_fI15__hip_bfloat162Li32ELi13ELi2ELb0EEvPKT_PKfPKiPfiiiiiiiiiiiiiiii, .Lfunc_end56-_ZL9mul_mat_fI15__hip_bfloat162Li32ELi13ELi2ELb0EEvPKT_PKfPKiPfiiiiiiiiiiiiiiii
                                        ; -- End function
	.set _ZL9mul_mat_fI15__hip_bfloat162Li32ELi13ELi2ELb0EEvPKT_PKfPKiPfiiiiiiiiiiiiiiii.num_vgpr, max(3, .L_ZL14no_device_codePKciS0_iS0_.num_vgpr)
	.set _ZL9mul_mat_fI15__hip_bfloat162Li32ELi13ELi2ELb0EEvPKT_PKfPKiPfiiiiiiiiiiiiiiii.num_agpr, max(0, .L_ZL14no_device_codePKciS0_iS0_.num_agpr)
	.set _ZL9mul_mat_fI15__hip_bfloat162Li32ELi13ELi2ELb0EEvPKT_PKfPKiPfiiiiiiiiiiiiiiii.numbered_sgpr, max(33, .L_ZL14no_device_codePKciS0_iS0_.numbered_sgpr)
	.set _ZL9mul_mat_fI15__hip_bfloat162Li32ELi13ELi2ELb0EEvPKT_PKfPKiPfiiiiiiiiiiiiiiii.num_named_barrier, max(0, .L_ZL14no_device_codePKciS0_iS0_.num_named_barrier)
	.set _ZL9mul_mat_fI15__hip_bfloat162Li32ELi13ELi2ELb0EEvPKT_PKfPKiPfiiiiiiiiiiiiiiii.private_seg_size, 0+max(.L_ZL14no_device_codePKciS0_iS0_.private_seg_size)
	.set _ZL9mul_mat_fI15__hip_bfloat162Li32ELi13ELi2ELb0EEvPKT_PKfPKiPfiiiiiiiiiiiiiiii.uses_vcc, or(1, .L_ZL14no_device_codePKciS0_iS0_.uses_vcc)
	.set _ZL9mul_mat_fI15__hip_bfloat162Li32ELi13ELi2ELb0EEvPKT_PKfPKiPfiiiiiiiiiiiiiiii.uses_flat_scratch, or(0, .L_ZL14no_device_codePKciS0_iS0_.uses_flat_scratch)
	.set _ZL9mul_mat_fI15__hip_bfloat162Li32ELi13ELi2ELb0EEvPKT_PKfPKiPfiiiiiiiiiiiiiiii.has_dyn_sized_stack, or(0, .L_ZL14no_device_codePKciS0_iS0_.has_dyn_sized_stack)
	.set _ZL9mul_mat_fI15__hip_bfloat162Li32ELi13ELi2ELb0EEvPKT_PKfPKiPfiiiiiiiiiiiiiiii.has_recursion, or(0, .L_ZL14no_device_codePKciS0_iS0_.has_recursion)
	.set _ZL9mul_mat_fI15__hip_bfloat162Li32ELi13ELi2ELb0EEvPKT_PKfPKiPfiiiiiiiiiiiiiiii.has_indirect_call, or(0, .L_ZL14no_device_codePKciS0_iS0_.has_indirect_call)
	.section	.AMDGPU.csdata,"",@progbits
; Kernel info:
; codeLenInByte = 72
; TotalNumSgprs: 40
; NumVgprs: 38
; NumAgprs: 0
; TotalNumVgprs: 38
; ScratchSize: 16
; MemoryBound: 0
; FloatMode: 240
; IeeeMode: 1
; LDSByteSize: 0 bytes/workgroup (compile time only)
; SGPRBlocks: 4
; VGPRBlocks: 4
; NumSGPRsForWavesPerEU: 40
; NumVGPRsForWavesPerEU: 38
; AccumOffset: 40
; Occupancy: 8
; WaveLimiterHint : 1
; COMPUTE_PGM_RSRC2:SCRATCH_EN: 1
; COMPUTE_PGM_RSRC2:USER_SGPR: 2
; COMPUTE_PGM_RSRC2:TRAP_HANDLER: 0
; COMPUTE_PGM_RSRC2:TGID_X_EN: 1
; COMPUTE_PGM_RSRC2:TGID_Y_EN: 0
; COMPUTE_PGM_RSRC2:TGID_Z_EN: 0
; COMPUTE_PGM_RSRC2:TIDIG_COMP_CNT: 0
; COMPUTE_PGM_RSRC3_GFX90A:ACCUM_OFFSET: 9
; COMPUTE_PGM_RSRC3_GFX90A:TG_SPLIT: 0
	.section	.text._ZL13mul_mat_f_idsI15__hip_bfloat162Li32ELi13ELi3EEvPKT_PKfPKiS7_S7_Pfiiiiiiiiiiiiii15HIP_vector_typeIjLj3EESA_,"axG",@progbits,_ZL13mul_mat_f_idsI15__hip_bfloat162Li32ELi13ELi3EEvPKT_PKfPKiS7_S7_Pfiiiiiiiiiiiiii15HIP_vector_typeIjLj3EESA_,comdat
	.globl	_ZL13mul_mat_f_idsI15__hip_bfloat162Li32ELi13ELi3EEvPKT_PKfPKiS7_S7_Pfiiiiiiiiiiiiii15HIP_vector_typeIjLj3EESA_ ; -- Begin function _ZL13mul_mat_f_idsI15__hip_bfloat162Li32ELi13ELi3EEvPKT_PKfPKiS7_S7_Pfiiiiiiiiiiiiii15HIP_vector_typeIjLj3EESA_
	.p2align	8
	.type	_ZL13mul_mat_f_idsI15__hip_bfloat162Li32ELi13ELi3EEvPKT_PKfPKiS7_S7_Pfiiiiiiiiiiiiii15HIP_vector_typeIjLj3EESA_,@function
_ZL13mul_mat_f_idsI15__hip_bfloat162Li32ELi13ELi3EEvPKT_PKfPKiS7_S7_Pfiiiiiiiiiiiiii15HIP_vector_typeIjLj3EESA_: ; @_ZL13mul_mat_f_idsI15__hip_bfloat162Li32ELi13ELi3EEvPKT_PKfPKiS7_S7_Pfiiiiiiiiiiiiii15HIP_vector_typeIjLj3EESA_
; %bb.0:
	s_add_u32 s8, s0, 0x80
	s_addc_u32 s9, s1, 0
	s_getpc_b64 s[0:1]
	s_add_u32 s0, s0, __FUNCTION__._ZL13mul_mat_f_idsIfLi32ELi13ELi1EEvPKT_PKfPKiS6_S6_Pfiiiiiiiiiiiiii15HIP_vector_typeIjLj3EES9_@rel32@lo+4
	s_addc_u32 s1, s1, __FUNCTION__._ZL13mul_mat_f_idsIfLi32ELi13ELi1EEvPKT_PKfPKiS6_S6_Pfiiiiiiiiiiiiii15HIP_vector_typeIjLj3EES9_@rel32@hi+12
	s_getpc_b64 s[2:3]
	s_add_u32 s2, s2, _ZL14no_device_codePKciS0_iS0_@rel32@lo+4
	s_addc_u32 s3, s3, _ZL14no_device_codePKciS0_iS0_@rel32@hi+12
	v_mov_b32_e32 v0, 0x13b
	v_mov_b32_e32 v1, s0
	;; [unrolled: 1-line block ×3, first 2 shown]
	s_mov_b32 s32, 0
	s_swappc_b64 s[30:31], s[2:3]
	.section	.rodata,"a",@progbits
	.p2align	6, 0x0
	.amdhsa_kernel _ZL13mul_mat_f_idsI15__hip_bfloat162Li32ELi13ELi3EEvPKT_PKfPKiS7_S7_Pfiiiiiiiiiiiiii15HIP_vector_typeIjLj3EESA_
		.amdhsa_group_segment_fixed_size 0
		.amdhsa_private_segment_fixed_size 16
		.amdhsa_kernarg_size 384
		.amdhsa_user_sgpr_count 2
		.amdhsa_user_sgpr_dispatch_ptr 0
		.amdhsa_user_sgpr_queue_ptr 0
		.amdhsa_user_sgpr_kernarg_segment_ptr 1
		.amdhsa_user_sgpr_dispatch_id 0
		.amdhsa_user_sgpr_kernarg_preload_length 0
		.amdhsa_user_sgpr_kernarg_preload_offset 0
		.amdhsa_user_sgpr_private_segment_size 0
		.amdhsa_uses_dynamic_stack 0
		.amdhsa_enable_private_segment 1
		.amdhsa_system_sgpr_workgroup_id_x 1
		.amdhsa_system_sgpr_workgroup_id_y 0
		.amdhsa_system_sgpr_workgroup_id_z 0
		.amdhsa_system_sgpr_workgroup_info 0
		.amdhsa_system_vgpr_workitem_id 0
		.amdhsa_next_free_vgpr 38
		.amdhsa_next_free_sgpr 34
		.amdhsa_accum_offset 40
		.amdhsa_reserve_vcc 1
		.amdhsa_float_round_mode_32 0
		.amdhsa_float_round_mode_16_64 0
		.amdhsa_float_denorm_mode_32 3
		.amdhsa_float_denorm_mode_16_64 3
		.amdhsa_dx10_clamp 1
		.amdhsa_ieee_mode 1
		.amdhsa_fp16_overflow 0
		.amdhsa_tg_split 0
		.amdhsa_exception_fp_ieee_invalid_op 0
		.amdhsa_exception_fp_denorm_src 0
		.amdhsa_exception_fp_ieee_div_zero 0
		.amdhsa_exception_fp_ieee_overflow 0
		.amdhsa_exception_fp_ieee_underflow 0
		.amdhsa_exception_fp_ieee_inexact 0
		.amdhsa_exception_int_div_zero 0
	.end_amdhsa_kernel
	.section	.text._ZL13mul_mat_f_idsI15__hip_bfloat162Li32ELi13ELi3EEvPKT_PKfPKiS7_S7_Pfiiiiiiiiiiiiii15HIP_vector_typeIjLj3EESA_,"axG",@progbits,_ZL13mul_mat_f_idsI15__hip_bfloat162Li32ELi13ELi3EEvPKT_PKfPKiS7_S7_Pfiiiiiiiiiiiiii15HIP_vector_typeIjLj3EESA_,comdat
.Lfunc_end57:
	.size	_ZL13mul_mat_f_idsI15__hip_bfloat162Li32ELi13ELi3EEvPKT_PKfPKiS7_S7_Pfiiiiiiiiiiiiii15HIP_vector_typeIjLj3EESA_, .Lfunc_end57-_ZL13mul_mat_f_idsI15__hip_bfloat162Li32ELi13ELi3EEvPKT_PKfPKiS7_S7_Pfiiiiiiiiiiiiii15HIP_vector_typeIjLj3EESA_
                                        ; -- End function
	.set _ZL13mul_mat_f_idsI15__hip_bfloat162Li32ELi13ELi3EEvPKT_PKfPKiS7_S7_Pfiiiiiiiiiiiiii15HIP_vector_typeIjLj3EESA_.num_vgpr, max(3, .L_ZL14no_device_codePKciS0_iS0_.num_vgpr)
	.set _ZL13mul_mat_f_idsI15__hip_bfloat162Li32ELi13ELi3EEvPKT_PKfPKiS7_S7_Pfiiiiiiiiiiiiii15HIP_vector_typeIjLj3EESA_.num_agpr, max(0, .L_ZL14no_device_codePKciS0_iS0_.num_agpr)
	.set _ZL13mul_mat_f_idsI15__hip_bfloat162Li32ELi13ELi3EEvPKT_PKfPKiS7_S7_Pfiiiiiiiiiiiiii15HIP_vector_typeIjLj3EESA_.numbered_sgpr, max(33, .L_ZL14no_device_codePKciS0_iS0_.numbered_sgpr)
	.set _ZL13mul_mat_f_idsI15__hip_bfloat162Li32ELi13ELi3EEvPKT_PKfPKiS7_S7_Pfiiiiiiiiiiiiii15HIP_vector_typeIjLj3EESA_.num_named_barrier, max(0, .L_ZL14no_device_codePKciS0_iS0_.num_named_barrier)
	.set _ZL13mul_mat_f_idsI15__hip_bfloat162Li32ELi13ELi3EEvPKT_PKfPKiS7_S7_Pfiiiiiiiiiiiiii15HIP_vector_typeIjLj3EESA_.private_seg_size, 0+max(.L_ZL14no_device_codePKciS0_iS0_.private_seg_size)
	.set _ZL13mul_mat_f_idsI15__hip_bfloat162Li32ELi13ELi3EEvPKT_PKfPKiS7_S7_Pfiiiiiiiiiiiiii15HIP_vector_typeIjLj3EESA_.uses_vcc, or(1, .L_ZL14no_device_codePKciS0_iS0_.uses_vcc)
	.set _ZL13mul_mat_f_idsI15__hip_bfloat162Li32ELi13ELi3EEvPKT_PKfPKiS7_S7_Pfiiiiiiiiiiiiii15HIP_vector_typeIjLj3EESA_.uses_flat_scratch, or(0, .L_ZL14no_device_codePKciS0_iS0_.uses_flat_scratch)
	.set _ZL13mul_mat_f_idsI15__hip_bfloat162Li32ELi13ELi3EEvPKT_PKfPKiS7_S7_Pfiiiiiiiiiiiiii15HIP_vector_typeIjLj3EESA_.has_dyn_sized_stack, or(0, .L_ZL14no_device_codePKciS0_iS0_.has_dyn_sized_stack)
	.set _ZL13mul_mat_f_idsI15__hip_bfloat162Li32ELi13ELi3EEvPKT_PKfPKiS7_S7_Pfiiiiiiiiiiiiii15HIP_vector_typeIjLj3EESA_.has_recursion, or(0, .L_ZL14no_device_codePKciS0_iS0_.has_recursion)
	.set _ZL13mul_mat_f_idsI15__hip_bfloat162Li32ELi13ELi3EEvPKT_PKfPKiS7_S7_Pfiiiiiiiiiiiiii15HIP_vector_typeIjLj3EESA_.has_indirect_call, or(0, .L_ZL14no_device_codePKciS0_iS0_.has_indirect_call)
	.section	.AMDGPU.csdata,"",@progbits
; Kernel info:
; codeLenInByte = 76
; TotalNumSgprs: 40
; NumVgprs: 38
; NumAgprs: 0
; TotalNumVgprs: 38
; ScratchSize: 16
; MemoryBound: 0
; FloatMode: 240
; IeeeMode: 1
; LDSByteSize: 0 bytes/workgroup (compile time only)
; SGPRBlocks: 4
; VGPRBlocks: 4
; NumSGPRsForWavesPerEU: 40
; NumVGPRsForWavesPerEU: 38
; AccumOffset: 40
; Occupancy: 8
; WaveLimiterHint : 1
; COMPUTE_PGM_RSRC2:SCRATCH_EN: 1
; COMPUTE_PGM_RSRC2:USER_SGPR: 2
; COMPUTE_PGM_RSRC2:TRAP_HANDLER: 0
; COMPUTE_PGM_RSRC2:TGID_X_EN: 1
; COMPUTE_PGM_RSRC2:TGID_Y_EN: 0
; COMPUTE_PGM_RSRC2:TGID_Z_EN: 0
; COMPUTE_PGM_RSRC2:TIDIG_COMP_CNT: 0
; COMPUTE_PGM_RSRC3_GFX90A:ACCUM_OFFSET: 9
; COMPUTE_PGM_RSRC3_GFX90A:TG_SPLIT: 0
	.section	.text._ZL9mul_mat_fI15__hip_bfloat162Li32ELi13ELi3ELb1EEvPKT_PKfPKiPfiiiiiiiiiiiiiiii,"axG",@progbits,_ZL9mul_mat_fI15__hip_bfloat162Li32ELi13ELi3ELb1EEvPKT_PKfPKiPfiiiiiiiiiiiiiiii,comdat
	.globl	_ZL9mul_mat_fI15__hip_bfloat162Li32ELi13ELi3ELb1EEvPKT_PKfPKiPfiiiiiiiiiiiiiiii ; -- Begin function _ZL9mul_mat_fI15__hip_bfloat162Li32ELi13ELi3ELb1EEvPKT_PKfPKiPfiiiiiiiiiiiiiiii
	.p2align	8
	.type	_ZL9mul_mat_fI15__hip_bfloat162Li32ELi13ELi3ELb1EEvPKT_PKfPKiPfiiiiiiiiiiiiiiii,@function
_ZL9mul_mat_fI15__hip_bfloat162Li32ELi13ELi3ELb1EEvPKT_PKfPKiPfiiiiiiiiiiiiiiii: ; @_ZL9mul_mat_fI15__hip_bfloat162Li32ELi13ELi3ELb1EEvPKT_PKfPKiPfiiiiiiiiiiiiiiii
; %bb.0:
	s_add_u32 s8, s0, 0x60
	s_addc_u32 s9, s1, 0
	s_getpc_b64 s[0:1]
	s_add_u32 s0, s0, __FUNCTION__._ZL9mul_mat_fIfLi32ELi13ELi1ELb1EEvPKT_PKfPKiPfiiiiiiiiiiiiiiii@rel32@lo+4
	s_addc_u32 s1, s1, __FUNCTION__._ZL9mul_mat_fIfLi32ELi13ELi1ELb1EEvPKT_PKfPKiPfiiiiiiiiiiiiiiii@rel32@hi+12
	s_getpc_b64 s[2:3]
	s_add_u32 s2, s2, _ZL14no_device_codePKciS0_iS0_@rel32@lo+4
	s_addc_u32 s3, s3, _ZL14no_device_codePKciS0_iS0_@rel32@hi+12
	v_mov_b32_e32 v0, 64
	v_mov_b32_e32 v1, s0
	;; [unrolled: 1-line block ×3, first 2 shown]
	s_mov_b32 s32, 0
	s_swappc_b64 s[30:31], s[2:3]
	.section	.rodata,"a",@progbits
	.p2align	6, 0x0
	.amdhsa_kernel _ZL9mul_mat_fI15__hip_bfloat162Li32ELi13ELi3ELb1EEvPKT_PKfPKiPfiiiiiiiiiiiiiiii
		.amdhsa_group_segment_fixed_size 0
		.amdhsa_private_segment_fixed_size 16
		.amdhsa_kernarg_size 352
		.amdhsa_user_sgpr_count 2
		.amdhsa_user_sgpr_dispatch_ptr 0
		.amdhsa_user_sgpr_queue_ptr 0
		.amdhsa_user_sgpr_kernarg_segment_ptr 1
		.amdhsa_user_sgpr_dispatch_id 0
		.amdhsa_user_sgpr_kernarg_preload_length 0
		.amdhsa_user_sgpr_kernarg_preload_offset 0
		.amdhsa_user_sgpr_private_segment_size 0
		.amdhsa_uses_dynamic_stack 0
		.amdhsa_enable_private_segment 1
		.amdhsa_system_sgpr_workgroup_id_x 1
		.amdhsa_system_sgpr_workgroup_id_y 0
		.amdhsa_system_sgpr_workgroup_id_z 0
		.amdhsa_system_sgpr_workgroup_info 0
		.amdhsa_system_vgpr_workitem_id 0
		.amdhsa_next_free_vgpr 38
		.amdhsa_next_free_sgpr 34
		.amdhsa_accum_offset 40
		.amdhsa_reserve_vcc 1
		.amdhsa_float_round_mode_32 0
		.amdhsa_float_round_mode_16_64 0
		.amdhsa_float_denorm_mode_32 3
		.amdhsa_float_denorm_mode_16_64 3
		.amdhsa_dx10_clamp 1
		.amdhsa_ieee_mode 1
		.amdhsa_fp16_overflow 0
		.amdhsa_tg_split 0
		.amdhsa_exception_fp_ieee_invalid_op 0
		.amdhsa_exception_fp_denorm_src 0
		.amdhsa_exception_fp_ieee_div_zero 0
		.amdhsa_exception_fp_ieee_overflow 0
		.amdhsa_exception_fp_ieee_underflow 0
		.amdhsa_exception_fp_ieee_inexact 0
		.amdhsa_exception_int_div_zero 0
	.end_amdhsa_kernel
	.section	.text._ZL9mul_mat_fI15__hip_bfloat162Li32ELi13ELi3ELb1EEvPKT_PKfPKiPfiiiiiiiiiiiiiiii,"axG",@progbits,_ZL9mul_mat_fI15__hip_bfloat162Li32ELi13ELi3ELb1EEvPKT_PKfPKiPfiiiiiiiiiiiiiiii,comdat
.Lfunc_end58:
	.size	_ZL9mul_mat_fI15__hip_bfloat162Li32ELi13ELi3ELb1EEvPKT_PKfPKiPfiiiiiiiiiiiiiiii, .Lfunc_end58-_ZL9mul_mat_fI15__hip_bfloat162Li32ELi13ELi3ELb1EEvPKT_PKfPKiPfiiiiiiiiiiiiiiii
                                        ; -- End function
	.set _ZL9mul_mat_fI15__hip_bfloat162Li32ELi13ELi3ELb1EEvPKT_PKfPKiPfiiiiiiiiiiiiiiii.num_vgpr, max(3, .L_ZL14no_device_codePKciS0_iS0_.num_vgpr)
	.set _ZL9mul_mat_fI15__hip_bfloat162Li32ELi13ELi3ELb1EEvPKT_PKfPKiPfiiiiiiiiiiiiiiii.num_agpr, max(0, .L_ZL14no_device_codePKciS0_iS0_.num_agpr)
	.set _ZL9mul_mat_fI15__hip_bfloat162Li32ELi13ELi3ELb1EEvPKT_PKfPKiPfiiiiiiiiiiiiiiii.numbered_sgpr, max(33, .L_ZL14no_device_codePKciS0_iS0_.numbered_sgpr)
	.set _ZL9mul_mat_fI15__hip_bfloat162Li32ELi13ELi3ELb1EEvPKT_PKfPKiPfiiiiiiiiiiiiiiii.num_named_barrier, max(0, .L_ZL14no_device_codePKciS0_iS0_.num_named_barrier)
	.set _ZL9mul_mat_fI15__hip_bfloat162Li32ELi13ELi3ELb1EEvPKT_PKfPKiPfiiiiiiiiiiiiiiii.private_seg_size, 0+max(.L_ZL14no_device_codePKciS0_iS0_.private_seg_size)
	.set _ZL9mul_mat_fI15__hip_bfloat162Li32ELi13ELi3ELb1EEvPKT_PKfPKiPfiiiiiiiiiiiiiiii.uses_vcc, or(1, .L_ZL14no_device_codePKciS0_iS0_.uses_vcc)
	.set _ZL9mul_mat_fI15__hip_bfloat162Li32ELi13ELi3ELb1EEvPKT_PKfPKiPfiiiiiiiiiiiiiiii.uses_flat_scratch, or(0, .L_ZL14no_device_codePKciS0_iS0_.uses_flat_scratch)
	.set _ZL9mul_mat_fI15__hip_bfloat162Li32ELi13ELi3ELb1EEvPKT_PKfPKiPfiiiiiiiiiiiiiiii.has_dyn_sized_stack, or(0, .L_ZL14no_device_codePKciS0_iS0_.has_dyn_sized_stack)
	.set _ZL9mul_mat_fI15__hip_bfloat162Li32ELi13ELi3ELb1EEvPKT_PKfPKiPfiiiiiiiiiiiiiiii.has_recursion, or(0, .L_ZL14no_device_codePKciS0_iS0_.has_recursion)
	.set _ZL9mul_mat_fI15__hip_bfloat162Li32ELi13ELi3ELb1EEvPKT_PKfPKiPfiiiiiiiiiiiiiiii.has_indirect_call, or(0, .L_ZL14no_device_codePKciS0_iS0_.has_indirect_call)
	.section	.AMDGPU.csdata,"",@progbits
; Kernel info:
; codeLenInByte = 72
; TotalNumSgprs: 40
; NumVgprs: 38
; NumAgprs: 0
; TotalNumVgprs: 38
; ScratchSize: 16
; MemoryBound: 0
; FloatMode: 240
; IeeeMode: 1
; LDSByteSize: 0 bytes/workgroup (compile time only)
; SGPRBlocks: 4
; VGPRBlocks: 4
; NumSGPRsForWavesPerEU: 40
; NumVGPRsForWavesPerEU: 38
; AccumOffset: 40
; Occupancy: 8
; WaveLimiterHint : 1
; COMPUTE_PGM_RSRC2:SCRATCH_EN: 1
; COMPUTE_PGM_RSRC2:USER_SGPR: 2
; COMPUTE_PGM_RSRC2:TRAP_HANDLER: 0
; COMPUTE_PGM_RSRC2:TGID_X_EN: 1
; COMPUTE_PGM_RSRC2:TGID_Y_EN: 0
; COMPUTE_PGM_RSRC2:TGID_Z_EN: 0
; COMPUTE_PGM_RSRC2:TIDIG_COMP_CNT: 0
; COMPUTE_PGM_RSRC3_GFX90A:ACCUM_OFFSET: 9
; COMPUTE_PGM_RSRC3_GFX90A:TG_SPLIT: 0
	.section	.text._ZL9mul_mat_fI15__hip_bfloat162Li32ELi13ELi3ELb0EEvPKT_PKfPKiPfiiiiiiiiiiiiiiii,"axG",@progbits,_ZL9mul_mat_fI15__hip_bfloat162Li32ELi13ELi3ELb0EEvPKT_PKfPKiPfiiiiiiiiiiiiiiii,comdat
	.globl	_ZL9mul_mat_fI15__hip_bfloat162Li32ELi13ELi3ELb0EEvPKT_PKfPKiPfiiiiiiiiiiiiiiii ; -- Begin function _ZL9mul_mat_fI15__hip_bfloat162Li32ELi13ELi3ELb0EEvPKT_PKfPKiPfiiiiiiiiiiiiiiii
	.p2align	8
	.type	_ZL9mul_mat_fI15__hip_bfloat162Li32ELi13ELi3ELb0EEvPKT_PKfPKiPfiiiiiiiiiiiiiiii,@function
_ZL9mul_mat_fI15__hip_bfloat162Li32ELi13ELi3ELb0EEvPKT_PKfPKiPfiiiiiiiiiiiiiiii: ; @_ZL9mul_mat_fI15__hip_bfloat162Li32ELi13ELi3ELb0EEvPKT_PKfPKiPfiiiiiiiiiiiiiiii
; %bb.0:
	s_add_u32 s8, s0, 0x60
	s_addc_u32 s9, s1, 0
	s_getpc_b64 s[0:1]
	s_add_u32 s0, s0, __FUNCTION__._ZL9mul_mat_fIfLi32ELi13ELi1ELb1EEvPKT_PKfPKiPfiiiiiiiiiiiiiiii@rel32@lo+4
	s_addc_u32 s1, s1, __FUNCTION__._ZL9mul_mat_fIfLi32ELi13ELi1ELb1EEvPKT_PKfPKiPfiiiiiiiiiiiiiiii@rel32@hi+12
	s_getpc_b64 s[2:3]
	s_add_u32 s2, s2, _ZL14no_device_codePKciS0_iS0_@rel32@lo+4
	s_addc_u32 s3, s3, _ZL14no_device_codePKciS0_iS0_@rel32@hi+12
	v_mov_b32_e32 v0, 64
	v_mov_b32_e32 v1, s0
	;; [unrolled: 1-line block ×3, first 2 shown]
	s_mov_b32 s32, 0
	s_swappc_b64 s[30:31], s[2:3]
	.section	.rodata,"a",@progbits
	.p2align	6, 0x0
	.amdhsa_kernel _ZL9mul_mat_fI15__hip_bfloat162Li32ELi13ELi3ELb0EEvPKT_PKfPKiPfiiiiiiiiiiiiiiii
		.amdhsa_group_segment_fixed_size 0
		.amdhsa_private_segment_fixed_size 16
		.amdhsa_kernarg_size 352
		.amdhsa_user_sgpr_count 2
		.amdhsa_user_sgpr_dispatch_ptr 0
		.amdhsa_user_sgpr_queue_ptr 0
		.amdhsa_user_sgpr_kernarg_segment_ptr 1
		.amdhsa_user_sgpr_dispatch_id 0
		.amdhsa_user_sgpr_kernarg_preload_length 0
		.amdhsa_user_sgpr_kernarg_preload_offset 0
		.amdhsa_user_sgpr_private_segment_size 0
		.amdhsa_uses_dynamic_stack 0
		.amdhsa_enable_private_segment 1
		.amdhsa_system_sgpr_workgroup_id_x 1
		.amdhsa_system_sgpr_workgroup_id_y 0
		.amdhsa_system_sgpr_workgroup_id_z 0
		.amdhsa_system_sgpr_workgroup_info 0
		.amdhsa_system_vgpr_workitem_id 0
		.amdhsa_next_free_vgpr 38
		.amdhsa_next_free_sgpr 34
		.amdhsa_accum_offset 40
		.amdhsa_reserve_vcc 1
		.amdhsa_float_round_mode_32 0
		.amdhsa_float_round_mode_16_64 0
		.amdhsa_float_denorm_mode_32 3
		.amdhsa_float_denorm_mode_16_64 3
		.amdhsa_dx10_clamp 1
		.amdhsa_ieee_mode 1
		.amdhsa_fp16_overflow 0
		.amdhsa_tg_split 0
		.amdhsa_exception_fp_ieee_invalid_op 0
		.amdhsa_exception_fp_denorm_src 0
		.amdhsa_exception_fp_ieee_div_zero 0
		.amdhsa_exception_fp_ieee_overflow 0
		.amdhsa_exception_fp_ieee_underflow 0
		.amdhsa_exception_fp_ieee_inexact 0
		.amdhsa_exception_int_div_zero 0
	.end_amdhsa_kernel
	.section	.text._ZL9mul_mat_fI15__hip_bfloat162Li32ELi13ELi3ELb0EEvPKT_PKfPKiPfiiiiiiiiiiiiiiii,"axG",@progbits,_ZL9mul_mat_fI15__hip_bfloat162Li32ELi13ELi3ELb0EEvPKT_PKfPKiPfiiiiiiiiiiiiiiii,comdat
.Lfunc_end59:
	.size	_ZL9mul_mat_fI15__hip_bfloat162Li32ELi13ELi3ELb0EEvPKT_PKfPKiPfiiiiiiiiiiiiiiii, .Lfunc_end59-_ZL9mul_mat_fI15__hip_bfloat162Li32ELi13ELi3ELb0EEvPKT_PKfPKiPfiiiiiiiiiiiiiiii
                                        ; -- End function
	.set _ZL9mul_mat_fI15__hip_bfloat162Li32ELi13ELi3ELb0EEvPKT_PKfPKiPfiiiiiiiiiiiiiiii.num_vgpr, max(3, .L_ZL14no_device_codePKciS0_iS0_.num_vgpr)
	.set _ZL9mul_mat_fI15__hip_bfloat162Li32ELi13ELi3ELb0EEvPKT_PKfPKiPfiiiiiiiiiiiiiiii.num_agpr, max(0, .L_ZL14no_device_codePKciS0_iS0_.num_agpr)
	.set _ZL9mul_mat_fI15__hip_bfloat162Li32ELi13ELi3ELb0EEvPKT_PKfPKiPfiiiiiiiiiiiiiiii.numbered_sgpr, max(33, .L_ZL14no_device_codePKciS0_iS0_.numbered_sgpr)
	.set _ZL9mul_mat_fI15__hip_bfloat162Li32ELi13ELi3ELb0EEvPKT_PKfPKiPfiiiiiiiiiiiiiiii.num_named_barrier, max(0, .L_ZL14no_device_codePKciS0_iS0_.num_named_barrier)
	.set _ZL9mul_mat_fI15__hip_bfloat162Li32ELi13ELi3ELb0EEvPKT_PKfPKiPfiiiiiiiiiiiiiiii.private_seg_size, 0+max(.L_ZL14no_device_codePKciS0_iS0_.private_seg_size)
	.set _ZL9mul_mat_fI15__hip_bfloat162Li32ELi13ELi3ELb0EEvPKT_PKfPKiPfiiiiiiiiiiiiiiii.uses_vcc, or(1, .L_ZL14no_device_codePKciS0_iS0_.uses_vcc)
	.set _ZL9mul_mat_fI15__hip_bfloat162Li32ELi13ELi3ELb0EEvPKT_PKfPKiPfiiiiiiiiiiiiiiii.uses_flat_scratch, or(0, .L_ZL14no_device_codePKciS0_iS0_.uses_flat_scratch)
	.set _ZL9mul_mat_fI15__hip_bfloat162Li32ELi13ELi3ELb0EEvPKT_PKfPKiPfiiiiiiiiiiiiiiii.has_dyn_sized_stack, or(0, .L_ZL14no_device_codePKciS0_iS0_.has_dyn_sized_stack)
	.set _ZL9mul_mat_fI15__hip_bfloat162Li32ELi13ELi3ELb0EEvPKT_PKfPKiPfiiiiiiiiiiiiiiii.has_recursion, or(0, .L_ZL14no_device_codePKciS0_iS0_.has_recursion)
	.set _ZL9mul_mat_fI15__hip_bfloat162Li32ELi13ELi3ELb0EEvPKT_PKfPKiPfiiiiiiiiiiiiiiii.has_indirect_call, or(0, .L_ZL14no_device_codePKciS0_iS0_.has_indirect_call)
	.section	.AMDGPU.csdata,"",@progbits
; Kernel info:
; codeLenInByte = 72
; TotalNumSgprs: 40
; NumVgprs: 38
; NumAgprs: 0
; TotalNumVgprs: 38
; ScratchSize: 16
; MemoryBound: 0
; FloatMode: 240
; IeeeMode: 1
; LDSByteSize: 0 bytes/workgroup (compile time only)
; SGPRBlocks: 4
; VGPRBlocks: 4
; NumSGPRsForWavesPerEU: 40
; NumVGPRsForWavesPerEU: 38
; AccumOffset: 40
; Occupancy: 8
; WaveLimiterHint : 1
; COMPUTE_PGM_RSRC2:SCRATCH_EN: 1
; COMPUTE_PGM_RSRC2:USER_SGPR: 2
; COMPUTE_PGM_RSRC2:TRAP_HANDLER: 0
; COMPUTE_PGM_RSRC2:TGID_X_EN: 1
; COMPUTE_PGM_RSRC2:TGID_Y_EN: 0
; COMPUTE_PGM_RSRC2:TGID_Z_EN: 0
; COMPUTE_PGM_RSRC2:TIDIG_COMP_CNT: 0
; COMPUTE_PGM_RSRC3_GFX90A:ACCUM_OFFSET: 9
; COMPUTE_PGM_RSRC3_GFX90A:TG_SPLIT: 0
	.section	.text._ZL13mul_mat_f_idsI15__hip_bfloat162Li32ELi13ELi4EEvPKT_PKfPKiS7_S7_Pfiiiiiiiiiiiiii15HIP_vector_typeIjLj3EESA_,"axG",@progbits,_ZL13mul_mat_f_idsI15__hip_bfloat162Li32ELi13ELi4EEvPKT_PKfPKiS7_S7_Pfiiiiiiiiiiiiii15HIP_vector_typeIjLj3EESA_,comdat
	.globl	_ZL13mul_mat_f_idsI15__hip_bfloat162Li32ELi13ELi4EEvPKT_PKfPKiS7_S7_Pfiiiiiiiiiiiiii15HIP_vector_typeIjLj3EESA_ ; -- Begin function _ZL13mul_mat_f_idsI15__hip_bfloat162Li32ELi13ELi4EEvPKT_PKfPKiS7_S7_Pfiiiiiiiiiiiiii15HIP_vector_typeIjLj3EESA_
	.p2align	8
	.type	_ZL13mul_mat_f_idsI15__hip_bfloat162Li32ELi13ELi4EEvPKT_PKfPKiS7_S7_Pfiiiiiiiiiiiiii15HIP_vector_typeIjLj3EESA_,@function
_ZL13mul_mat_f_idsI15__hip_bfloat162Li32ELi13ELi4EEvPKT_PKfPKiS7_S7_Pfiiiiiiiiiiiiii15HIP_vector_typeIjLj3EESA_: ; @_ZL13mul_mat_f_idsI15__hip_bfloat162Li32ELi13ELi4EEvPKT_PKfPKiS7_S7_Pfiiiiiiiiiiiiii15HIP_vector_typeIjLj3EESA_
; %bb.0:
	s_add_u32 s8, s0, 0x80
	s_addc_u32 s9, s1, 0
	s_getpc_b64 s[0:1]
	s_add_u32 s0, s0, __FUNCTION__._ZL13mul_mat_f_idsIfLi32ELi13ELi1EEvPKT_PKfPKiS6_S6_Pfiiiiiiiiiiiiii15HIP_vector_typeIjLj3EES9_@rel32@lo+4
	s_addc_u32 s1, s1, __FUNCTION__._ZL13mul_mat_f_idsIfLi32ELi13ELi1EEvPKT_PKfPKiS6_S6_Pfiiiiiiiiiiiiii15HIP_vector_typeIjLj3EES9_@rel32@hi+12
	s_getpc_b64 s[2:3]
	s_add_u32 s2, s2, _ZL14no_device_codePKciS0_iS0_@rel32@lo+4
	s_addc_u32 s3, s3, _ZL14no_device_codePKciS0_iS0_@rel32@hi+12
	v_mov_b32_e32 v0, 0x13b
	v_mov_b32_e32 v1, s0
	;; [unrolled: 1-line block ×3, first 2 shown]
	s_mov_b32 s32, 0
	s_swappc_b64 s[30:31], s[2:3]
	.section	.rodata,"a",@progbits
	.p2align	6, 0x0
	.amdhsa_kernel _ZL13mul_mat_f_idsI15__hip_bfloat162Li32ELi13ELi4EEvPKT_PKfPKiS7_S7_Pfiiiiiiiiiiiiii15HIP_vector_typeIjLj3EESA_
		.amdhsa_group_segment_fixed_size 0
		.amdhsa_private_segment_fixed_size 16
		.amdhsa_kernarg_size 384
		.amdhsa_user_sgpr_count 2
		.amdhsa_user_sgpr_dispatch_ptr 0
		.amdhsa_user_sgpr_queue_ptr 0
		.amdhsa_user_sgpr_kernarg_segment_ptr 1
		.amdhsa_user_sgpr_dispatch_id 0
		.amdhsa_user_sgpr_kernarg_preload_length 0
		.amdhsa_user_sgpr_kernarg_preload_offset 0
		.amdhsa_user_sgpr_private_segment_size 0
		.amdhsa_uses_dynamic_stack 0
		.amdhsa_enable_private_segment 1
		.amdhsa_system_sgpr_workgroup_id_x 1
		.amdhsa_system_sgpr_workgroup_id_y 0
		.amdhsa_system_sgpr_workgroup_id_z 0
		.amdhsa_system_sgpr_workgroup_info 0
		.amdhsa_system_vgpr_workitem_id 0
		.amdhsa_next_free_vgpr 38
		.amdhsa_next_free_sgpr 34
		.amdhsa_accum_offset 40
		.amdhsa_reserve_vcc 1
		.amdhsa_float_round_mode_32 0
		.amdhsa_float_round_mode_16_64 0
		.amdhsa_float_denorm_mode_32 3
		.amdhsa_float_denorm_mode_16_64 3
		.amdhsa_dx10_clamp 1
		.amdhsa_ieee_mode 1
		.amdhsa_fp16_overflow 0
		.amdhsa_tg_split 0
		.amdhsa_exception_fp_ieee_invalid_op 0
		.amdhsa_exception_fp_denorm_src 0
		.amdhsa_exception_fp_ieee_div_zero 0
		.amdhsa_exception_fp_ieee_overflow 0
		.amdhsa_exception_fp_ieee_underflow 0
		.amdhsa_exception_fp_ieee_inexact 0
		.amdhsa_exception_int_div_zero 0
	.end_amdhsa_kernel
	.section	.text._ZL13mul_mat_f_idsI15__hip_bfloat162Li32ELi13ELi4EEvPKT_PKfPKiS7_S7_Pfiiiiiiiiiiiiii15HIP_vector_typeIjLj3EESA_,"axG",@progbits,_ZL13mul_mat_f_idsI15__hip_bfloat162Li32ELi13ELi4EEvPKT_PKfPKiS7_S7_Pfiiiiiiiiiiiiii15HIP_vector_typeIjLj3EESA_,comdat
.Lfunc_end60:
	.size	_ZL13mul_mat_f_idsI15__hip_bfloat162Li32ELi13ELi4EEvPKT_PKfPKiS7_S7_Pfiiiiiiiiiiiiii15HIP_vector_typeIjLj3EESA_, .Lfunc_end60-_ZL13mul_mat_f_idsI15__hip_bfloat162Li32ELi13ELi4EEvPKT_PKfPKiS7_S7_Pfiiiiiiiiiiiiii15HIP_vector_typeIjLj3EESA_
                                        ; -- End function
	.set _ZL13mul_mat_f_idsI15__hip_bfloat162Li32ELi13ELi4EEvPKT_PKfPKiS7_S7_Pfiiiiiiiiiiiiii15HIP_vector_typeIjLj3EESA_.num_vgpr, max(3, .L_ZL14no_device_codePKciS0_iS0_.num_vgpr)
	.set _ZL13mul_mat_f_idsI15__hip_bfloat162Li32ELi13ELi4EEvPKT_PKfPKiS7_S7_Pfiiiiiiiiiiiiii15HIP_vector_typeIjLj3EESA_.num_agpr, max(0, .L_ZL14no_device_codePKciS0_iS0_.num_agpr)
	.set _ZL13mul_mat_f_idsI15__hip_bfloat162Li32ELi13ELi4EEvPKT_PKfPKiS7_S7_Pfiiiiiiiiiiiiii15HIP_vector_typeIjLj3EESA_.numbered_sgpr, max(33, .L_ZL14no_device_codePKciS0_iS0_.numbered_sgpr)
	.set _ZL13mul_mat_f_idsI15__hip_bfloat162Li32ELi13ELi4EEvPKT_PKfPKiS7_S7_Pfiiiiiiiiiiiiii15HIP_vector_typeIjLj3EESA_.num_named_barrier, max(0, .L_ZL14no_device_codePKciS0_iS0_.num_named_barrier)
	.set _ZL13mul_mat_f_idsI15__hip_bfloat162Li32ELi13ELi4EEvPKT_PKfPKiS7_S7_Pfiiiiiiiiiiiiii15HIP_vector_typeIjLj3EESA_.private_seg_size, 0+max(.L_ZL14no_device_codePKciS0_iS0_.private_seg_size)
	.set _ZL13mul_mat_f_idsI15__hip_bfloat162Li32ELi13ELi4EEvPKT_PKfPKiS7_S7_Pfiiiiiiiiiiiiii15HIP_vector_typeIjLj3EESA_.uses_vcc, or(1, .L_ZL14no_device_codePKciS0_iS0_.uses_vcc)
	.set _ZL13mul_mat_f_idsI15__hip_bfloat162Li32ELi13ELi4EEvPKT_PKfPKiS7_S7_Pfiiiiiiiiiiiiii15HIP_vector_typeIjLj3EESA_.uses_flat_scratch, or(0, .L_ZL14no_device_codePKciS0_iS0_.uses_flat_scratch)
	.set _ZL13mul_mat_f_idsI15__hip_bfloat162Li32ELi13ELi4EEvPKT_PKfPKiS7_S7_Pfiiiiiiiiiiiiii15HIP_vector_typeIjLj3EESA_.has_dyn_sized_stack, or(0, .L_ZL14no_device_codePKciS0_iS0_.has_dyn_sized_stack)
	.set _ZL13mul_mat_f_idsI15__hip_bfloat162Li32ELi13ELi4EEvPKT_PKfPKiS7_S7_Pfiiiiiiiiiiiiii15HIP_vector_typeIjLj3EESA_.has_recursion, or(0, .L_ZL14no_device_codePKciS0_iS0_.has_recursion)
	.set _ZL13mul_mat_f_idsI15__hip_bfloat162Li32ELi13ELi4EEvPKT_PKfPKiS7_S7_Pfiiiiiiiiiiiiii15HIP_vector_typeIjLj3EESA_.has_indirect_call, or(0, .L_ZL14no_device_codePKciS0_iS0_.has_indirect_call)
	.section	.AMDGPU.csdata,"",@progbits
; Kernel info:
; codeLenInByte = 76
; TotalNumSgprs: 40
; NumVgprs: 38
; NumAgprs: 0
; TotalNumVgprs: 38
; ScratchSize: 16
; MemoryBound: 0
; FloatMode: 240
; IeeeMode: 1
; LDSByteSize: 0 bytes/workgroup (compile time only)
; SGPRBlocks: 4
; VGPRBlocks: 4
; NumSGPRsForWavesPerEU: 40
; NumVGPRsForWavesPerEU: 38
; AccumOffset: 40
; Occupancy: 8
; WaveLimiterHint : 1
; COMPUTE_PGM_RSRC2:SCRATCH_EN: 1
; COMPUTE_PGM_RSRC2:USER_SGPR: 2
; COMPUTE_PGM_RSRC2:TRAP_HANDLER: 0
; COMPUTE_PGM_RSRC2:TGID_X_EN: 1
; COMPUTE_PGM_RSRC2:TGID_Y_EN: 0
; COMPUTE_PGM_RSRC2:TGID_Z_EN: 0
; COMPUTE_PGM_RSRC2:TIDIG_COMP_CNT: 0
; COMPUTE_PGM_RSRC3_GFX90A:ACCUM_OFFSET: 9
; COMPUTE_PGM_RSRC3_GFX90A:TG_SPLIT: 0
	.section	.text._ZL9mul_mat_fI15__hip_bfloat162Li32ELi13ELi4ELb1EEvPKT_PKfPKiPfiiiiiiiiiiiiiiii,"axG",@progbits,_ZL9mul_mat_fI15__hip_bfloat162Li32ELi13ELi4ELb1EEvPKT_PKfPKiPfiiiiiiiiiiiiiiii,comdat
	.globl	_ZL9mul_mat_fI15__hip_bfloat162Li32ELi13ELi4ELb1EEvPKT_PKfPKiPfiiiiiiiiiiiiiiii ; -- Begin function _ZL9mul_mat_fI15__hip_bfloat162Li32ELi13ELi4ELb1EEvPKT_PKfPKiPfiiiiiiiiiiiiiiii
	.p2align	8
	.type	_ZL9mul_mat_fI15__hip_bfloat162Li32ELi13ELi4ELb1EEvPKT_PKfPKiPfiiiiiiiiiiiiiiii,@function
_ZL9mul_mat_fI15__hip_bfloat162Li32ELi13ELi4ELb1EEvPKT_PKfPKiPfiiiiiiiiiiiiiiii: ; @_ZL9mul_mat_fI15__hip_bfloat162Li32ELi13ELi4ELb1EEvPKT_PKfPKiPfiiiiiiiiiiiiiiii
; %bb.0:
	s_add_u32 s8, s0, 0x60
	s_addc_u32 s9, s1, 0
	s_getpc_b64 s[0:1]
	s_add_u32 s0, s0, __FUNCTION__._ZL9mul_mat_fIfLi32ELi13ELi1ELb1EEvPKT_PKfPKiPfiiiiiiiiiiiiiiii@rel32@lo+4
	s_addc_u32 s1, s1, __FUNCTION__._ZL9mul_mat_fIfLi32ELi13ELi1ELb1EEvPKT_PKfPKiPfiiiiiiiiiiiiiiii@rel32@hi+12
	s_getpc_b64 s[2:3]
	s_add_u32 s2, s2, _ZL14no_device_codePKciS0_iS0_@rel32@lo+4
	s_addc_u32 s3, s3, _ZL14no_device_codePKciS0_iS0_@rel32@hi+12
	v_mov_b32_e32 v0, 64
	v_mov_b32_e32 v1, s0
	;; [unrolled: 1-line block ×3, first 2 shown]
	s_mov_b32 s32, 0
	s_swappc_b64 s[30:31], s[2:3]
	.section	.rodata,"a",@progbits
	.p2align	6, 0x0
	.amdhsa_kernel _ZL9mul_mat_fI15__hip_bfloat162Li32ELi13ELi4ELb1EEvPKT_PKfPKiPfiiiiiiiiiiiiiiii
		.amdhsa_group_segment_fixed_size 0
		.amdhsa_private_segment_fixed_size 16
		.amdhsa_kernarg_size 352
		.amdhsa_user_sgpr_count 2
		.amdhsa_user_sgpr_dispatch_ptr 0
		.amdhsa_user_sgpr_queue_ptr 0
		.amdhsa_user_sgpr_kernarg_segment_ptr 1
		.amdhsa_user_sgpr_dispatch_id 0
		.amdhsa_user_sgpr_kernarg_preload_length 0
		.amdhsa_user_sgpr_kernarg_preload_offset 0
		.amdhsa_user_sgpr_private_segment_size 0
		.amdhsa_uses_dynamic_stack 0
		.amdhsa_enable_private_segment 1
		.amdhsa_system_sgpr_workgroup_id_x 1
		.amdhsa_system_sgpr_workgroup_id_y 0
		.amdhsa_system_sgpr_workgroup_id_z 0
		.amdhsa_system_sgpr_workgroup_info 0
		.amdhsa_system_vgpr_workitem_id 0
		.amdhsa_next_free_vgpr 38
		.amdhsa_next_free_sgpr 34
		.amdhsa_accum_offset 40
		.amdhsa_reserve_vcc 1
		.amdhsa_float_round_mode_32 0
		.amdhsa_float_round_mode_16_64 0
		.amdhsa_float_denorm_mode_32 3
		.amdhsa_float_denorm_mode_16_64 3
		.amdhsa_dx10_clamp 1
		.amdhsa_ieee_mode 1
		.amdhsa_fp16_overflow 0
		.amdhsa_tg_split 0
		.amdhsa_exception_fp_ieee_invalid_op 0
		.amdhsa_exception_fp_denorm_src 0
		.amdhsa_exception_fp_ieee_div_zero 0
		.amdhsa_exception_fp_ieee_overflow 0
		.amdhsa_exception_fp_ieee_underflow 0
		.amdhsa_exception_fp_ieee_inexact 0
		.amdhsa_exception_int_div_zero 0
	.end_amdhsa_kernel
	.section	.text._ZL9mul_mat_fI15__hip_bfloat162Li32ELi13ELi4ELb1EEvPKT_PKfPKiPfiiiiiiiiiiiiiiii,"axG",@progbits,_ZL9mul_mat_fI15__hip_bfloat162Li32ELi13ELi4ELb1EEvPKT_PKfPKiPfiiiiiiiiiiiiiiii,comdat
.Lfunc_end61:
	.size	_ZL9mul_mat_fI15__hip_bfloat162Li32ELi13ELi4ELb1EEvPKT_PKfPKiPfiiiiiiiiiiiiiiii, .Lfunc_end61-_ZL9mul_mat_fI15__hip_bfloat162Li32ELi13ELi4ELb1EEvPKT_PKfPKiPfiiiiiiiiiiiiiiii
                                        ; -- End function
	.set _ZL9mul_mat_fI15__hip_bfloat162Li32ELi13ELi4ELb1EEvPKT_PKfPKiPfiiiiiiiiiiiiiiii.num_vgpr, max(3, .L_ZL14no_device_codePKciS0_iS0_.num_vgpr)
	.set _ZL9mul_mat_fI15__hip_bfloat162Li32ELi13ELi4ELb1EEvPKT_PKfPKiPfiiiiiiiiiiiiiiii.num_agpr, max(0, .L_ZL14no_device_codePKciS0_iS0_.num_agpr)
	.set _ZL9mul_mat_fI15__hip_bfloat162Li32ELi13ELi4ELb1EEvPKT_PKfPKiPfiiiiiiiiiiiiiiii.numbered_sgpr, max(33, .L_ZL14no_device_codePKciS0_iS0_.numbered_sgpr)
	.set _ZL9mul_mat_fI15__hip_bfloat162Li32ELi13ELi4ELb1EEvPKT_PKfPKiPfiiiiiiiiiiiiiiii.num_named_barrier, max(0, .L_ZL14no_device_codePKciS0_iS0_.num_named_barrier)
	.set _ZL9mul_mat_fI15__hip_bfloat162Li32ELi13ELi4ELb1EEvPKT_PKfPKiPfiiiiiiiiiiiiiiii.private_seg_size, 0+max(.L_ZL14no_device_codePKciS0_iS0_.private_seg_size)
	.set _ZL9mul_mat_fI15__hip_bfloat162Li32ELi13ELi4ELb1EEvPKT_PKfPKiPfiiiiiiiiiiiiiiii.uses_vcc, or(1, .L_ZL14no_device_codePKciS0_iS0_.uses_vcc)
	.set _ZL9mul_mat_fI15__hip_bfloat162Li32ELi13ELi4ELb1EEvPKT_PKfPKiPfiiiiiiiiiiiiiiii.uses_flat_scratch, or(0, .L_ZL14no_device_codePKciS0_iS0_.uses_flat_scratch)
	.set _ZL9mul_mat_fI15__hip_bfloat162Li32ELi13ELi4ELb1EEvPKT_PKfPKiPfiiiiiiiiiiiiiiii.has_dyn_sized_stack, or(0, .L_ZL14no_device_codePKciS0_iS0_.has_dyn_sized_stack)
	.set _ZL9mul_mat_fI15__hip_bfloat162Li32ELi13ELi4ELb1EEvPKT_PKfPKiPfiiiiiiiiiiiiiiii.has_recursion, or(0, .L_ZL14no_device_codePKciS0_iS0_.has_recursion)
	.set _ZL9mul_mat_fI15__hip_bfloat162Li32ELi13ELi4ELb1EEvPKT_PKfPKiPfiiiiiiiiiiiiiiii.has_indirect_call, or(0, .L_ZL14no_device_codePKciS0_iS0_.has_indirect_call)
	.section	.AMDGPU.csdata,"",@progbits
; Kernel info:
; codeLenInByte = 72
; TotalNumSgprs: 40
; NumVgprs: 38
; NumAgprs: 0
; TotalNumVgprs: 38
; ScratchSize: 16
; MemoryBound: 0
; FloatMode: 240
; IeeeMode: 1
; LDSByteSize: 0 bytes/workgroup (compile time only)
; SGPRBlocks: 4
; VGPRBlocks: 4
; NumSGPRsForWavesPerEU: 40
; NumVGPRsForWavesPerEU: 38
; AccumOffset: 40
; Occupancy: 8
; WaveLimiterHint : 1
; COMPUTE_PGM_RSRC2:SCRATCH_EN: 1
; COMPUTE_PGM_RSRC2:USER_SGPR: 2
; COMPUTE_PGM_RSRC2:TRAP_HANDLER: 0
; COMPUTE_PGM_RSRC2:TGID_X_EN: 1
; COMPUTE_PGM_RSRC2:TGID_Y_EN: 0
; COMPUTE_PGM_RSRC2:TGID_Z_EN: 0
; COMPUTE_PGM_RSRC2:TIDIG_COMP_CNT: 0
; COMPUTE_PGM_RSRC3_GFX90A:ACCUM_OFFSET: 9
; COMPUTE_PGM_RSRC3_GFX90A:TG_SPLIT: 0
	.section	.text._ZL9mul_mat_fI15__hip_bfloat162Li32ELi13ELi4ELb0EEvPKT_PKfPKiPfiiiiiiiiiiiiiiii,"axG",@progbits,_ZL9mul_mat_fI15__hip_bfloat162Li32ELi13ELi4ELb0EEvPKT_PKfPKiPfiiiiiiiiiiiiiiii,comdat
	.globl	_ZL9mul_mat_fI15__hip_bfloat162Li32ELi13ELi4ELb0EEvPKT_PKfPKiPfiiiiiiiiiiiiiiii ; -- Begin function _ZL9mul_mat_fI15__hip_bfloat162Li32ELi13ELi4ELb0EEvPKT_PKfPKiPfiiiiiiiiiiiiiiii
	.p2align	8
	.type	_ZL9mul_mat_fI15__hip_bfloat162Li32ELi13ELi4ELb0EEvPKT_PKfPKiPfiiiiiiiiiiiiiiii,@function
_ZL9mul_mat_fI15__hip_bfloat162Li32ELi13ELi4ELb0EEvPKT_PKfPKiPfiiiiiiiiiiiiiiii: ; @_ZL9mul_mat_fI15__hip_bfloat162Li32ELi13ELi4ELb0EEvPKT_PKfPKiPfiiiiiiiiiiiiiiii
; %bb.0:
	s_add_u32 s8, s0, 0x60
	s_addc_u32 s9, s1, 0
	s_getpc_b64 s[0:1]
	s_add_u32 s0, s0, __FUNCTION__._ZL9mul_mat_fIfLi32ELi13ELi1ELb1EEvPKT_PKfPKiPfiiiiiiiiiiiiiiii@rel32@lo+4
	s_addc_u32 s1, s1, __FUNCTION__._ZL9mul_mat_fIfLi32ELi13ELi1ELb1EEvPKT_PKfPKiPfiiiiiiiiiiiiiiii@rel32@hi+12
	s_getpc_b64 s[2:3]
	s_add_u32 s2, s2, _ZL14no_device_codePKciS0_iS0_@rel32@lo+4
	s_addc_u32 s3, s3, _ZL14no_device_codePKciS0_iS0_@rel32@hi+12
	v_mov_b32_e32 v0, 64
	v_mov_b32_e32 v1, s0
	;; [unrolled: 1-line block ×3, first 2 shown]
	s_mov_b32 s32, 0
	s_swappc_b64 s[30:31], s[2:3]
	.section	.rodata,"a",@progbits
	.p2align	6, 0x0
	.amdhsa_kernel _ZL9mul_mat_fI15__hip_bfloat162Li32ELi13ELi4ELb0EEvPKT_PKfPKiPfiiiiiiiiiiiiiiii
		.amdhsa_group_segment_fixed_size 0
		.amdhsa_private_segment_fixed_size 16
		.amdhsa_kernarg_size 352
		.amdhsa_user_sgpr_count 2
		.amdhsa_user_sgpr_dispatch_ptr 0
		.amdhsa_user_sgpr_queue_ptr 0
		.amdhsa_user_sgpr_kernarg_segment_ptr 1
		.amdhsa_user_sgpr_dispatch_id 0
		.amdhsa_user_sgpr_kernarg_preload_length 0
		.amdhsa_user_sgpr_kernarg_preload_offset 0
		.amdhsa_user_sgpr_private_segment_size 0
		.amdhsa_uses_dynamic_stack 0
		.amdhsa_enable_private_segment 1
		.amdhsa_system_sgpr_workgroup_id_x 1
		.amdhsa_system_sgpr_workgroup_id_y 0
		.amdhsa_system_sgpr_workgroup_id_z 0
		.amdhsa_system_sgpr_workgroup_info 0
		.amdhsa_system_vgpr_workitem_id 0
		.amdhsa_next_free_vgpr 38
		.amdhsa_next_free_sgpr 34
		.amdhsa_accum_offset 40
		.amdhsa_reserve_vcc 1
		.amdhsa_float_round_mode_32 0
		.amdhsa_float_round_mode_16_64 0
		.amdhsa_float_denorm_mode_32 3
		.amdhsa_float_denorm_mode_16_64 3
		.amdhsa_dx10_clamp 1
		.amdhsa_ieee_mode 1
		.amdhsa_fp16_overflow 0
		.amdhsa_tg_split 0
		.amdhsa_exception_fp_ieee_invalid_op 0
		.amdhsa_exception_fp_denorm_src 0
		.amdhsa_exception_fp_ieee_div_zero 0
		.amdhsa_exception_fp_ieee_overflow 0
		.amdhsa_exception_fp_ieee_underflow 0
		.amdhsa_exception_fp_ieee_inexact 0
		.amdhsa_exception_int_div_zero 0
	.end_amdhsa_kernel
	.section	.text._ZL9mul_mat_fI15__hip_bfloat162Li32ELi13ELi4ELb0EEvPKT_PKfPKiPfiiiiiiiiiiiiiiii,"axG",@progbits,_ZL9mul_mat_fI15__hip_bfloat162Li32ELi13ELi4ELb0EEvPKT_PKfPKiPfiiiiiiiiiiiiiiii,comdat
.Lfunc_end62:
	.size	_ZL9mul_mat_fI15__hip_bfloat162Li32ELi13ELi4ELb0EEvPKT_PKfPKiPfiiiiiiiiiiiiiiii, .Lfunc_end62-_ZL9mul_mat_fI15__hip_bfloat162Li32ELi13ELi4ELb0EEvPKT_PKfPKiPfiiiiiiiiiiiiiiii
                                        ; -- End function
	.set _ZL9mul_mat_fI15__hip_bfloat162Li32ELi13ELi4ELb0EEvPKT_PKfPKiPfiiiiiiiiiiiiiiii.num_vgpr, max(3, .L_ZL14no_device_codePKciS0_iS0_.num_vgpr)
	.set _ZL9mul_mat_fI15__hip_bfloat162Li32ELi13ELi4ELb0EEvPKT_PKfPKiPfiiiiiiiiiiiiiiii.num_agpr, max(0, .L_ZL14no_device_codePKciS0_iS0_.num_agpr)
	.set _ZL9mul_mat_fI15__hip_bfloat162Li32ELi13ELi4ELb0EEvPKT_PKfPKiPfiiiiiiiiiiiiiiii.numbered_sgpr, max(33, .L_ZL14no_device_codePKciS0_iS0_.numbered_sgpr)
	.set _ZL9mul_mat_fI15__hip_bfloat162Li32ELi13ELi4ELb0EEvPKT_PKfPKiPfiiiiiiiiiiiiiiii.num_named_barrier, max(0, .L_ZL14no_device_codePKciS0_iS0_.num_named_barrier)
	.set _ZL9mul_mat_fI15__hip_bfloat162Li32ELi13ELi4ELb0EEvPKT_PKfPKiPfiiiiiiiiiiiiiiii.private_seg_size, 0+max(.L_ZL14no_device_codePKciS0_iS0_.private_seg_size)
	.set _ZL9mul_mat_fI15__hip_bfloat162Li32ELi13ELi4ELb0EEvPKT_PKfPKiPfiiiiiiiiiiiiiiii.uses_vcc, or(1, .L_ZL14no_device_codePKciS0_iS0_.uses_vcc)
	.set _ZL9mul_mat_fI15__hip_bfloat162Li32ELi13ELi4ELb0EEvPKT_PKfPKiPfiiiiiiiiiiiiiiii.uses_flat_scratch, or(0, .L_ZL14no_device_codePKciS0_iS0_.uses_flat_scratch)
	.set _ZL9mul_mat_fI15__hip_bfloat162Li32ELi13ELi4ELb0EEvPKT_PKfPKiPfiiiiiiiiiiiiiiii.has_dyn_sized_stack, or(0, .L_ZL14no_device_codePKciS0_iS0_.has_dyn_sized_stack)
	.set _ZL9mul_mat_fI15__hip_bfloat162Li32ELi13ELi4ELb0EEvPKT_PKfPKiPfiiiiiiiiiiiiiiii.has_recursion, or(0, .L_ZL14no_device_codePKciS0_iS0_.has_recursion)
	.set _ZL9mul_mat_fI15__hip_bfloat162Li32ELi13ELi4ELb0EEvPKT_PKfPKiPfiiiiiiiiiiiiiiii.has_indirect_call, or(0, .L_ZL14no_device_codePKciS0_iS0_.has_indirect_call)
	.section	.AMDGPU.csdata,"",@progbits
; Kernel info:
; codeLenInByte = 72
; TotalNumSgprs: 40
; NumVgprs: 38
; NumAgprs: 0
; TotalNumVgprs: 38
; ScratchSize: 16
; MemoryBound: 0
; FloatMode: 240
; IeeeMode: 1
; LDSByteSize: 0 bytes/workgroup (compile time only)
; SGPRBlocks: 4
; VGPRBlocks: 4
; NumSGPRsForWavesPerEU: 40
; NumVGPRsForWavesPerEU: 38
; AccumOffset: 40
; Occupancy: 8
; WaveLimiterHint : 1
; COMPUTE_PGM_RSRC2:SCRATCH_EN: 1
; COMPUTE_PGM_RSRC2:USER_SGPR: 2
; COMPUTE_PGM_RSRC2:TRAP_HANDLER: 0
; COMPUTE_PGM_RSRC2:TGID_X_EN: 1
; COMPUTE_PGM_RSRC2:TGID_Y_EN: 0
; COMPUTE_PGM_RSRC2:TGID_Z_EN: 0
; COMPUTE_PGM_RSRC2:TIDIG_COMP_CNT: 0
; COMPUTE_PGM_RSRC3_GFX90A:ACCUM_OFFSET: 9
; COMPUTE_PGM_RSRC3_GFX90A:TG_SPLIT: 0
	.section	.text._ZL13mul_mat_f_idsI15__hip_bfloat162Li32ELi13ELi5EEvPKT_PKfPKiS7_S7_Pfiiiiiiiiiiiiii15HIP_vector_typeIjLj3EESA_,"axG",@progbits,_ZL13mul_mat_f_idsI15__hip_bfloat162Li32ELi13ELi5EEvPKT_PKfPKiS7_S7_Pfiiiiiiiiiiiiii15HIP_vector_typeIjLj3EESA_,comdat
	.globl	_ZL13mul_mat_f_idsI15__hip_bfloat162Li32ELi13ELi5EEvPKT_PKfPKiS7_S7_Pfiiiiiiiiiiiiii15HIP_vector_typeIjLj3EESA_ ; -- Begin function _ZL13mul_mat_f_idsI15__hip_bfloat162Li32ELi13ELi5EEvPKT_PKfPKiS7_S7_Pfiiiiiiiiiiiiii15HIP_vector_typeIjLj3EESA_
	.p2align	8
	.type	_ZL13mul_mat_f_idsI15__hip_bfloat162Li32ELi13ELi5EEvPKT_PKfPKiS7_S7_Pfiiiiiiiiiiiiii15HIP_vector_typeIjLj3EESA_,@function
_ZL13mul_mat_f_idsI15__hip_bfloat162Li32ELi13ELi5EEvPKT_PKfPKiS7_S7_Pfiiiiiiiiiiiiii15HIP_vector_typeIjLj3EESA_: ; @_ZL13mul_mat_f_idsI15__hip_bfloat162Li32ELi13ELi5EEvPKT_PKfPKiS7_S7_Pfiiiiiiiiiiiiii15HIP_vector_typeIjLj3EESA_
; %bb.0:
	s_add_u32 s8, s0, 0x80
	s_addc_u32 s9, s1, 0
	s_getpc_b64 s[0:1]
	s_add_u32 s0, s0, __FUNCTION__._ZL13mul_mat_f_idsIfLi32ELi13ELi1EEvPKT_PKfPKiS6_S6_Pfiiiiiiiiiiiiii15HIP_vector_typeIjLj3EES9_@rel32@lo+4
	s_addc_u32 s1, s1, __FUNCTION__._ZL13mul_mat_f_idsIfLi32ELi13ELi1EEvPKT_PKfPKiS6_S6_Pfiiiiiiiiiiiiii15HIP_vector_typeIjLj3EES9_@rel32@hi+12
	s_getpc_b64 s[2:3]
	s_add_u32 s2, s2, _ZL14no_device_codePKciS0_iS0_@rel32@lo+4
	s_addc_u32 s3, s3, _ZL14no_device_codePKciS0_iS0_@rel32@hi+12
	v_mov_b32_e32 v0, 0x13b
	v_mov_b32_e32 v1, s0
	;; [unrolled: 1-line block ×3, first 2 shown]
	s_mov_b32 s32, 0
	s_swappc_b64 s[30:31], s[2:3]
	.section	.rodata,"a",@progbits
	.p2align	6, 0x0
	.amdhsa_kernel _ZL13mul_mat_f_idsI15__hip_bfloat162Li32ELi13ELi5EEvPKT_PKfPKiS7_S7_Pfiiiiiiiiiiiiii15HIP_vector_typeIjLj3EESA_
		.amdhsa_group_segment_fixed_size 0
		.amdhsa_private_segment_fixed_size 16
		.amdhsa_kernarg_size 384
		.amdhsa_user_sgpr_count 2
		.amdhsa_user_sgpr_dispatch_ptr 0
		.amdhsa_user_sgpr_queue_ptr 0
		.amdhsa_user_sgpr_kernarg_segment_ptr 1
		.amdhsa_user_sgpr_dispatch_id 0
		.amdhsa_user_sgpr_kernarg_preload_length 0
		.amdhsa_user_sgpr_kernarg_preload_offset 0
		.amdhsa_user_sgpr_private_segment_size 0
		.amdhsa_uses_dynamic_stack 0
		.amdhsa_enable_private_segment 1
		.amdhsa_system_sgpr_workgroup_id_x 1
		.amdhsa_system_sgpr_workgroup_id_y 0
		.amdhsa_system_sgpr_workgroup_id_z 0
		.amdhsa_system_sgpr_workgroup_info 0
		.amdhsa_system_vgpr_workitem_id 0
		.amdhsa_next_free_vgpr 38
		.amdhsa_next_free_sgpr 34
		.amdhsa_accum_offset 40
		.amdhsa_reserve_vcc 1
		.amdhsa_float_round_mode_32 0
		.amdhsa_float_round_mode_16_64 0
		.amdhsa_float_denorm_mode_32 3
		.amdhsa_float_denorm_mode_16_64 3
		.amdhsa_dx10_clamp 1
		.amdhsa_ieee_mode 1
		.amdhsa_fp16_overflow 0
		.amdhsa_tg_split 0
		.amdhsa_exception_fp_ieee_invalid_op 0
		.amdhsa_exception_fp_denorm_src 0
		.amdhsa_exception_fp_ieee_div_zero 0
		.amdhsa_exception_fp_ieee_overflow 0
		.amdhsa_exception_fp_ieee_underflow 0
		.amdhsa_exception_fp_ieee_inexact 0
		.amdhsa_exception_int_div_zero 0
	.end_amdhsa_kernel
	.section	.text._ZL13mul_mat_f_idsI15__hip_bfloat162Li32ELi13ELi5EEvPKT_PKfPKiS7_S7_Pfiiiiiiiiiiiiii15HIP_vector_typeIjLj3EESA_,"axG",@progbits,_ZL13mul_mat_f_idsI15__hip_bfloat162Li32ELi13ELi5EEvPKT_PKfPKiS7_S7_Pfiiiiiiiiiiiiii15HIP_vector_typeIjLj3EESA_,comdat
.Lfunc_end63:
	.size	_ZL13mul_mat_f_idsI15__hip_bfloat162Li32ELi13ELi5EEvPKT_PKfPKiS7_S7_Pfiiiiiiiiiiiiii15HIP_vector_typeIjLj3EESA_, .Lfunc_end63-_ZL13mul_mat_f_idsI15__hip_bfloat162Li32ELi13ELi5EEvPKT_PKfPKiS7_S7_Pfiiiiiiiiiiiiii15HIP_vector_typeIjLj3EESA_
                                        ; -- End function
	.set _ZL13mul_mat_f_idsI15__hip_bfloat162Li32ELi13ELi5EEvPKT_PKfPKiS7_S7_Pfiiiiiiiiiiiiii15HIP_vector_typeIjLj3EESA_.num_vgpr, max(3, .L_ZL14no_device_codePKciS0_iS0_.num_vgpr)
	.set _ZL13mul_mat_f_idsI15__hip_bfloat162Li32ELi13ELi5EEvPKT_PKfPKiS7_S7_Pfiiiiiiiiiiiiii15HIP_vector_typeIjLj3EESA_.num_agpr, max(0, .L_ZL14no_device_codePKciS0_iS0_.num_agpr)
	.set _ZL13mul_mat_f_idsI15__hip_bfloat162Li32ELi13ELi5EEvPKT_PKfPKiS7_S7_Pfiiiiiiiiiiiiii15HIP_vector_typeIjLj3EESA_.numbered_sgpr, max(33, .L_ZL14no_device_codePKciS0_iS0_.numbered_sgpr)
	.set _ZL13mul_mat_f_idsI15__hip_bfloat162Li32ELi13ELi5EEvPKT_PKfPKiS7_S7_Pfiiiiiiiiiiiiii15HIP_vector_typeIjLj3EESA_.num_named_barrier, max(0, .L_ZL14no_device_codePKciS0_iS0_.num_named_barrier)
	.set _ZL13mul_mat_f_idsI15__hip_bfloat162Li32ELi13ELi5EEvPKT_PKfPKiS7_S7_Pfiiiiiiiiiiiiii15HIP_vector_typeIjLj3EESA_.private_seg_size, 0+max(.L_ZL14no_device_codePKciS0_iS0_.private_seg_size)
	.set _ZL13mul_mat_f_idsI15__hip_bfloat162Li32ELi13ELi5EEvPKT_PKfPKiS7_S7_Pfiiiiiiiiiiiiii15HIP_vector_typeIjLj3EESA_.uses_vcc, or(1, .L_ZL14no_device_codePKciS0_iS0_.uses_vcc)
	.set _ZL13mul_mat_f_idsI15__hip_bfloat162Li32ELi13ELi5EEvPKT_PKfPKiS7_S7_Pfiiiiiiiiiiiiii15HIP_vector_typeIjLj3EESA_.uses_flat_scratch, or(0, .L_ZL14no_device_codePKciS0_iS0_.uses_flat_scratch)
	.set _ZL13mul_mat_f_idsI15__hip_bfloat162Li32ELi13ELi5EEvPKT_PKfPKiS7_S7_Pfiiiiiiiiiiiiii15HIP_vector_typeIjLj3EESA_.has_dyn_sized_stack, or(0, .L_ZL14no_device_codePKciS0_iS0_.has_dyn_sized_stack)
	.set _ZL13mul_mat_f_idsI15__hip_bfloat162Li32ELi13ELi5EEvPKT_PKfPKiS7_S7_Pfiiiiiiiiiiiiii15HIP_vector_typeIjLj3EESA_.has_recursion, or(0, .L_ZL14no_device_codePKciS0_iS0_.has_recursion)
	.set _ZL13mul_mat_f_idsI15__hip_bfloat162Li32ELi13ELi5EEvPKT_PKfPKiS7_S7_Pfiiiiiiiiiiiiii15HIP_vector_typeIjLj3EESA_.has_indirect_call, or(0, .L_ZL14no_device_codePKciS0_iS0_.has_indirect_call)
	.section	.AMDGPU.csdata,"",@progbits
; Kernel info:
; codeLenInByte = 76
; TotalNumSgprs: 40
; NumVgprs: 38
; NumAgprs: 0
; TotalNumVgprs: 38
; ScratchSize: 16
; MemoryBound: 0
; FloatMode: 240
; IeeeMode: 1
; LDSByteSize: 0 bytes/workgroup (compile time only)
; SGPRBlocks: 4
; VGPRBlocks: 4
; NumSGPRsForWavesPerEU: 40
; NumVGPRsForWavesPerEU: 38
; AccumOffset: 40
; Occupancy: 8
; WaveLimiterHint : 1
; COMPUTE_PGM_RSRC2:SCRATCH_EN: 1
; COMPUTE_PGM_RSRC2:USER_SGPR: 2
; COMPUTE_PGM_RSRC2:TRAP_HANDLER: 0
; COMPUTE_PGM_RSRC2:TGID_X_EN: 1
; COMPUTE_PGM_RSRC2:TGID_Y_EN: 0
; COMPUTE_PGM_RSRC2:TGID_Z_EN: 0
; COMPUTE_PGM_RSRC2:TIDIG_COMP_CNT: 0
; COMPUTE_PGM_RSRC3_GFX90A:ACCUM_OFFSET: 9
; COMPUTE_PGM_RSRC3_GFX90A:TG_SPLIT: 0
	.section	.text._ZL9mul_mat_fI15__hip_bfloat162Li32ELi13ELi5ELb1EEvPKT_PKfPKiPfiiiiiiiiiiiiiiii,"axG",@progbits,_ZL9mul_mat_fI15__hip_bfloat162Li32ELi13ELi5ELb1EEvPKT_PKfPKiPfiiiiiiiiiiiiiiii,comdat
	.globl	_ZL9mul_mat_fI15__hip_bfloat162Li32ELi13ELi5ELb1EEvPKT_PKfPKiPfiiiiiiiiiiiiiiii ; -- Begin function _ZL9mul_mat_fI15__hip_bfloat162Li32ELi13ELi5ELb1EEvPKT_PKfPKiPfiiiiiiiiiiiiiiii
	.p2align	8
	.type	_ZL9mul_mat_fI15__hip_bfloat162Li32ELi13ELi5ELb1EEvPKT_PKfPKiPfiiiiiiiiiiiiiiii,@function
_ZL9mul_mat_fI15__hip_bfloat162Li32ELi13ELi5ELb1EEvPKT_PKfPKiPfiiiiiiiiiiiiiiii: ; @_ZL9mul_mat_fI15__hip_bfloat162Li32ELi13ELi5ELb1EEvPKT_PKfPKiPfiiiiiiiiiiiiiiii
; %bb.0:
	s_add_u32 s8, s0, 0x60
	s_addc_u32 s9, s1, 0
	s_getpc_b64 s[0:1]
	s_add_u32 s0, s0, __FUNCTION__._ZL9mul_mat_fIfLi32ELi13ELi1ELb1EEvPKT_PKfPKiPfiiiiiiiiiiiiiiii@rel32@lo+4
	s_addc_u32 s1, s1, __FUNCTION__._ZL9mul_mat_fIfLi32ELi13ELi1ELb1EEvPKT_PKfPKiPfiiiiiiiiiiiiiiii@rel32@hi+12
	s_getpc_b64 s[2:3]
	s_add_u32 s2, s2, _ZL14no_device_codePKciS0_iS0_@rel32@lo+4
	s_addc_u32 s3, s3, _ZL14no_device_codePKciS0_iS0_@rel32@hi+12
	v_mov_b32_e32 v0, 64
	v_mov_b32_e32 v1, s0
	v_mov_b32_e32 v2, s1
	s_mov_b32 s32, 0
	s_swappc_b64 s[30:31], s[2:3]
	.section	.rodata,"a",@progbits
	.p2align	6, 0x0
	.amdhsa_kernel _ZL9mul_mat_fI15__hip_bfloat162Li32ELi13ELi5ELb1EEvPKT_PKfPKiPfiiiiiiiiiiiiiiii
		.amdhsa_group_segment_fixed_size 0
		.amdhsa_private_segment_fixed_size 16
		.amdhsa_kernarg_size 352
		.amdhsa_user_sgpr_count 2
		.amdhsa_user_sgpr_dispatch_ptr 0
		.amdhsa_user_sgpr_queue_ptr 0
		.amdhsa_user_sgpr_kernarg_segment_ptr 1
		.amdhsa_user_sgpr_dispatch_id 0
		.amdhsa_user_sgpr_kernarg_preload_length 0
		.amdhsa_user_sgpr_kernarg_preload_offset 0
		.amdhsa_user_sgpr_private_segment_size 0
		.amdhsa_uses_dynamic_stack 0
		.amdhsa_enable_private_segment 1
		.amdhsa_system_sgpr_workgroup_id_x 1
		.amdhsa_system_sgpr_workgroup_id_y 0
		.amdhsa_system_sgpr_workgroup_id_z 0
		.amdhsa_system_sgpr_workgroup_info 0
		.amdhsa_system_vgpr_workitem_id 0
		.amdhsa_next_free_vgpr 38
		.amdhsa_next_free_sgpr 34
		.amdhsa_accum_offset 40
		.amdhsa_reserve_vcc 1
		.amdhsa_float_round_mode_32 0
		.amdhsa_float_round_mode_16_64 0
		.amdhsa_float_denorm_mode_32 3
		.amdhsa_float_denorm_mode_16_64 3
		.amdhsa_dx10_clamp 1
		.amdhsa_ieee_mode 1
		.amdhsa_fp16_overflow 0
		.amdhsa_tg_split 0
		.amdhsa_exception_fp_ieee_invalid_op 0
		.amdhsa_exception_fp_denorm_src 0
		.amdhsa_exception_fp_ieee_div_zero 0
		.amdhsa_exception_fp_ieee_overflow 0
		.amdhsa_exception_fp_ieee_underflow 0
		.amdhsa_exception_fp_ieee_inexact 0
		.amdhsa_exception_int_div_zero 0
	.end_amdhsa_kernel
	.section	.text._ZL9mul_mat_fI15__hip_bfloat162Li32ELi13ELi5ELb1EEvPKT_PKfPKiPfiiiiiiiiiiiiiiii,"axG",@progbits,_ZL9mul_mat_fI15__hip_bfloat162Li32ELi13ELi5ELb1EEvPKT_PKfPKiPfiiiiiiiiiiiiiiii,comdat
.Lfunc_end64:
	.size	_ZL9mul_mat_fI15__hip_bfloat162Li32ELi13ELi5ELb1EEvPKT_PKfPKiPfiiiiiiiiiiiiiiii, .Lfunc_end64-_ZL9mul_mat_fI15__hip_bfloat162Li32ELi13ELi5ELb1EEvPKT_PKfPKiPfiiiiiiiiiiiiiiii
                                        ; -- End function
	.set _ZL9mul_mat_fI15__hip_bfloat162Li32ELi13ELi5ELb1EEvPKT_PKfPKiPfiiiiiiiiiiiiiiii.num_vgpr, max(3, .L_ZL14no_device_codePKciS0_iS0_.num_vgpr)
	.set _ZL9mul_mat_fI15__hip_bfloat162Li32ELi13ELi5ELb1EEvPKT_PKfPKiPfiiiiiiiiiiiiiiii.num_agpr, max(0, .L_ZL14no_device_codePKciS0_iS0_.num_agpr)
	.set _ZL9mul_mat_fI15__hip_bfloat162Li32ELi13ELi5ELb1EEvPKT_PKfPKiPfiiiiiiiiiiiiiiii.numbered_sgpr, max(33, .L_ZL14no_device_codePKciS0_iS0_.numbered_sgpr)
	.set _ZL9mul_mat_fI15__hip_bfloat162Li32ELi13ELi5ELb1EEvPKT_PKfPKiPfiiiiiiiiiiiiiiii.num_named_barrier, max(0, .L_ZL14no_device_codePKciS0_iS0_.num_named_barrier)
	.set _ZL9mul_mat_fI15__hip_bfloat162Li32ELi13ELi5ELb1EEvPKT_PKfPKiPfiiiiiiiiiiiiiiii.private_seg_size, 0+max(.L_ZL14no_device_codePKciS0_iS0_.private_seg_size)
	.set _ZL9mul_mat_fI15__hip_bfloat162Li32ELi13ELi5ELb1EEvPKT_PKfPKiPfiiiiiiiiiiiiiiii.uses_vcc, or(1, .L_ZL14no_device_codePKciS0_iS0_.uses_vcc)
	.set _ZL9mul_mat_fI15__hip_bfloat162Li32ELi13ELi5ELb1EEvPKT_PKfPKiPfiiiiiiiiiiiiiiii.uses_flat_scratch, or(0, .L_ZL14no_device_codePKciS0_iS0_.uses_flat_scratch)
	.set _ZL9mul_mat_fI15__hip_bfloat162Li32ELi13ELi5ELb1EEvPKT_PKfPKiPfiiiiiiiiiiiiiiii.has_dyn_sized_stack, or(0, .L_ZL14no_device_codePKciS0_iS0_.has_dyn_sized_stack)
	.set _ZL9mul_mat_fI15__hip_bfloat162Li32ELi13ELi5ELb1EEvPKT_PKfPKiPfiiiiiiiiiiiiiiii.has_recursion, or(0, .L_ZL14no_device_codePKciS0_iS0_.has_recursion)
	.set _ZL9mul_mat_fI15__hip_bfloat162Li32ELi13ELi5ELb1EEvPKT_PKfPKiPfiiiiiiiiiiiiiiii.has_indirect_call, or(0, .L_ZL14no_device_codePKciS0_iS0_.has_indirect_call)
	.section	.AMDGPU.csdata,"",@progbits
; Kernel info:
; codeLenInByte = 72
; TotalNumSgprs: 40
; NumVgprs: 38
; NumAgprs: 0
; TotalNumVgprs: 38
; ScratchSize: 16
; MemoryBound: 0
; FloatMode: 240
; IeeeMode: 1
; LDSByteSize: 0 bytes/workgroup (compile time only)
; SGPRBlocks: 4
; VGPRBlocks: 4
; NumSGPRsForWavesPerEU: 40
; NumVGPRsForWavesPerEU: 38
; AccumOffset: 40
; Occupancy: 8
; WaveLimiterHint : 1
; COMPUTE_PGM_RSRC2:SCRATCH_EN: 1
; COMPUTE_PGM_RSRC2:USER_SGPR: 2
; COMPUTE_PGM_RSRC2:TRAP_HANDLER: 0
; COMPUTE_PGM_RSRC2:TGID_X_EN: 1
; COMPUTE_PGM_RSRC2:TGID_Y_EN: 0
; COMPUTE_PGM_RSRC2:TGID_Z_EN: 0
; COMPUTE_PGM_RSRC2:TIDIG_COMP_CNT: 0
; COMPUTE_PGM_RSRC3_GFX90A:ACCUM_OFFSET: 9
; COMPUTE_PGM_RSRC3_GFX90A:TG_SPLIT: 0
	.section	.text._ZL9mul_mat_fI15__hip_bfloat162Li32ELi13ELi5ELb0EEvPKT_PKfPKiPfiiiiiiiiiiiiiiii,"axG",@progbits,_ZL9mul_mat_fI15__hip_bfloat162Li32ELi13ELi5ELb0EEvPKT_PKfPKiPfiiiiiiiiiiiiiiii,comdat
	.globl	_ZL9mul_mat_fI15__hip_bfloat162Li32ELi13ELi5ELb0EEvPKT_PKfPKiPfiiiiiiiiiiiiiiii ; -- Begin function _ZL9mul_mat_fI15__hip_bfloat162Li32ELi13ELi5ELb0EEvPKT_PKfPKiPfiiiiiiiiiiiiiiii
	.p2align	8
	.type	_ZL9mul_mat_fI15__hip_bfloat162Li32ELi13ELi5ELb0EEvPKT_PKfPKiPfiiiiiiiiiiiiiiii,@function
_ZL9mul_mat_fI15__hip_bfloat162Li32ELi13ELi5ELb0EEvPKT_PKfPKiPfiiiiiiiiiiiiiiii: ; @_ZL9mul_mat_fI15__hip_bfloat162Li32ELi13ELi5ELb0EEvPKT_PKfPKiPfiiiiiiiiiiiiiiii
; %bb.0:
	s_add_u32 s8, s0, 0x60
	s_addc_u32 s9, s1, 0
	s_getpc_b64 s[0:1]
	s_add_u32 s0, s0, __FUNCTION__._ZL9mul_mat_fIfLi32ELi13ELi1ELb1EEvPKT_PKfPKiPfiiiiiiiiiiiiiiii@rel32@lo+4
	s_addc_u32 s1, s1, __FUNCTION__._ZL9mul_mat_fIfLi32ELi13ELi1ELb1EEvPKT_PKfPKiPfiiiiiiiiiiiiiiii@rel32@hi+12
	s_getpc_b64 s[2:3]
	s_add_u32 s2, s2, _ZL14no_device_codePKciS0_iS0_@rel32@lo+4
	s_addc_u32 s3, s3, _ZL14no_device_codePKciS0_iS0_@rel32@hi+12
	v_mov_b32_e32 v0, 64
	v_mov_b32_e32 v1, s0
	v_mov_b32_e32 v2, s1
	s_mov_b32 s32, 0
	s_swappc_b64 s[30:31], s[2:3]
	.section	.rodata,"a",@progbits
	.p2align	6, 0x0
	.amdhsa_kernel _ZL9mul_mat_fI15__hip_bfloat162Li32ELi13ELi5ELb0EEvPKT_PKfPKiPfiiiiiiiiiiiiiiii
		.amdhsa_group_segment_fixed_size 0
		.amdhsa_private_segment_fixed_size 16
		.amdhsa_kernarg_size 352
		.amdhsa_user_sgpr_count 2
		.amdhsa_user_sgpr_dispatch_ptr 0
		.amdhsa_user_sgpr_queue_ptr 0
		.amdhsa_user_sgpr_kernarg_segment_ptr 1
		.amdhsa_user_sgpr_dispatch_id 0
		.amdhsa_user_sgpr_kernarg_preload_length 0
		.amdhsa_user_sgpr_kernarg_preload_offset 0
		.amdhsa_user_sgpr_private_segment_size 0
		.amdhsa_uses_dynamic_stack 0
		.amdhsa_enable_private_segment 1
		.amdhsa_system_sgpr_workgroup_id_x 1
		.amdhsa_system_sgpr_workgroup_id_y 0
		.amdhsa_system_sgpr_workgroup_id_z 0
		.amdhsa_system_sgpr_workgroup_info 0
		.amdhsa_system_vgpr_workitem_id 0
		.amdhsa_next_free_vgpr 38
		.amdhsa_next_free_sgpr 34
		.amdhsa_accum_offset 40
		.amdhsa_reserve_vcc 1
		.amdhsa_float_round_mode_32 0
		.amdhsa_float_round_mode_16_64 0
		.amdhsa_float_denorm_mode_32 3
		.amdhsa_float_denorm_mode_16_64 3
		.amdhsa_dx10_clamp 1
		.amdhsa_ieee_mode 1
		.amdhsa_fp16_overflow 0
		.amdhsa_tg_split 0
		.amdhsa_exception_fp_ieee_invalid_op 0
		.amdhsa_exception_fp_denorm_src 0
		.amdhsa_exception_fp_ieee_div_zero 0
		.amdhsa_exception_fp_ieee_overflow 0
		.amdhsa_exception_fp_ieee_underflow 0
		.amdhsa_exception_fp_ieee_inexact 0
		.amdhsa_exception_int_div_zero 0
	.end_amdhsa_kernel
	.section	.text._ZL9mul_mat_fI15__hip_bfloat162Li32ELi13ELi5ELb0EEvPKT_PKfPKiPfiiiiiiiiiiiiiiii,"axG",@progbits,_ZL9mul_mat_fI15__hip_bfloat162Li32ELi13ELi5ELb0EEvPKT_PKfPKiPfiiiiiiiiiiiiiiii,comdat
.Lfunc_end65:
	.size	_ZL9mul_mat_fI15__hip_bfloat162Li32ELi13ELi5ELb0EEvPKT_PKfPKiPfiiiiiiiiiiiiiiii, .Lfunc_end65-_ZL9mul_mat_fI15__hip_bfloat162Li32ELi13ELi5ELb0EEvPKT_PKfPKiPfiiiiiiiiiiiiiiii
                                        ; -- End function
	.set _ZL9mul_mat_fI15__hip_bfloat162Li32ELi13ELi5ELb0EEvPKT_PKfPKiPfiiiiiiiiiiiiiiii.num_vgpr, max(3, .L_ZL14no_device_codePKciS0_iS0_.num_vgpr)
	.set _ZL9mul_mat_fI15__hip_bfloat162Li32ELi13ELi5ELb0EEvPKT_PKfPKiPfiiiiiiiiiiiiiiii.num_agpr, max(0, .L_ZL14no_device_codePKciS0_iS0_.num_agpr)
	.set _ZL9mul_mat_fI15__hip_bfloat162Li32ELi13ELi5ELb0EEvPKT_PKfPKiPfiiiiiiiiiiiiiiii.numbered_sgpr, max(33, .L_ZL14no_device_codePKciS0_iS0_.numbered_sgpr)
	.set _ZL9mul_mat_fI15__hip_bfloat162Li32ELi13ELi5ELb0EEvPKT_PKfPKiPfiiiiiiiiiiiiiiii.num_named_barrier, max(0, .L_ZL14no_device_codePKciS0_iS0_.num_named_barrier)
	.set _ZL9mul_mat_fI15__hip_bfloat162Li32ELi13ELi5ELb0EEvPKT_PKfPKiPfiiiiiiiiiiiiiiii.private_seg_size, 0+max(.L_ZL14no_device_codePKciS0_iS0_.private_seg_size)
	.set _ZL9mul_mat_fI15__hip_bfloat162Li32ELi13ELi5ELb0EEvPKT_PKfPKiPfiiiiiiiiiiiiiiii.uses_vcc, or(1, .L_ZL14no_device_codePKciS0_iS0_.uses_vcc)
	.set _ZL9mul_mat_fI15__hip_bfloat162Li32ELi13ELi5ELb0EEvPKT_PKfPKiPfiiiiiiiiiiiiiiii.uses_flat_scratch, or(0, .L_ZL14no_device_codePKciS0_iS0_.uses_flat_scratch)
	.set _ZL9mul_mat_fI15__hip_bfloat162Li32ELi13ELi5ELb0EEvPKT_PKfPKiPfiiiiiiiiiiiiiiii.has_dyn_sized_stack, or(0, .L_ZL14no_device_codePKciS0_iS0_.has_dyn_sized_stack)
	.set _ZL9mul_mat_fI15__hip_bfloat162Li32ELi13ELi5ELb0EEvPKT_PKfPKiPfiiiiiiiiiiiiiiii.has_recursion, or(0, .L_ZL14no_device_codePKciS0_iS0_.has_recursion)
	.set _ZL9mul_mat_fI15__hip_bfloat162Li32ELi13ELi5ELb0EEvPKT_PKfPKiPfiiiiiiiiiiiiiiii.has_indirect_call, or(0, .L_ZL14no_device_codePKciS0_iS0_.has_indirect_call)
	.section	.AMDGPU.csdata,"",@progbits
; Kernel info:
; codeLenInByte = 72
; TotalNumSgprs: 40
; NumVgprs: 38
; NumAgprs: 0
; TotalNumVgprs: 38
; ScratchSize: 16
; MemoryBound: 0
; FloatMode: 240
; IeeeMode: 1
; LDSByteSize: 0 bytes/workgroup (compile time only)
; SGPRBlocks: 4
; VGPRBlocks: 4
; NumSGPRsForWavesPerEU: 40
; NumVGPRsForWavesPerEU: 38
; AccumOffset: 40
; Occupancy: 8
; WaveLimiterHint : 1
; COMPUTE_PGM_RSRC2:SCRATCH_EN: 1
; COMPUTE_PGM_RSRC2:USER_SGPR: 2
; COMPUTE_PGM_RSRC2:TRAP_HANDLER: 0
; COMPUTE_PGM_RSRC2:TGID_X_EN: 1
; COMPUTE_PGM_RSRC2:TGID_Y_EN: 0
; COMPUTE_PGM_RSRC2:TGID_Z_EN: 0
; COMPUTE_PGM_RSRC2:TIDIG_COMP_CNT: 0
; COMPUTE_PGM_RSRC3_GFX90A:ACCUM_OFFSET: 9
; COMPUTE_PGM_RSRC3_GFX90A:TG_SPLIT: 0
	.section	.text._ZL13mul_mat_f_idsI15__hip_bfloat162Li32ELi13ELi6EEvPKT_PKfPKiS7_S7_Pfiiiiiiiiiiiiii15HIP_vector_typeIjLj3EESA_,"axG",@progbits,_ZL13mul_mat_f_idsI15__hip_bfloat162Li32ELi13ELi6EEvPKT_PKfPKiS7_S7_Pfiiiiiiiiiiiiii15HIP_vector_typeIjLj3EESA_,comdat
	.globl	_ZL13mul_mat_f_idsI15__hip_bfloat162Li32ELi13ELi6EEvPKT_PKfPKiS7_S7_Pfiiiiiiiiiiiiii15HIP_vector_typeIjLj3EESA_ ; -- Begin function _ZL13mul_mat_f_idsI15__hip_bfloat162Li32ELi13ELi6EEvPKT_PKfPKiS7_S7_Pfiiiiiiiiiiiiii15HIP_vector_typeIjLj3EESA_
	.p2align	8
	.type	_ZL13mul_mat_f_idsI15__hip_bfloat162Li32ELi13ELi6EEvPKT_PKfPKiS7_S7_Pfiiiiiiiiiiiiii15HIP_vector_typeIjLj3EESA_,@function
_ZL13mul_mat_f_idsI15__hip_bfloat162Li32ELi13ELi6EEvPKT_PKfPKiS7_S7_Pfiiiiiiiiiiiiii15HIP_vector_typeIjLj3EESA_: ; @_ZL13mul_mat_f_idsI15__hip_bfloat162Li32ELi13ELi6EEvPKT_PKfPKiS7_S7_Pfiiiiiiiiiiiiii15HIP_vector_typeIjLj3EESA_
; %bb.0:
	s_add_u32 s8, s0, 0x80
	s_addc_u32 s9, s1, 0
	s_getpc_b64 s[0:1]
	s_add_u32 s0, s0, __FUNCTION__._ZL13mul_mat_f_idsIfLi32ELi13ELi1EEvPKT_PKfPKiS6_S6_Pfiiiiiiiiiiiiii15HIP_vector_typeIjLj3EES9_@rel32@lo+4
	s_addc_u32 s1, s1, __FUNCTION__._ZL13mul_mat_f_idsIfLi32ELi13ELi1EEvPKT_PKfPKiS6_S6_Pfiiiiiiiiiiiiii15HIP_vector_typeIjLj3EES9_@rel32@hi+12
	s_getpc_b64 s[2:3]
	s_add_u32 s2, s2, _ZL14no_device_codePKciS0_iS0_@rel32@lo+4
	s_addc_u32 s3, s3, _ZL14no_device_codePKciS0_iS0_@rel32@hi+12
	v_mov_b32_e32 v0, 0x13b
	v_mov_b32_e32 v1, s0
	v_mov_b32_e32 v2, s1
	s_mov_b32 s32, 0
	s_swappc_b64 s[30:31], s[2:3]
	.section	.rodata,"a",@progbits
	.p2align	6, 0x0
	.amdhsa_kernel _ZL13mul_mat_f_idsI15__hip_bfloat162Li32ELi13ELi6EEvPKT_PKfPKiS7_S7_Pfiiiiiiiiiiiiii15HIP_vector_typeIjLj3EESA_
		.amdhsa_group_segment_fixed_size 0
		.amdhsa_private_segment_fixed_size 16
		.amdhsa_kernarg_size 384
		.amdhsa_user_sgpr_count 2
		.amdhsa_user_sgpr_dispatch_ptr 0
		.amdhsa_user_sgpr_queue_ptr 0
		.amdhsa_user_sgpr_kernarg_segment_ptr 1
		.amdhsa_user_sgpr_dispatch_id 0
		.amdhsa_user_sgpr_kernarg_preload_length 0
		.amdhsa_user_sgpr_kernarg_preload_offset 0
		.amdhsa_user_sgpr_private_segment_size 0
		.amdhsa_uses_dynamic_stack 0
		.amdhsa_enable_private_segment 1
		.amdhsa_system_sgpr_workgroup_id_x 1
		.amdhsa_system_sgpr_workgroup_id_y 0
		.amdhsa_system_sgpr_workgroup_id_z 0
		.amdhsa_system_sgpr_workgroup_info 0
		.amdhsa_system_vgpr_workitem_id 0
		.amdhsa_next_free_vgpr 38
		.amdhsa_next_free_sgpr 34
		.amdhsa_accum_offset 40
		.amdhsa_reserve_vcc 1
		.amdhsa_float_round_mode_32 0
		.amdhsa_float_round_mode_16_64 0
		.amdhsa_float_denorm_mode_32 3
		.amdhsa_float_denorm_mode_16_64 3
		.amdhsa_dx10_clamp 1
		.amdhsa_ieee_mode 1
		.amdhsa_fp16_overflow 0
		.amdhsa_tg_split 0
		.amdhsa_exception_fp_ieee_invalid_op 0
		.amdhsa_exception_fp_denorm_src 0
		.amdhsa_exception_fp_ieee_div_zero 0
		.amdhsa_exception_fp_ieee_overflow 0
		.amdhsa_exception_fp_ieee_underflow 0
		.amdhsa_exception_fp_ieee_inexact 0
		.amdhsa_exception_int_div_zero 0
	.end_amdhsa_kernel
	.section	.text._ZL13mul_mat_f_idsI15__hip_bfloat162Li32ELi13ELi6EEvPKT_PKfPKiS7_S7_Pfiiiiiiiiiiiiii15HIP_vector_typeIjLj3EESA_,"axG",@progbits,_ZL13mul_mat_f_idsI15__hip_bfloat162Li32ELi13ELi6EEvPKT_PKfPKiS7_S7_Pfiiiiiiiiiiiiii15HIP_vector_typeIjLj3EESA_,comdat
.Lfunc_end66:
	.size	_ZL13mul_mat_f_idsI15__hip_bfloat162Li32ELi13ELi6EEvPKT_PKfPKiS7_S7_Pfiiiiiiiiiiiiii15HIP_vector_typeIjLj3EESA_, .Lfunc_end66-_ZL13mul_mat_f_idsI15__hip_bfloat162Li32ELi13ELi6EEvPKT_PKfPKiS7_S7_Pfiiiiiiiiiiiiii15HIP_vector_typeIjLj3EESA_
                                        ; -- End function
	.set _ZL13mul_mat_f_idsI15__hip_bfloat162Li32ELi13ELi6EEvPKT_PKfPKiS7_S7_Pfiiiiiiiiiiiiii15HIP_vector_typeIjLj3EESA_.num_vgpr, max(3, .L_ZL14no_device_codePKciS0_iS0_.num_vgpr)
	.set _ZL13mul_mat_f_idsI15__hip_bfloat162Li32ELi13ELi6EEvPKT_PKfPKiS7_S7_Pfiiiiiiiiiiiiii15HIP_vector_typeIjLj3EESA_.num_agpr, max(0, .L_ZL14no_device_codePKciS0_iS0_.num_agpr)
	.set _ZL13mul_mat_f_idsI15__hip_bfloat162Li32ELi13ELi6EEvPKT_PKfPKiS7_S7_Pfiiiiiiiiiiiiii15HIP_vector_typeIjLj3EESA_.numbered_sgpr, max(33, .L_ZL14no_device_codePKciS0_iS0_.numbered_sgpr)
	.set _ZL13mul_mat_f_idsI15__hip_bfloat162Li32ELi13ELi6EEvPKT_PKfPKiS7_S7_Pfiiiiiiiiiiiiii15HIP_vector_typeIjLj3EESA_.num_named_barrier, max(0, .L_ZL14no_device_codePKciS0_iS0_.num_named_barrier)
	.set _ZL13mul_mat_f_idsI15__hip_bfloat162Li32ELi13ELi6EEvPKT_PKfPKiS7_S7_Pfiiiiiiiiiiiiii15HIP_vector_typeIjLj3EESA_.private_seg_size, 0+max(.L_ZL14no_device_codePKciS0_iS0_.private_seg_size)
	.set _ZL13mul_mat_f_idsI15__hip_bfloat162Li32ELi13ELi6EEvPKT_PKfPKiS7_S7_Pfiiiiiiiiiiiiii15HIP_vector_typeIjLj3EESA_.uses_vcc, or(1, .L_ZL14no_device_codePKciS0_iS0_.uses_vcc)
	.set _ZL13mul_mat_f_idsI15__hip_bfloat162Li32ELi13ELi6EEvPKT_PKfPKiS7_S7_Pfiiiiiiiiiiiiii15HIP_vector_typeIjLj3EESA_.uses_flat_scratch, or(0, .L_ZL14no_device_codePKciS0_iS0_.uses_flat_scratch)
	.set _ZL13mul_mat_f_idsI15__hip_bfloat162Li32ELi13ELi6EEvPKT_PKfPKiS7_S7_Pfiiiiiiiiiiiiii15HIP_vector_typeIjLj3EESA_.has_dyn_sized_stack, or(0, .L_ZL14no_device_codePKciS0_iS0_.has_dyn_sized_stack)
	.set _ZL13mul_mat_f_idsI15__hip_bfloat162Li32ELi13ELi6EEvPKT_PKfPKiS7_S7_Pfiiiiiiiiiiiiii15HIP_vector_typeIjLj3EESA_.has_recursion, or(0, .L_ZL14no_device_codePKciS0_iS0_.has_recursion)
	.set _ZL13mul_mat_f_idsI15__hip_bfloat162Li32ELi13ELi6EEvPKT_PKfPKiS7_S7_Pfiiiiiiiiiiiiii15HIP_vector_typeIjLj3EESA_.has_indirect_call, or(0, .L_ZL14no_device_codePKciS0_iS0_.has_indirect_call)
	.section	.AMDGPU.csdata,"",@progbits
; Kernel info:
; codeLenInByte = 76
; TotalNumSgprs: 40
; NumVgprs: 38
; NumAgprs: 0
; TotalNumVgprs: 38
; ScratchSize: 16
; MemoryBound: 0
; FloatMode: 240
; IeeeMode: 1
; LDSByteSize: 0 bytes/workgroup (compile time only)
; SGPRBlocks: 4
; VGPRBlocks: 4
; NumSGPRsForWavesPerEU: 40
; NumVGPRsForWavesPerEU: 38
; AccumOffset: 40
; Occupancy: 8
; WaveLimiterHint : 1
; COMPUTE_PGM_RSRC2:SCRATCH_EN: 1
; COMPUTE_PGM_RSRC2:USER_SGPR: 2
; COMPUTE_PGM_RSRC2:TRAP_HANDLER: 0
; COMPUTE_PGM_RSRC2:TGID_X_EN: 1
; COMPUTE_PGM_RSRC2:TGID_Y_EN: 0
; COMPUTE_PGM_RSRC2:TGID_Z_EN: 0
; COMPUTE_PGM_RSRC2:TIDIG_COMP_CNT: 0
; COMPUTE_PGM_RSRC3_GFX90A:ACCUM_OFFSET: 9
; COMPUTE_PGM_RSRC3_GFX90A:TG_SPLIT: 0
	.section	.text._ZL9mul_mat_fI15__hip_bfloat162Li32ELi13ELi6ELb1EEvPKT_PKfPKiPfiiiiiiiiiiiiiiii,"axG",@progbits,_ZL9mul_mat_fI15__hip_bfloat162Li32ELi13ELi6ELb1EEvPKT_PKfPKiPfiiiiiiiiiiiiiiii,comdat
	.globl	_ZL9mul_mat_fI15__hip_bfloat162Li32ELi13ELi6ELb1EEvPKT_PKfPKiPfiiiiiiiiiiiiiiii ; -- Begin function _ZL9mul_mat_fI15__hip_bfloat162Li32ELi13ELi6ELb1EEvPKT_PKfPKiPfiiiiiiiiiiiiiiii
	.p2align	8
	.type	_ZL9mul_mat_fI15__hip_bfloat162Li32ELi13ELi6ELb1EEvPKT_PKfPKiPfiiiiiiiiiiiiiiii,@function
_ZL9mul_mat_fI15__hip_bfloat162Li32ELi13ELi6ELb1EEvPKT_PKfPKiPfiiiiiiiiiiiiiiii: ; @_ZL9mul_mat_fI15__hip_bfloat162Li32ELi13ELi6ELb1EEvPKT_PKfPKiPfiiiiiiiiiiiiiiii
; %bb.0:
	s_add_u32 s8, s0, 0x60
	s_addc_u32 s9, s1, 0
	s_getpc_b64 s[0:1]
	s_add_u32 s0, s0, __FUNCTION__._ZL9mul_mat_fIfLi32ELi13ELi1ELb1EEvPKT_PKfPKiPfiiiiiiiiiiiiiiii@rel32@lo+4
	s_addc_u32 s1, s1, __FUNCTION__._ZL9mul_mat_fIfLi32ELi13ELi1ELb1EEvPKT_PKfPKiPfiiiiiiiiiiiiiiii@rel32@hi+12
	s_getpc_b64 s[2:3]
	s_add_u32 s2, s2, _ZL14no_device_codePKciS0_iS0_@rel32@lo+4
	s_addc_u32 s3, s3, _ZL14no_device_codePKciS0_iS0_@rel32@hi+12
	v_mov_b32_e32 v0, 64
	v_mov_b32_e32 v1, s0
	;; [unrolled: 1-line block ×3, first 2 shown]
	s_mov_b32 s32, 0
	s_swappc_b64 s[30:31], s[2:3]
	.section	.rodata,"a",@progbits
	.p2align	6, 0x0
	.amdhsa_kernel _ZL9mul_mat_fI15__hip_bfloat162Li32ELi13ELi6ELb1EEvPKT_PKfPKiPfiiiiiiiiiiiiiiii
		.amdhsa_group_segment_fixed_size 0
		.amdhsa_private_segment_fixed_size 16
		.amdhsa_kernarg_size 352
		.amdhsa_user_sgpr_count 2
		.amdhsa_user_sgpr_dispatch_ptr 0
		.amdhsa_user_sgpr_queue_ptr 0
		.amdhsa_user_sgpr_kernarg_segment_ptr 1
		.amdhsa_user_sgpr_dispatch_id 0
		.amdhsa_user_sgpr_kernarg_preload_length 0
		.amdhsa_user_sgpr_kernarg_preload_offset 0
		.amdhsa_user_sgpr_private_segment_size 0
		.amdhsa_uses_dynamic_stack 0
		.amdhsa_enable_private_segment 1
		.amdhsa_system_sgpr_workgroup_id_x 1
		.amdhsa_system_sgpr_workgroup_id_y 0
		.amdhsa_system_sgpr_workgroup_id_z 0
		.amdhsa_system_sgpr_workgroup_info 0
		.amdhsa_system_vgpr_workitem_id 0
		.amdhsa_next_free_vgpr 38
		.amdhsa_next_free_sgpr 34
		.amdhsa_accum_offset 40
		.amdhsa_reserve_vcc 1
		.amdhsa_float_round_mode_32 0
		.amdhsa_float_round_mode_16_64 0
		.amdhsa_float_denorm_mode_32 3
		.amdhsa_float_denorm_mode_16_64 3
		.amdhsa_dx10_clamp 1
		.amdhsa_ieee_mode 1
		.amdhsa_fp16_overflow 0
		.amdhsa_tg_split 0
		.amdhsa_exception_fp_ieee_invalid_op 0
		.amdhsa_exception_fp_denorm_src 0
		.amdhsa_exception_fp_ieee_div_zero 0
		.amdhsa_exception_fp_ieee_overflow 0
		.amdhsa_exception_fp_ieee_underflow 0
		.amdhsa_exception_fp_ieee_inexact 0
		.amdhsa_exception_int_div_zero 0
	.end_amdhsa_kernel
	.section	.text._ZL9mul_mat_fI15__hip_bfloat162Li32ELi13ELi6ELb1EEvPKT_PKfPKiPfiiiiiiiiiiiiiiii,"axG",@progbits,_ZL9mul_mat_fI15__hip_bfloat162Li32ELi13ELi6ELb1EEvPKT_PKfPKiPfiiiiiiiiiiiiiiii,comdat
.Lfunc_end67:
	.size	_ZL9mul_mat_fI15__hip_bfloat162Li32ELi13ELi6ELb1EEvPKT_PKfPKiPfiiiiiiiiiiiiiiii, .Lfunc_end67-_ZL9mul_mat_fI15__hip_bfloat162Li32ELi13ELi6ELb1EEvPKT_PKfPKiPfiiiiiiiiiiiiiiii
                                        ; -- End function
	.set _ZL9mul_mat_fI15__hip_bfloat162Li32ELi13ELi6ELb1EEvPKT_PKfPKiPfiiiiiiiiiiiiiiii.num_vgpr, max(3, .L_ZL14no_device_codePKciS0_iS0_.num_vgpr)
	.set _ZL9mul_mat_fI15__hip_bfloat162Li32ELi13ELi6ELb1EEvPKT_PKfPKiPfiiiiiiiiiiiiiiii.num_agpr, max(0, .L_ZL14no_device_codePKciS0_iS0_.num_agpr)
	.set _ZL9mul_mat_fI15__hip_bfloat162Li32ELi13ELi6ELb1EEvPKT_PKfPKiPfiiiiiiiiiiiiiiii.numbered_sgpr, max(33, .L_ZL14no_device_codePKciS0_iS0_.numbered_sgpr)
	.set _ZL9mul_mat_fI15__hip_bfloat162Li32ELi13ELi6ELb1EEvPKT_PKfPKiPfiiiiiiiiiiiiiiii.num_named_barrier, max(0, .L_ZL14no_device_codePKciS0_iS0_.num_named_barrier)
	.set _ZL9mul_mat_fI15__hip_bfloat162Li32ELi13ELi6ELb1EEvPKT_PKfPKiPfiiiiiiiiiiiiiiii.private_seg_size, 0+max(.L_ZL14no_device_codePKciS0_iS0_.private_seg_size)
	.set _ZL9mul_mat_fI15__hip_bfloat162Li32ELi13ELi6ELb1EEvPKT_PKfPKiPfiiiiiiiiiiiiiiii.uses_vcc, or(1, .L_ZL14no_device_codePKciS0_iS0_.uses_vcc)
	.set _ZL9mul_mat_fI15__hip_bfloat162Li32ELi13ELi6ELb1EEvPKT_PKfPKiPfiiiiiiiiiiiiiiii.uses_flat_scratch, or(0, .L_ZL14no_device_codePKciS0_iS0_.uses_flat_scratch)
	.set _ZL9mul_mat_fI15__hip_bfloat162Li32ELi13ELi6ELb1EEvPKT_PKfPKiPfiiiiiiiiiiiiiiii.has_dyn_sized_stack, or(0, .L_ZL14no_device_codePKciS0_iS0_.has_dyn_sized_stack)
	.set _ZL9mul_mat_fI15__hip_bfloat162Li32ELi13ELi6ELb1EEvPKT_PKfPKiPfiiiiiiiiiiiiiiii.has_recursion, or(0, .L_ZL14no_device_codePKciS0_iS0_.has_recursion)
	.set _ZL9mul_mat_fI15__hip_bfloat162Li32ELi13ELi6ELb1EEvPKT_PKfPKiPfiiiiiiiiiiiiiiii.has_indirect_call, or(0, .L_ZL14no_device_codePKciS0_iS0_.has_indirect_call)
	.section	.AMDGPU.csdata,"",@progbits
; Kernel info:
; codeLenInByte = 72
; TotalNumSgprs: 40
; NumVgprs: 38
; NumAgprs: 0
; TotalNumVgprs: 38
; ScratchSize: 16
; MemoryBound: 0
; FloatMode: 240
; IeeeMode: 1
; LDSByteSize: 0 bytes/workgroup (compile time only)
; SGPRBlocks: 4
; VGPRBlocks: 4
; NumSGPRsForWavesPerEU: 40
; NumVGPRsForWavesPerEU: 38
; AccumOffset: 40
; Occupancy: 8
; WaveLimiterHint : 1
; COMPUTE_PGM_RSRC2:SCRATCH_EN: 1
; COMPUTE_PGM_RSRC2:USER_SGPR: 2
; COMPUTE_PGM_RSRC2:TRAP_HANDLER: 0
; COMPUTE_PGM_RSRC2:TGID_X_EN: 1
; COMPUTE_PGM_RSRC2:TGID_Y_EN: 0
; COMPUTE_PGM_RSRC2:TGID_Z_EN: 0
; COMPUTE_PGM_RSRC2:TIDIG_COMP_CNT: 0
; COMPUTE_PGM_RSRC3_GFX90A:ACCUM_OFFSET: 9
; COMPUTE_PGM_RSRC3_GFX90A:TG_SPLIT: 0
	.section	.text._ZL9mul_mat_fI15__hip_bfloat162Li32ELi13ELi6ELb0EEvPKT_PKfPKiPfiiiiiiiiiiiiiiii,"axG",@progbits,_ZL9mul_mat_fI15__hip_bfloat162Li32ELi13ELi6ELb0EEvPKT_PKfPKiPfiiiiiiiiiiiiiiii,comdat
	.globl	_ZL9mul_mat_fI15__hip_bfloat162Li32ELi13ELi6ELb0EEvPKT_PKfPKiPfiiiiiiiiiiiiiiii ; -- Begin function _ZL9mul_mat_fI15__hip_bfloat162Li32ELi13ELi6ELb0EEvPKT_PKfPKiPfiiiiiiiiiiiiiiii
	.p2align	8
	.type	_ZL9mul_mat_fI15__hip_bfloat162Li32ELi13ELi6ELb0EEvPKT_PKfPKiPfiiiiiiiiiiiiiiii,@function
_ZL9mul_mat_fI15__hip_bfloat162Li32ELi13ELi6ELb0EEvPKT_PKfPKiPfiiiiiiiiiiiiiiii: ; @_ZL9mul_mat_fI15__hip_bfloat162Li32ELi13ELi6ELb0EEvPKT_PKfPKiPfiiiiiiiiiiiiiiii
; %bb.0:
	s_add_u32 s8, s0, 0x60
	s_addc_u32 s9, s1, 0
	s_getpc_b64 s[0:1]
	s_add_u32 s0, s0, __FUNCTION__._ZL9mul_mat_fIfLi32ELi13ELi1ELb1EEvPKT_PKfPKiPfiiiiiiiiiiiiiiii@rel32@lo+4
	s_addc_u32 s1, s1, __FUNCTION__._ZL9mul_mat_fIfLi32ELi13ELi1ELb1EEvPKT_PKfPKiPfiiiiiiiiiiiiiiii@rel32@hi+12
	s_getpc_b64 s[2:3]
	s_add_u32 s2, s2, _ZL14no_device_codePKciS0_iS0_@rel32@lo+4
	s_addc_u32 s3, s3, _ZL14no_device_codePKciS0_iS0_@rel32@hi+12
	v_mov_b32_e32 v0, 64
	v_mov_b32_e32 v1, s0
	;; [unrolled: 1-line block ×3, first 2 shown]
	s_mov_b32 s32, 0
	s_swappc_b64 s[30:31], s[2:3]
	.section	.rodata,"a",@progbits
	.p2align	6, 0x0
	.amdhsa_kernel _ZL9mul_mat_fI15__hip_bfloat162Li32ELi13ELi6ELb0EEvPKT_PKfPKiPfiiiiiiiiiiiiiiii
		.amdhsa_group_segment_fixed_size 0
		.amdhsa_private_segment_fixed_size 16
		.amdhsa_kernarg_size 352
		.amdhsa_user_sgpr_count 2
		.amdhsa_user_sgpr_dispatch_ptr 0
		.amdhsa_user_sgpr_queue_ptr 0
		.amdhsa_user_sgpr_kernarg_segment_ptr 1
		.amdhsa_user_sgpr_dispatch_id 0
		.amdhsa_user_sgpr_kernarg_preload_length 0
		.amdhsa_user_sgpr_kernarg_preload_offset 0
		.amdhsa_user_sgpr_private_segment_size 0
		.amdhsa_uses_dynamic_stack 0
		.amdhsa_enable_private_segment 1
		.amdhsa_system_sgpr_workgroup_id_x 1
		.amdhsa_system_sgpr_workgroup_id_y 0
		.amdhsa_system_sgpr_workgroup_id_z 0
		.amdhsa_system_sgpr_workgroup_info 0
		.amdhsa_system_vgpr_workitem_id 0
		.amdhsa_next_free_vgpr 38
		.amdhsa_next_free_sgpr 34
		.amdhsa_accum_offset 40
		.amdhsa_reserve_vcc 1
		.amdhsa_float_round_mode_32 0
		.amdhsa_float_round_mode_16_64 0
		.amdhsa_float_denorm_mode_32 3
		.amdhsa_float_denorm_mode_16_64 3
		.amdhsa_dx10_clamp 1
		.amdhsa_ieee_mode 1
		.amdhsa_fp16_overflow 0
		.amdhsa_tg_split 0
		.amdhsa_exception_fp_ieee_invalid_op 0
		.amdhsa_exception_fp_denorm_src 0
		.amdhsa_exception_fp_ieee_div_zero 0
		.amdhsa_exception_fp_ieee_overflow 0
		.amdhsa_exception_fp_ieee_underflow 0
		.amdhsa_exception_fp_ieee_inexact 0
		.amdhsa_exception_int_div_zero 0
	.end_amdhsa_kernel
	.section	.text._ZL9mul_mat_fI15__hip_bfloat162Li32ELi13ELi6ELb0EEvPKT_PKfPKiPfiiiiiiiiiiiiiiii,"axG",@progbits,_ZL9mul_mat_fI15__hip_bfloat162Li32ELi13ELi6ELb0EEvPKT_PKfPKiPfiiiiiiiiiiiiiiii,comdat
.Lfunc_end68:
	.size	_ZL9mul_mat_fI15__hip_bfloat162Li32ELi13ELi6ELb0EEvPKT_PKfPKiPfiiiiiiiiiiiiiiii, .Lfunc_end68-_ZL9mul_mat_fI15__hip_bfloat162Li32ELi13ELi6ELb0EEvPKT_PKfPKiPfiiiiiiiiiiiiiiii
                                        ; -- End function
	.set _ZL9mul_mat_fI15__hip_bfloat162Li32ELi13ELi6ELb0EEvPKT_PKfPKiPfiiiiiiiiiiiiiiii.num_vgpr, max(3, .L_ZL14no_device_codePKciS0_iS0_.num_vgpr)
	.set _ZL9mul_mat_fI15__hip_bfloat162Li32ELi13ELi6ELb0EEvPKT_PKfPKiPfiiiiiiiiiiiiiiii.num_agpr, max(0, .L_ZL14no_device_codePKciS0_iS0_.num_agpr)
	.set _ZL9mul_mat_fI15__hip_bfloat162Li32ELi13ELi6ELb0EEvPKT_PKfPKiPfiiiiiiiiiiiiiiii.numbered_sgpr, max(33, .L_ZL14no_device_codePKciS0_iS0_.numbered_sgpr)
	.set _ZL9mul_mat_fI15__hip_bfloat162Li32ELi13ELi6ELb0EEvPKT_PKfPKiPfiiiiiiiiiiiiiiii.num_named_barrier, max(0, .L_ZL14no_device_codePKciS0_iS0_.num_named_barrier)
	.set _ZL9mul_mat_fI15__hip_bfloat162Li32ELi13ELi6ELb0EEvPKT_PKfPKiPfiiiiiiiiiiiiiiii.private_seg_size, 0+max(.L_ZL14no_device_codePKciS0_iS0_.private_seg_size)
	.set _ZL9mul_mat_fI15__hip_bfloat162Li32ELi13ELi6ELb0EEvPKT_PKfPKiPfiiiiiiiiiiiiiiii.uses_vcc, or(1, .L_ZL14no_device_codePKciS0_iS0_.uses_vcc)
	.set _ZL9mul_mat_fI15__hip_bfloat162Li32ELi13ELi6ELb0EEvPKT_PKfPKiPfiiiiiiiiiiiiiiii.uses_flat_scratch, or(0, .L_ZL14no_device_codePKciS0_iS0_.uses_flat_scratch)
	.set _ZL9mul_mat_fI15__hip_bfloat162Li32ELi13ELi6ELb0EEvPKT_PKfPKiPfiiiiiiiiiiiiiiii.has_dyn_sized_stack, or(0, .L_ZL14no_device_codePKciS0_iS0_.has_dyn_sized_stack)
	.set _ZL9mul_mat_fI15__hip_bfloat162Li32ELi13ELi6ELb0EEvPKT_PKfPKiPfiiiiiiiiiiiiiiii.has_recursion, or(0, .L_ZL14no_device_codePKciS0_iS0_.has_recursion)
	.set _ZL9mul_mat_fI15__hip_bfloat162Li32ELi13ELi6ELb0EEvPKT_PKfPKiPfiiiiiiiiiiiiiiii.has_indirect_call, or(0, .L_ZL14no_device_codePKciS0_iS0_.has_indirect_call)
	.section	.AMDGPU.csdata,"",@progbits
; Kernel info:
; codeLenInByte = 72
; TotalNumSgprs: 40
; NumVgprs: 38
; NumAgprs: 0
; TotalNumVgprs: 38
; ScratchSize: 16
; MemoryBound: 0
; FloatMode: 240
; IeeeMode: 1
; LDSByteSize: 0 bytes/workgroup (compile time only)
; SGPRBlocks: 4
; VGPRBlocks: 4
; NumSGPRsForWavesPerEU: 40
; NumVGPRsForWavesPerEU: 38
; AccumOffset: 40
; Occupancy: 8
; WaveLimiterHint : 1
; COMPUTE_PGM_RSRC2:SCRATCH_EN: 1
; COMPUTE_PGM_RSRC2:USER_SGPR: 2
; COMPUTE_PGM_RSRC2:TRAP_HANDLER: 0
; COMPUTE_PGM_RSRC2:TGID_X_EN: 1
; COMPUTE_PGM_RSRC2:TGID_Y_EN: 0
; COMPUTE_PGM_RSRC2:TGID_Z_EN: 0
; COMPUTE_PGM_RSRC2:TIDIG_COMP_CNT: 0
; COMPUTE_PGM_RSRC3_GFX90A:ACCUM_OFFSET: 9
; COMPUTE_PGM_RSRC3_GFX90A:TG_SPLIT: 0
	.section	.text._ZL13mul_mat_f_idsI15__hip_bfloat162Li32ELi13ELi7EEvPKT_PKfPKiS7_S7_Pfiiiiiiiiiiiiii15HIP_vector_typeIjLj3EESA_,"axG",@progbits,_ZL13mul_mat_f_idsI15__hip_bfloat162Li32ELi13ELi7EEvPKT_PKfPKiS7_S7_Pfiiiiiiiiiiiiii15HIP_vector_typeIjLj3EESA_,comdat
	.globl	_ZL13mul_mat_f_idsI15__hip_bfloat162Li32ELi13ELi7EEvPKT_PKfPKiS7_S7_Pfiiiiiiiiiiiiii15HIP_vector_typeIjLj3EESA_ ; -- Begin function _ZL13mul_mat_f_idsI15__hip_bfloat162Li32ELi13ELi7EEvPKT_PKfPKiS7_S7_Pfiiiiiiiiiiiiii15HIP_vector_typeIjLj3EESA_
	.p2align	8
	.type	_ZL13mul_mat_f_idsI15__hip_bfloat162Li32ELi13ELi7EEvPKT_PKfPKiS7_S7_Pfiiiiiiiiiiiiii15HIP_vector_typeIjLj3EESA_,@function
_ZL13mul_mat_f_idsI15__hip_bfloat162Li32ELi13ELi7EEvPKT_PKfPKiS7_S7_Pfiiiiiiiiiiiiii15HIP_vector_typeIjLj3EESA_: ; @_ZL13mul_mat_f_idsI15__hip_bfloat162Li32ELi13ELi7EEvPKT_PKfPKiS7_S7_Pfiiiiiiiiiiiiii15HIP_vector_typeIjLj3EESA_
; %bb.0:
	s_add_u32 s8, s0, 0x80
	s_addc_u32 s9, s1, 0
	s_getpc_b64 s[0:1]
	s_add_u32 s0, s0, __FUNCTION__._ZL13mul_mat_f_idsIfLi32ELi13ELi1EEvPKT_PKfPKiS6_S6_Pfiiiiiiiiiiiiii15HIP_vector_typeIjLj3EES9_@rel32@lo+4
	s_addc_u32 s1, s1, __FUNCTION__._ZL13mul_mat_f_idsIfLi32ELi13ELi1EEvPKT_PKfPKiS6_S6_Pfiiiiiiiiiiiiii15HIP_vector_typeIjLj3EES9_@rel32@hi+12
	s_getpc_b64 s[2:3]
	s_add_u32 s2, s2, _ZL14no_device_codePKciS0_iS0_@rel32@lo+4
	s_addc_u32 s3, s3, _ZL14no_device_codePKciS0_iS0_@rel32@hi+12
	v_mov_b32_e32 v0, 0x13b
	v_mov_b32_e32 v1, s0
	v_mov_b32_e32 v2, s1
	s_mov_b32 s32, 0
	s_swappc_b64 s[30:31], s[2:3]
	.section	.rodata,"a",@progbits
	.p2align	6, 0x0
	.amdhsa_kernel _ZL13mul_mat_f_idsI15__hip_bfloat162Li32ELi13ELi7EEvPKT_PKfPKiS7_S7_Pfiiiiiiiiiiiiii15HIP_vector_typeIjLj3EESA_
		.amdhsa_group_segment_fixed_size 0
		.amdhsa_private_segment_fixed_size 16
		.amdhsa_kernarg_size 384
		.amdhsa_user_sgpr_count 2
		.amdhsa_user_sgpr_dispatch_ptr 0
		.amdhsa_user_sgpr_queue_ptr 0
		.amdhsa_user_sgpr_kernarg_segment_ptr 1
		.amdhsa_user_sgpr_dispatch_id 0
		.amdhsa_user_sgpr_kernarg_preload_length 0
		.amdhsa_user_sgpr_kernarg_preload_offset 0
		.amdhsa_user_sgpr_private_segment_size 0
		.amdhsa_uses_dynamic_stack 0
		.amdhsa_enable_private_segment 1
		.amdhsa_system_sgpr_workgroup_id_x 1
		.amdhsa_system_sgpr_workgroup_id_y 0
		.amdhsa_system_sgpr_workgroup_id_z 0
		.amdhsa_system_sgpr_workgroup_info 0
		.amdhsa_system_vgpr_workitem_id 0
		.amdhsa_next_free_vgpr 38
		.amdhsa_next_free_sgpr 34
		.amdhsa_accum_offset 40
		.amdhsa_reserve_vcc 1
		.amdhsa_float_round_mode_32 0
		.amdhsa_float_round_mode_16_64 0
		.amdhsa_float_denorm_mode_32 3
		.amdhsa_float_denorm_mode_16_64 3
		.amdhsa_dx10_clamp 1
		.amdhsa_ieee_mode 1
		.amdhsa_fp16_overflow 0
		.amdhsa_tg_split 0
		.amdhsa_exception_fp_ieee_invalid_op 0
		.amdhsa_exception_fp_denorm_src 0
		.amdhsa_exception_fp_ieee_div_zero 0
		.amdhsa_exception_fp_ieee_overflow 0
		.amdhsa_exception_fp_ieee_underflow 0
		.amdhsa_exception_fp_ieee_inexact 0
		.amdhsa_exception_int_div_zero 0
	.end_amdhsa_kernel
	.section	.text._ZL13mul_mat_f_idsI15__hip_bfloat162Li32ELi13ELi7EEvPKT_PKfPKiS7_S7_Pfiiiiiiiiiiiiii15HIP_vector_typeIjLj3EESA_,"axG",@progbits,_ZL13mul_mat_f_idsI15__hip_bfloat162Li32ELi13ELi7EEvPKT_PKfPKiS7_S7_Pfiiiiiiiiiiiiii15HIP_vector_typeIjLj3EESA_,comdat
.Lfunc_end69:
	.size	_ZL13mul_mat_f_idsI15__hip_bfloat162Li32ELi13ELi7EEvPKT_PKfPKiS7_S7_Pfiiiiiiiiiiiiii15HIP_vector_typeIjLj3EESA_, .Lfunc_end69-_ZL13mul_mat_f_idsI15__hip_bfloat162Li32ELi13ELi7EEvPKT_PKfPKiS7_S7_Pfiiiiiiiiiiiiii15HIP_vector_typeIjLj3EESA_
                                        ; -- End function
	.set _ZL13mul_mat_f_idsI15__hip_bfloat162Li32ELi13ELi7EEvPKT_PKfPKiS7_S7_Pfiiiiiiiiiiiiii15HIP_vector_typeIjLj3EESA_.num_vgpr, max(3, .L_ZL14no_device_codePKciS0_iS0_.num_vgpr)
	.set _ZL13mul_mat_f_idsI15__hip_bfloat162Li32ELi13ELi7EEvPKT_PKfPKiS7_S7_Pfiiiiiiiiiiiiii15HIP_vector_typeIjLj3EESA_.num_agpr, max(0, .L_ZL14no_device_codePKciS0_iS0_.num_agpr)
	.set _ZL13mul_mat_f_idsI15__hip_bfloat162Li32ELi13ELi7EEvPKT_PKfPKiS7_S7_Pfiiiiiiiiiiiiii15HIP_vector_typeIjLj3EESA_.numbered_sgpr, max(33, .L_ZL14no_device_codePKciS0_iS0_.numbered_sgpr)
	.set _ZL13mul_mat_f_idsI15__hip_bfloat162Li32ELi13ELi7EEvPKT_PKfPKiS7_S7_Pfiiiiiiiiiiiiii15HIP_vector_typeIjLj3EESA_.num_named_barrier, max(0, .L_ZL14no_device_codePKciS0_iS0_.num_named_barrier)
	.set _ZL13mul_mat_f_idsI15__hip_bfloat162Li32ELi13ELi7EEvPKT_PKfPKiS7_S7_Pfiiiiiiiiiiiiii15HIP_vector_typeIjLj3EESA_.private_seg_size, 0+max(.L_ZL14no_device_codePKciS0_iS0_.private_seg_size)
	.set _ZL13mul_mat_f_idsI15__hip_bfloat162Li32ELi13ELi7EEvPKT_PKfPKiS7_S7_Pfiiiiiiiiiiiiii15HIP_vector_typeIjLj3EESA_.uses_vcc, or(1, .L_ZL14no_device_codePKciS0_iS0_.uses_vcc)
	.set _ZL13mul_mat_f_idsI15__hip_bfloat162Li32ELi13ELi7EEvPKT_PKfPKiS7_S7_Pfiiiiiiiiiiiiii15HIP_vector_typeIjLj3EESA_.uses_flat_scratch, or(0, .L_ZL14no_device_codePKciS0_iS0_.uses_flat_scratch)
	.set _ZL13mul_mat_f_idsI15__hip_bfloat162Li32ELi13ELi7EEvPKT_PKfPKiS7_S7_Pfiiiiiiiiiiiiii15HIP_vector_typeIjLj3EESA_.has_dyn_sized_stack, or(0, .L_ZL14no_device_codePKciS0_iS0_.has_dyn_sized_stack)
	.set _ZL13mul_mat_f_idsI15__hip_bfloat162Li32ELi13ELi7EEvPKT_PKfPKiS7_S7_Pfiiiiiiiiiiiiii15HIP_vector_typeIjLj3EESA_.has_recursion, or(0, .L_ZL14no_device_codePKciS0_iS0_.has_recursion)
	.set _ZL13mul_mat_f_idsI15__hip_bfloat162Li32ELi13ELi7EEvPKT_PKfPKiS7_S7_Pfiiiiiiiiiiiiii15HIP_vector_typeIjLj3EESA_.has_indirect_call, or(0, .L_ZL14no_device_codePKciS0_iS0_.has_indirect_call)
	.section	.AMDGPU.csdata,"",@progbits
; Kernel info:
; codeLenInByte = 76
; TotalNumSgprs: 40
; NumVgprs: 38
; NumAgprs: 0
; TotalNumVgprs: 38
; ScratchSize: 16
; MemoryBound: 0
; FloatMode: 240
; IeeeMode: 1
; LDSByteSize: 0 bytes/workgroup (compile time only)
; SGPRBlocks: 4
; VGPRBlocks: 4
; NumSGPRsForWavesPerEU: 40
; NumVGPRsForWavesPerEU: 38
; AccumOffset: 40
; Occupancy: 8
; WaveLimiterHint : 1
; COMPUTE_PGM_RSRC2:SCRATCH_EN: 1
; COMPUTE_PGM_RSRC2:USER_SGPR: 2
; COMPUTE_PGM_RSRC2:TRAP_HANDLER: 0
; COMPUTE_PGM_RSRC2:TGID_X_EN: 1
; COMPUTE_PGM_RSRC2:TGID_Y_EN: 0
; COMPUTE_PGM_RSRC2:TGID_Z_EN: 0
; COMPUTE_PGM_RSRC2:TIDIG_COMP_CNT: 0
; COMPUTE_PGM_RSRC3_GFX90A:ACCUM_OFFSET: 9
; COMPUTE_PGM_RSRC3_GFX90A:TG_SPLIT: 0
	.section	.text._ZL9mul_mat_fI15__hip_bfloat162Li32ELi13ELi7ELb1EEvPKT_PKfPKiPfiiiiiiiiiiiiiiii,"axG",@progbits,_ZL9mul_mat_fI15__hip_bfloat162Li32ELi13ELi7ELb1EEvPKT_PKfPKiPfiiiiiiiiiiiiiiii,comdat
	.globl	_ZL9mul_mat_fI15__hip_bfloat162Li32ELi13ELi7ELb1EEvPKT_PKfPKiPfiiiiiiiiiiiiiiii ; -- Begin function _ZL9mul_mat_fI15__hip_bfloat162Li32ELi13ELi7ELb1EEvPKT_PKfPKiPfiiiiiiiiiiiiiiii
	.p2align	8
	.type	_ZL9mul_mat_fI15__hip_bfloat162Li32ELi13ELi7ELb1EEvPKT_PKfPKiPfiiiiiiiiiiiiiiii,@function
_ZL9mul_mat_fI15__hip_bfloat162Li32ELi13ELi7ELb1EEvPKT_PKfPKiPfiiiiiiiiiiiiiiii: ; @_ZL9mul_mat_fI15__hip_bfloat162Li32ELi13ELi7ELb1EEvPKT_PKfPKiPfiiiiiiiiiiiiiiii
; %bb.0:
	s_add_u32 s8, s0, 0x60
	s_addc_u32 s9, s1, 0
	s_getpc_b64 s[0:1]
	s_add_u32 s0, s0, __FUNCTION__._ZL9mul_mat_fIfLi32ELi13ELi1ELb1EEvPKT_PKfPKiPfiiiiiiiiiiiiiiii@rel32@lo+4
	s_addc_u32 s1, s1, __FUNCTION__._ZL9mul_mat_fIfLi32ELi13ELi1ELb1EEvPKT_PKfPKiPfiiiiiiiiiiiiiiii@rel32@hi+12
	s_getpc_b64 s[2:3]
	s_add_u32 s2, s2, _ZL14no_device_codePKciS0_iS0_@rel32@lo+4
	s_addc_u32 s3, s3, _ZL14no_device_codePKciS0_iS0_@rel32@hi+12
	v_mov_b32_e32 v0, 64
	v_mov_b32_e32 v1, s0
	;; [unrolled: 1-line block ×3, first 2 shown]
	s_mov_b32 s32, 0
	s_swappc_b64 s[30:31], s[2:3]
	.section	.rodata,"a",@progbits
	.p2align	6, 0x0
	.amdhsa_kernel _ZL9mul_mat_fI15__hip_bfloat162Li32ELi13ELi7ELb1EEvPKT_PKfPKiPfiiiiiiiiiiiiiiii
		.amdhsa_group_segment_fixed_size 0
		.amdhsa_private_segment_fixed_size 16
		.amdhsa_kernarg_size 352
		.amdhsa_user_sgpr_count 2
		.amdhsa_user_sgpr_dispatch_ptr 0
		.amdhsa_user_sgpr_queue_ptr 0
		.amdhsa_user_sgpr_kernarg_segment_ptr 1
		.amdhsa_user_sgpr_dispatch_id 0
		.amdhsa_user_sgpr_kernarg_preload_length 0
		.amdhsa_user_sgpr_kernarg_preload_offset 0
		.amdhsa_user_sgpr_private_segment_size 0
		.amdhsa_uses_dynamic_stack 0
		.amdhsa_enable_private_segment 1
		.amdhsa_system_sgpr_workgroup_id_x 1
		.amdhsa_system_sgpr_workgroup_id_y 0
		.amdhsa_system_sgpr_workgroup_id_z 0
		.amdhsa_system_sgpr_workgroup_info 0
		.amdhsa_system_vgpr_workitem_id 0
		.amdhsa_next_free_vgpr 38
		.amdhsa_next_free_sgpr 34
		.amdhsa_accum_offset 40
		.amdhsa_reserve_vcc 1
		.amdhsa_float_round_mode_32 0
		.amdhsa_float_round_mode_16_64 0
		.amdhsa_float_denorm_mode_32 3
		.amdhsa_float_denorm_mode_16_64 3
		.amdhsa_dx10_clamp 1
		.amdhsa_ieee_mode 1
		.amdhsa_fp16_overflow 0
		.amdhsa_tg_split 0
		.amdhsa_exception_fp_ieee_invalid_op 0
		.amdhsa_exception_fp_denorm_src 0
		.amdhsa_exception_fp_ieee_div_zero 0
		.amdhsa_exception_fp_ieee_overflow 0
		.amdhsa_exception_fp_ieee_underflow 0
		.amdhsa_exception_fp_ieee_inexact 0
		.amdhsa_exception_int_div_zero 0
	.end_amdhsa_kernel
	.section	.text._ZL9mul_mat_fI15__hip_bfloat162Li32ELi13ELi7ELb1EEvPKT_PKfPKiPfiiiiiiiiiiiiiiii,"axG",@progbits,_ZL9mul_mat_fI15__hip_bfloat162Li32ELi13ELi7ELb1EEvPKT_PKfPKiPfiiiiiiiiiiiiiiii,comdat
.Lfunc_end70:
	.size	_ZL9mul_mat_fI15__hip_bfloat162Li32ELi13ELi7ELb1EEvPKT_PKfPKiPfiiiiiiiiiiiiiiii, .Lfunc_end70-_ZL9mul_mat_fI15__hip_bfloat162Li32ELi13ELi7ELb1EEvPKT_PKfPKiPfiiiiiiiiiiiiiiii
                                        ; -- End function
	.set _ZL9mul_mat_fI15__hip_bfloat162Li32ELi13ELi7ELb1EEvPKT_PKfPKiPfiiiiiiiiiiiiiiii.num_vgpr, max(3, .L_ZL14no_device_codePKciS0_iS0_.num_vgpr)
	.set _ZL9mul_mat_fI15__hip_bfloat162Li32ELi13ELi7ELb1EEvPKT_PKfPKiPfiiiiiiiiiiiiiiii.num_agpr, max(0, .L_ZL14no_device_codePKciS0_iS0_.num_agpr)
	.set _ZL9mul_mat_fI15__hip_bfloat162Li32ELi13ELi7ELb1EEvPKT_PKfPKiPfiiiiiiiiiiiiiiii.numbered_sgpr, max(33, .L_ZL14no_device_codePKciS0_iS0_.numbered_sgpr)
	.set _ZL9mul_mat_fI15__hip_bfloat162Li32ELi13ELi7ELb1EEvPKT_PKfPKiPfiiiiiiiiiiiiiiii.num_named_barrier, max(0, .L_ZL14no_device_codePKciS0_iS0_.num_named_barrier)
	.set _ZL9mul_mat_fI15__hip_bfloat162Li32ELi13ELi7ELb1EEvPKT_PKfPKiPfiiiiiiiiiiiiiiii.private_seg_size, 0+max(.L_ZL14no_device_codePKciS0_iS0_.private_seg_size)
	.set _ZL9mul_mat_fI15__hip_bfloat162Li32ELi13ELi7ELb1EEvPKT_PKfPKiPfiiiiiiiiiiiiiiii.uses_vcc, or(1, .L_ZL14no_device_codePKciS0_iS0_.uses_vcc)
	.set _ZL9mul_mat_fI15__hip_bfloat162Li32ELi13ELi7ELb1EEvPKT_PKfPKiPfiiiiiiiiiiiiiiii.uses_flat_scratch, or(0, .L_ZL14no_device_codePKciS0_iS0_.uses_flat_scratch)
	.set _ZL9mul_mat_fI15__hip_bfloat162Li32ELi13ELi7ELb1EEvPKT_PKfPKiPfiiiiiiiiiiiiiiii.has_dyn_sized_stack, or(0, .L_ZL14no_device_codePKciS0_iS0_.has_dyn_sized_stack)
	.set _ZL9mul_mat_fI15__hip_bfloat162Li32ELi13ELi7ELb1EEvPKT_PKfPKiPfiiiiiiiiiiiiiiii.has_recursion, or(0, .L_ZL14no_device_codePKciS0_iS0_.has_recursion)
	.set _ZL9mul_mat_fI15__hip_bfloat162Li32ELi13ELi7ELb1EEvPKT_PKfPKiPfiiiiiiiiiiiiiiii.has_indirect_call, or(0, .L_ZL14no_device_codePKciS0_iS0_.has_indirect_call)
	.section	.AMDGPU.csdata,"",@progbits
; Kernel info:
; codeLenInByte = 72
; TotalNumSgprs: 40
; NumVgprs: 38
; NumAgprs: 0
; TotalNumVgprs: 38
; ScratchSize: 16
; MemoryBound: 0
; FloatMode: 240
; IeeeMode: 1
; LDSByteSize: 0 bytes/workgroup (compile time only)
; SGPRBlocks: 4
; VGPRBlocks: 4
; NumSGPRsForWavesPerEU: 40
; NumVGPRsForWavesPerEU: 38
; AccumOffset: 40
; Occupancy: 8
; WaveLimiterHint : 1
; COMPUTE_PGM_RSRC2:SCRATCH_EN: 1
; COMPUTE_PGM_RSRC2:USER_SGPR: 2
; COMPUTE_PGM_RSRC2:TRAP_HANDLER: 0
; COMPUTE_PGM_RSRC2:TGID_X_EN: 1
; COMPUTE_PGM_RSRC2:TGID_Y_EN: 0
; COMPUTE_PGM_RSRC2:TGID_Z_EN: 0
; COMPUTE_PGM_RSRC2:TIDIG_COMP_CNT: 0
; COMPUTE_PGM_RSRC3_GFX90A:ACCUM_OFFSET: 9
; COMPUTE_PGM_RSRC3_GFX90A:TG_SPLIT: 0
	.section	.text._ZL9mul_mat_fI15__hip_bfloat162Li32ELi13ELi7ELb0EEvPKT_PKfPKiPfiiiiiiiiiiiiiiii,"axG",@progbits,_ZL9mul_mat_fI15__hip_bfloat162Li32ELi13ELi7ELb0EEvPKT_PKfPKiPfiiiiiiiiiiiiiiii,comdat
	.globl	_ZL9mul_mat_fI15__hip_bfloat162Li32ELi13ELi7ELb0EEvPKT_PKfPKiPfiiiiiiiiiiiiiiii ; -- Begin function _ZL9mul_mat_fI15__hip_bfloat162Li32ELi13ELi7ELb0EEvPKT_PKfPKiPfiiiiiiiiiiiiiiii
	.p2align	8
	.type	_ZL9mul_mat_fI15__hip_bfloat162Li32ELi13ELi7ELb0EEvPKT_PKfPKiPfiiiiiiiiiiiiiiii,@function
_ZL9mul_mat_fI15__hip_bfloat162Li32ELi13ELi7ELb0EEvPKT_PKfPKiPfiiiiiiiiiiiiiiii: ; @_ZL9mul_mat_fI15__hip_bfloat162Li32ELi13ELi7ELb0EEvPKT_PKfPKiPfiiiiiiiiiiiiiiii
; %bb.0:
	s_add_u32 s8, s0, 0x60
	s_addc_u32 s9, s1, 0
	s_getpc_b64 s[0:1]
	s_add_u32 s0, s0, __FUNCTION__._ZL9mul_mat_fIfLi32ELi13ELi1ELb1EEvPKT_PKfPKiPfiiiiiiiiiiiiiiii@rel32@lo+4
	s_addc_u32 s1, s1, __FUNCTION__._ZL9mul_mat_fIfLi32ELi13ELi1ELb1EEvPKT_PKfPKiPfiiiiiiiiiiiiiiii@rel32@hi+12
	s_getpc_b64 s[2:3]
	s_add_u32 s2, s2, _ZL14no_device_codePKciS0_iS0_@rel32@lo+4
	s_addc_u32 s3, s3, _ZL14no_device_codePKciS0_iS0_@rel32@hi+12
	v_mov_b32_e32 v0, 64
	v_mov_b32_e32 v1, s0
	;; [unrolled: 1-line block ×3, first 2 shown]
	s_mov_b32 s32, 0
	s_swappc_b64 s[30:31], s[2:3]
	.section	.rodata,"a",@progbits
	.p2align	6, 0x0
	.amdhsa_kernel _ZL9mul_mat_fI15__hip_bfloat162Li32ELi13ELi7ELb0EEvPKT_PKfPKiPfiiiiiiiiiiiiiiii
		.amdhsa_group_segment_fixed_size 0
		.amdhsa_private_segment_fixed_size 16
		.amdhsa_kernarg_size 352
		.amdhsa_user_sgpr_count 2
		.amdhsa_user_sgpr_dispatch_ptr 0
		.amdhsa_user_sgpr_queue_ptr 0
		.amdhsa_user_sgpr_kernarg_segment_ptr 1
		.amdhsa_user_sgpr_dispatch_id 0
		.amdhsa_user_sgpr_kernarg_preload_length 0
		.amdhsa_user_sgpr_kernarg_preload_offset 0
		.amdhsa_user_sgpr_private_segment_size 0
		.amdhsa_uses_dynamic_stack 0
		.amdhsa_enable_private_segment 1
		.amdhsa_system_sgpr_workgroup_id_x 1
		.amdhsa_system_sgpr_workgroup_id_y 0
		.amdhsa_system_sgpr_workgroup_id_z 0
		.amdhsa_system_sgpr_workgroup_info 0
		.amdhsa_system_vgpr_workitem_id 0
		.amdhsa_next_free_vgpr 38
		.amdhsa_next_free_sgpr 34
		.amdhsa_accum_offset 40
		.amdhsa_reserve_vcc 1
		.amdhsa_float_round_mode_32 0
		.amdhsa_float_round_mode_16_64 0
		.amdhsa_float_denorm_mode_32 3
		.amdhsa_float_denorm_mode_16_64 3
		.amdhsa_dx10_clamp 1
		.amdhsa_ieee_mode 1
		.amdhsa_fp16_overflow 0
		.amdhsa_tg_split 0
		.amdhsa_exception_fp_ieee_invalid_op 0
		.amdhsa_exception_fp_denorm_src 0
		.amdhsa_exception_fp_ieee_div_zero 0
		.amdhsa_exception_fp_ieee_overflow 0
		.amdhsa_exception_fp_ieee_underflow 0
		.amdhsa_exception_fp_ieee_inexact 0
		.amdhsa_exception_int_div_zero 0
	.end_amdhsa_kernel
	.section	.text._ZL9mul_mat_fI15__hip_bfloat162Li32ELi13ELi7ELb0EEvPKT_PKfPKiPfiiiiiiiiiiiiiiii,"axG",@progbits,_ZL9mul_mat_fI15__hip_bfloat162Li32ELi13ELi7ELb0EEvPKT_PKfPKiPfiiiiiiiiiiiiiiii,comdat
.Lfunc_end71:
	.size	_ZL9mul_mat_fI15__hip_bfloat162Li32ELi13ELi7ELb0EEvPKT_PKfPKiPfiiiiiiiiiiiiiiii, .Lfunc_end71-_ZL9mul_mat_fI15__hip_bfloat162Li32ELi13ELi7ELb0EEvPKT_PKfPKiPfiiiiiiiiiiiiiiii
                                        ; -- End function
	.set _ZL9mul_mat_fI15__hip_bfloat162Li32ELi13ELi7ELb0EEvPKT_PKfPKiPfiiiiiiiiiiiiiiii.num_vgpr, max(3, .L_ZL14no_device_codePKciS0_iS0_.num_vgpr)
	.set _ZL9mul_mat_fI15__hip_bfloat162Li32ELi13ELi7ELb0EEvPKT_PKfPKiPfiiiiiiiiiiiiiiii.num_agpr, max(0, .L_ZL14no_device_codePKciS0_iS0_.num_agpr)
	.set _ZL9mul_mat_fI15__hip_bfloat162Li32ELi13ELi7ELb0EEvPKT_PKfPKiPfiiiiiiiiiiiiiiii.numbered_sgpr, max(33, .L_ZL14no_device_codePKciS0_iS0_.numbered_sgpr)
	.set _ZL9mul_mat_fI15__hip_bfloat162Li32ELi13ELi7ELb0EEvPKT_PKfPKiPfiiiiiiiiiiiiiiii.num_named_barrier, max(0, .L_ZL14no_device_codePKciS0_iS0_.num_named_barrier)
	.set _ZL9mul_mat_fI15__hip_bfloat162Li32ELi13ELi7ELb0EEvPKT_PKfPKiPfiiiiiiiiiiiiiiii.private_seg_size, 0+max(.L_ZL14no_device_codePKciS0_iS0_.private_seg_size)
	.set _ZL9mul_mat_fI15__hip_bfloat162Li32ELi13ELi7ELb0EEvPKT_PKfPKiPfiiiiiiiiiiiiiiii.uses_vcc, or(1, .L_ZL14no_device_codePKciS0_iS0_.uses_vcc)
	.set _ZL9mul_mat_fI15__hip_bfloat162Li32ELi13ELi7ELb0EEvPKT_PKfPKiPfiiiiiiiiiiiiiiii.uses_flat_scratch, or(0, .L_ZL14no_device_codePKciS0_iS0_.uses_flat_scratch)
	.set _ZL9mul_mat_fI15__hip_bfloat162Li32ELi13ELi7ELb0EEvPKT_PKfPKiPfiiiiiiiiiiiiiiii.has_dyn_sized_stack, or(0, .L_ZL14no_device_codePKciS0_iS0_.has_dyn_sized_stack)
	.set _ZL9mul_mat_fI15__hip_bfloat162Li32ELi13ELi7ELb0EEvPKT_PKfPKiPfiiiiiiiiiiiiiiii.has_recursion, or(0, .L_ZL14no_device_codePKciS0_iS0_.has_recursion)
	.set _ZL9mul_mat_fI15__hip_bfloat162Li32ELi13ELi7ELb0EEvPKT_PKfPKiPfiiiiiiiiiiiiiiii.has_indirect_call, or(0, .L_ZL14no_device_codePKciS0_iS0_.has_indirect_call)
	.section	.AMDGPU.csdata,"",@progbits
; Kernel info:
; codeLenInByte = 72
; TotalNumSgprs: 40
; NumVgprs: 38
; NumAgprs: 0
; TotalNumVgprs: 38
; ScratchSize: 16
; MemoryBound: 0
; FloatMode: 240
; IeeeMode: 1
; LDSByteSize: 0 bytes/workgroup (compile time only)
; SGPRBlocks: 4
; VGPRBlocks: 4
; NumSGPRsForWavesPerEU: 40
; NumVGPRsForWavesPerEU: 38
; AccumOffset: 40
; Occupancy: 8
; WaveLimiterHint : 1
; COMPUTE_PGM_RSRC2:SCRATCH_EN: 1
; COMPUTE_PGM_RSRC2:USER_SGPR: 2
; COMPUTE_PGM_RSRC2:TRAP_HANDLER: 0
; COMPUTE_PGM_RSRC2:TGID_X_EN: 1
; COMPUTE_PGM_RSRC2:TGID_Y_EN: 0
; COMPUTE_PGM_RSRC2:TGID_Z_EN: 0
; COMPUTE_PGM_RSRC2:TIDIG_COMP_CNT: 0
; COMPUTE_PGM_RSRC3_GFX90A:ACCUM_OFFSET: 9
; COMPUTE_PGM_RSRC3_GFX90A:TG_SPLIT: 0
	.section	.text._ZL13mul_mat_f_idsI15__hip_bfloat162Li32ELi13ELi8EEvPKT_PKfPKiS7_S7_Pfiiiiiiiiiiiiii15HIP_vector_typeIjLj3EESA_,"axG",@progbits,_ZL13mul_mat_f_idsI15__hip_bfloat162Li32ELi13ELi8EEvPKT_PKfPKiS7_S7_Pfiiiiiiiiiiiiii15HIP_vector_typeIjLj3EESA_,comdat
	.globl	_ZL13mul_mat_f_idsI15__hip_bfloat162Li32ELi13ELi8EEvPKT_PKfPKiS7_S7_Pfiiiiiiiiiiiiii15HIP_vector_typeIjLj3EESA_ ; -- Begin function _ZL13mul_mat_f_idsI15__hip_bfloat162Li32ELi13ELi8EEvPKT_PKfPKiS7_S7_Pfiiiiiiiiiiiiii15HIP_vector_typeIjLj3EESA_
	.p2align	8
	.type	_ZL13mul_mat_f_idsI15__hip_bfloat162Li32ELi13ELi8EEvPKT_PKfPKiS7_S7_Pfiiiiiiiiiiiiii15HIP_vector_typeIjLj3EESA_,@function
_ZL13mul_mat_f_idsI15__hip_bfloat162Li32ELi13ELi8EEvPKT_PKfPKiS7_S7_Pfiiiiiiiiiiiiii15HIP_vector_typeIjLj3EESA_: ; @_ZL13mul_mat_f_idsI15__hip_bfloat162Li32ELi13ELi8EEvPKT_PKfPKiS7_S7_Pfiiiiiiiiiiiiii15HIP_vector_typeIjLj3EESA_
; %bb.0:
	s_add_u32 s8, s0, 0x80
	s_addc_u32 s9, s1, 0
	s_getpc_b64 s[0:1]
	s_add_u32 s0, s0, __FUNCTION__._ZL13mul_mat_f_idsIfLi32ELi13ELi1EEvPKT_PKfPKiS6_S6_Pfiiiiiiiiiiiiii15HIP_vector_typeIjLj3EES9_@rel32@lo+4
	s_addc_u32 s1, s1, __FUNCTION__._ZL13mul_mat_f_idsIfLi32ELi13ELi1EEvPKT_PKfPKiS6_S6_Pfiiiiiiiiiiiiii15HIP_vector_typeIjLj3EES9_@rel32@hi+12
	s_getpc_b64 s[2:3]
	s_add_u32 s2, s2, _ZL14no_device_codePKciS0_iS0_@rel32@lo+4
	s_addc_u32 s3, s3, _ZL14no_device_codePKciS0_iS0_@rel32@hi+12
	v_mov_b32_e32 v0, 0x13b
	v_mov_b32_e32 v1, s0
	;; [unrolled: 1-line block ×3, first 2 shown]
	s_mov_b32 s32, 0
	s_swappc_b64 s[30:31], s[2:3]
	.section	.rodata,"a",@progbits
	.p2align	6, 0x0
	.amdhsa_kernel _ZL13mul_mat_f_idsI15__hip_bfloat162Li32ELi13ELi8EEvPKT_PKfPKiS7_S7_Pfiiiiiiiiiiiiii15HIP_vector_typeIjLj3EESA_
		.amdhsa_group_segment_fixed_size 0
		.amdhsa_private_segment_fixed_size 16
		.amdhsa_kernarg_size 384
		.amdhsa_user_sgpr_count 2
		.amdhsa_user_sgpr_dispatch_ptr 0
		.amdhsa_user_sgpr_queue_ptr 0
		.amdhsa_user_sgpr_kernarg_segment_ptr 1
		.amdhsa_user_sgpr_dispatch_id 0
		.amdhsa_user_sgpr_kernarg_preload_length 0
		.amdhsa_user_sgpr_kernarg_preload_offset 0
		.amdhsa_user_sgpr_private_segment_size 0
		.amdhsa_uses_dynamic_stack 0
		.amdhsa_enable_private_segment 1
		.amdhsa_system_sgpr_workgroup_id_x 1
		.amdhsa_system_sgpr_workgroup_id_y 0
		.amdhsa_system_sgpr_workgroup_id_z 0
		.amdhsa_system_sgpr_workgroup_info 0
		.amdhsa_system_vgpr_workitem_id 0
		.amdhsa_next_free_vgpr 38
		.amdhsa_next_free_sgpr 34
		.amdhsa_accum_offset 40
		.amdhsa_reserve_vcc 1
		.amdhsa_float_round_mode_32 0
		.amdhsa_float_round_mode_16_64 0
		.amdhsa_float_denorm_mode_32 3
		.amdhsa_float_denorm_mode_16_64 3
		.amdhsa_dx10_clamp 1
		.amdhsa_ieee_mode 1
		.amdhsa_fp16_overflow 0
		.amdhsa_tg_split 0
		.amdhsa_exception_fp_ieee_invalid_op 0
		.amdhsa_exception_fp_denorm_src 0
		.amdhsa_exception_fp_ieee_div_zero 0
		.amdhsa_exception_fp_ieee_overflow 0
		.amdhsa_exception_fp_ieee_underflow 0
		.amdhsa_exception_fp_ieee_inexact 0
		.amdhsa_exception_int_div_zero 0
	.end_amdhsa_kernel
	.section	.text._ZL13mul_mat_f_idsI15__hip_bfloat162Li32ELi13ELi8EEvPKT_PKfPKiS7_S7_Pfiiiiiiiiiiiiii15HIP_vector_typeIjLj3EESA_,"axG",@progbits,_ZL13mul_mat_f_idsI15__hip_bfloat162Li32ELi13ELi8EEvPKT_PKfPKiS7_S7_Pfiiiiiiiiiiiiii15HIP_vector_typeIjLj3EESA_,comdat
.Lfunc_end72:
	.size	_ZL13mul_mat_f_idsI15__hip_bfloat162Li32ELi13ELi8EEvPKT_PKfPKiS7_S7_Pfiiiiiiiiiiiiii15HIP_vector_typeIjLj3EESA_, .Lfunc_end72-_ZL13mul_mat_f_idsI15__hip_bfloat162Li32ELi13ELi8EEvPKT_PKfPKiS7_S7_Pfiiiiiiiiiiiiii15HIP_vector_typeIjLj3EESA_
                                        ; -- End function
	.set _ZL13mul_mat_f_idsI15__hip_bfloat162Li32ELi13ELi8EEvPKT_PKfPKiS7_S7_Pfiiiiiiiiiiiiii15HIP_vector_typeIjLj3EESA_.num_vgpr, max(3, .L_ZL14no_device_codePKciS0_iS0_.num_vgpr)
	.set _ZL13mul_mat_f_idsI15__hip_bfloat162Li32ELi13ELi8EEvPKT_PKfPKiS7_S7_Pfiiiiiiiiiiiiii15HIP_vector_typeIjLj3EESA_.num_agpr, max(0, .L_ZL14no_device_codePKciS0_iS0_.num_agpr)
	.set _ZL13mul_mat_f_idsI15__hip_bfloat162Li32ELi13ELi8EEvPKT_PKfPKiS7_S7_Pfiiiiiiiiiiiiii15HIP_vector_typeIjLj3EESA_.numbered_sgpr, max(33, .L_ZL14no_device_codePKciS0_iS0_.numbered_sgpr)
	.set _ZL13mul_mat_f_idsI15__hip_bfloat162Li32ELi13ELi8EEvPKT_PKfPKiS7_S7_Pfiiiiiiiiiiiiii15HIP_vector_typeIjLj3EESA_.num_named_barrier, max(0, .L_ZL14no_device_codePKciS0_iS0_.num_named_barrier)
	.set _ZL13mul_mat_f_idsI15__hip_bfloat162Li32ELi13ELi8EEvPKT_PKfPKiS7_S7_Pfiiiiiiiiiiiiii15HIP_vector_typeIjLj3EESA_.private_seg_size, 0+max(.L_ZL14no_device_codePKciS0_iS0_.private_seg_size)
	.set _ZL13mul_mat_f_idsI15__hip_bfloat162Li32ELi13ELi8EEvPKT_PKfPKiS7_S7_Pfiiiiiiiiiiiiii15HIP_vector_typeIjLj3EESA_.uses_vcc, or(1, .L_ZL14no_device_codePKciS0_iS0_.uses_vcc)
	.set _ZL13mul_mat_f_idsI15__hip_bfloat162Li32ELi13ELi8EEvPKT_PKfPKiS7_S7_Pfiiiiiiiiiiiiii15HIP_vector_typeIjLj3EESA_.uses_flat_scratch, or(0, .L_ZL14no_device_codePKciS0_iS0_.uses_flat_scratch)
	.set _ZL13mul_mat_f_idsI15__hip_bfloat162Li32ELi13ELi8EEvPKT_PKfPKiS7_S7_Pfiiiiiiiiiiiiii15HIP_vector_typeIjLj3EESA_.has_dyn_sized_stack, or(0, .L_ZL14no_device_codePKciS0_iS0_.has_dyn_sized_stack)
	.set _ZL13mul_mat_f_idsI15__hip_bfloat162Li32ELi13ELi8EEvPKT_PKfPKiS7_S7_Pfiiiiiiiiiiiiii15HIP_vector_typeIjLj3EESA_.has_recursion, or(0, .L_ZL14no_device_codePKciS0_iS0_.has_recursion)
	.set _ZL13mul_mat_f_idsI15__hip_bfloat162Li32ELi13ELi8EEvPKT_PKfPKiS7_S7_Pfiiiiiiiiiiiiii15HIP_vector_typeIjLj3EESA_.has_indirect_call, or(0, .L_ZL14no_device_codePKciS0_iS0_.has_indirect_call)
	.section	.AMDGPU.csdata,"",@progbits
; Kernel info:
; codeLenInByte = 76
; TotalNumSgprs: 40
; NumVgprs: 38
; NumAgprs: 0
; TotalNumVgprs: 38
; ScratchSize: 16
; MemoryBound: 0
; FloatMode: 240
; IeeeMode: 1
; LDSByteSize: 0 bytes/workgroup (compile time only)
; SGPRBlocks: 4
; VGPRBlocks: 4
; NumSGPRsForWavesPerEU: 40
; NumVGPRsForWavesPerEU: 38
; AccumOffset: 40
; Occupancy: 8
; WaveLimiterHint : 1
; COMPUTE_PGM_RSRC2:SCRATCH_EN: 1
; COMPUTE_PGM_RSRC2:USER_SGPR: 2
; COMPUTE_PGM_RSRC2:TRAP_HANDLER: 0
; COMPUTE_PGM_RSRC2:TGID_X_EN: 1
; COMPUTE_PGM_RSRC2:TGID_Y_EN: 0
; COMPUTE_PGM_RSRC2:TGID_Z_EN: 0
; COMPUTE_PGM_RSRC2:TIDIG_COMP_CNT: 0
; COMPUTE_PGM_RSRC3_GFX90A:ACCUM_OFFSET: 9
; COMPUTE_PGM_RSRC3_GFX90A:TG_SPLIT: 0
	.section	.text._ZL9mul_mat_fI15__hip_bfloat162Li32ELi13ELi8ELb1EEvPKT_PKfPKiPfiiiiiiiiiiiiiiii,"axG",@progbits,_ZL9mul_mat_fI15__hip_bfloat162Li32ELi13ELi8ELb1EEvPKT_PKfPKiPfiiiiiiiiiiiiiiii,comdat
	.globl	_ZL9mul_mat_fI15__hip_bfloat162Li32ELi13ELi8ELb1EEvPKT_PKfPKiPfiiiiiiiiiiiiiiii ; -- Begin function _ZL9mul_mat_fI15__hip_bfloat162Li32ELi13ELi8ELb1EEvPKT_PKfPKiPfiiiiiiiiiiiiiiii
	.p2align	8
	.type	_ZL9mul_mat_fI15__hip_bfloat162Li32ELi13ELi8ELb1EEvPKT_PKfPKiPfiiiiiiiiiiiiiiii,@function
_ZL9mul_mat_fI15__hip_bfloat162Li32ELi13ELi8ELb1EEvPKT_PKfPKiPfiiiiiiiiiiiiiiii: ; @_ZL9mul_mat_fI15__hip_bfloat162Li32ELi13ELi8ELb1EEvPKT_PKfPKiPfiiiiiiiiiiiiiiii
; %bb.0:
	s_add_u32 s8, s0, 0x60
	s_addc_u32 s9, s1, 0
	s_getpc_b64 s[0:1]
	s_add_u32 s0, s0, __FUNCTION__._ZL9mul_mat_fIfLi32ELi13ELi1ELb1EEvPKT_PKfPKiPfiiiiiiiiiiiiiiii@rel32@lo+4
	s_addc_u32 s1, s1, __FUNCTION__._ZL9mul_mat_fIfLi32ELi13ELi1ELb1EEvPKT_PKfPKiPfiiiiiiiiiiiiiiii@rel32@hi+12
	s_getpc_b64 s[2:3]
	s_add_u32 s2, s2, _ZL14no_device_codePKciS0_iS0_@rel32@lo+4
	s_addc_u32 s3, s3, _ZL14no_device_codePKciS0_iS0_@rel32@hi+12
	v_mov_b32_e32 v0, 64
	v_mov_b32_e32 v1, s0
	;; [unrolled: 1-line block ×3, first 2 shown]
	s_mov_b32 s32, 0
	s_swappc_b64 s[30:31], s[2:3]
	.section	.rodata,"a",@progbits
	.p2align	6, 0x0
	.amdhsa_kernel _ZL9mul_mat_fI15__hip_bfloat162Li32ELi13ELi8ELb1EEvPKT_PKfPKiPfiiiiiiiiiiiiiiii
		.amdhsa_group_segment_fixed_size 0
		.amdhsa_private_segment_fixed_size 16
		.amdhsa_kernarg_size 352
		.amdhsa_user_sgpr_count 2
		.amdhsa_user_sgpr_dispatch_ptr 0
		.amdhsa_user_sgpr_queue_ptr 0
		.amdhsa_user_sgpr_kernarg_segment_ptr 1
		.amdhsa_user_sgpr_dispatch_id 0
		.amdhsa_user_sgpr_kernarg_preload_length 0
		.amdhsa_user_sgpr_kernarg_preload_offset 0
		.amdhsa_user_sgpr_private_segment_size 0
		.amdhsa_uses_dynamic_stack 0
		.amdhsa_enable_private_segment 1
		.amdhsa_system_sgpr_workgroup_id_x 1
		.amdhsa_system_sgpr_workgroup_id_y 0
		.amdhsa_system_sgpr_workgroup_id_z 0
		.amdhsa_system_sgpr_workgroup_info 0
		.amdhsa_system_vgpr_workitem_id 0
		.amdhsa_next_free_vgpr 38
		.amdhsa_next_free_sgpr 34
		.amdhsa_accum_offset 40
		.amdhsa_reserve_vcc 1
		.amdhsa_float_round_mode_32 0
		.amdhsa_float_round_mode_16_64 0
		.amdhsa_float_denorm_mode_32 3
		.amdhsa_float_denorm_mode_16_64 3
		.amdhsa_dx10_clamp 1
		.amdhsa_ieee_mode 1
		.amdhsa_fp16_overflow 0
		.amdhsa_tg_split 0
		.amdhsa_exception_fp_ieee_invalid_op 0
		.amdhsa_exception_fp_denorm_src 0
		.amdhsa_exception_fp_ieee_div_zero 0
		.amdhsa_exception_fp_ieee_overflow 0
		.amdhsa_exception_fp_ieee_underflow 0
		.amdhsa_exception_fp_ieee_inexact 0
		.amdhsa_exception_int_div_zero 0
	.end_amdhsa_kernel
	.section	.text._ZL9mul_mat_fI15__hip_bfloat162Li32ELi13ELi8ELb1EEvPKT_PKfPKiPfiiiiiiiiiiiiiiii,"axG",@progbits,_ZL9mul_mat_fI15__hip_bfloat162Li32ELi13ELi8ELb1EEvPKT_PKfPKiPfiiiiiiiiiiiiiiii,comdat
.Lfunc_end73:
	.size	_ZL9mul_mat_fI15__hip_bfloat162Li32ELi13ELi8ELb1EEvPKT_PKfPKiPfiiiiiiiiiiiiiiii, .Lfunc_end73-_ZL9mul_mat_fI15__hip_bfloat162Li32ELi13ELi8ELb1EEvPKT_PKfPKiPfiiiiiiiiiiiiiiii
                                        ; -- End function
	.set _ZL9mul_mat_fI15__hip_bfloat162Li32ELi13ELi8ELb1EEvPKT_PKfPKiPfiiiiiiiiiiiiiiii.num_vgpr, max(3, .L_ZL14no_device_codePKciS0_iS0_.num_vgpr)
	.set _ZL9mul_mat_fI15__hip_bfloat162Li32ELi13ELi8ELb1EEvPKT_PKfPKiPfiiiiiiiiiiiiiiii.num_agpr, max(0, .L_ZL14no_device_codePKciS0_iS0_.num_agpr)
	.set _ZL9mul_mat_fI15__hip_bfloat162Li32ELi13ELi8ELb1EEvPKT_PKfPKiPfiiiiiiiiiiiiiiii.numbered_sgpr, max(33, .L_ZL14no_device_codePKciS0_iS0_.numbered_sgpr)
	.set _ZL9mul_mat_fI15__hip_bfloat162Li32ELi13ELi8ELb1EEvPKT_PKfPKiPfiiiiiiiiiiiiiiii.num_named_barrier, max(0, .L_ZL14no_device_codePKciS0_iS0_.num_named_barrier)
	.set _ZL9mul_mat_fI15__hip_bfloat162Li32ELi13ELi8ELb1EEvPKT_PKfPKiPfiiiiiiiiiiiiiiii.private_seg_size, 0+max(.L_ZL14no_device_codePKciS0_iS0_.private_seg_size)
	.set _ZL9mul_mat_fI15__hip_bfloat162Li32ELi13ELi8ELb1EEvPKT_PKfPKiPfiiiiiiiiiiiiiiii.uses_vcc, or(1, .L_ZL14no_device_codePKciS0_iS0_.uses_vcc)
	.set _ZL9mul_mat_fI15__hip_bfloat162Li32ELi13ELi8ELb1EEvPKT_PKfPKiPfiiiiiiiiiiiiiiii.uses_flat_scratch, or(0, .L_ZL14no_device_codePKciS0_iS0_.uses_flat_scratch)
	.set _ZL9mul_mat_fI15__hip_bfloat162Li32ELi13ELi8ELb1EEvPKT_PKfPKiPfiiiiiiiiiiiiiiii.has_dyn_sized_stack, or(0, .L_ZL14no_device_codePKciS0_iS0_.has_dyn_sized_stack)
	.set _ZL9mul_mat_fI15__hip_bfloat162Li32ELi13ELi8ELb1EEvPKT_PKfPKiPfiiiiiiiiiiiiiiii.has_recursion, or(0, .L_ZL14no_device_codePKciS0_iS0_.has_recursion)
	.set _ZL9mul_mat_fI15__hip_bfloat162Li32ELi13ELi8ELb1EEvPKT_PKfPKiPfiiiiiiiiiiiiiiii.has_indirect_call, or(0, .L_ZL14no_device_codePKciS0_iS0_.has_indirect_call)
	.section	.AMDGPU.csdata,"",@progbits
; Kernel info:
; codeLenInByte = 72
; TotalNumSgprs: 40
; NumVgprs: 38
; NumAgprs: 0
; TotalNumVgprs: 38
; ScratchSize: 16
; MemoryBound: 0
; FloatMode: 240
; IeeeMode: 1
; LDSByteSize: 0 bytes/workgroup (compile time only)
; SGPRBlocks: 4
; VGPRBlocks: 4
; NumSGPRsForWavesPerEU: 40
; NumVGPRsForWavesPerEU: 38
; AccumOffset: 40
; Occupancy: 8
; WaveLimiterHint : 1
; COMPUTE_PGM_RSRC2:SCRATCH_EN: 1
; COMPUTE_PGM_RSRC2:USER_SGPR: 2
; COMPUTE_PGM_RSRC2:TRAP_HANDLER: 0
; COMPUTE_PGM_RSRC2:TGID_X_EN: 1
; COMPUTE_PGM_RSRC2:TGID_Y_EN: 0
; COMPUTE_PGM_RSRC2:TGID_Z_EN: 0
; COMPUTE_PGM_RSRC2:TIDIG_COMP_CNT: 0
; COMPUTE_PGM_RSRC3_GFX90A:ACCUM_OFFSET: 9
; COMPUTE_PGM_RSRC3_GFX90A:TG_SPLIT: 0
	.section	.text._ZL9mul_mat_fI15__hip_bfloat162Li32ELi13ELi8ELb0EEvPKT_PKfPKiPfiiiiiiiiiiiiiiii,"axG",@progbits,_ZL9mul_mat_fI15__hip_bfloat162Li32ELi13ELi8ELb0EEvPKT_PKfPKiPfiiiiiiiiiiiiiiii,comdat
	.globl	_ZL9mul_mat_fI15__hip_bfloat162Li32ELi13ELi8ELb0EEvPKT_PKfPKiPfiiiiiiiiiiiiiiii ; -- Begin function _ZL9mul_mat_fI15__hip_bfloat162Li32ELi13ELi8ELb0EEvPKT_PKfPKiPfiiiiiiiiiiiiiiii
	.p2align	8
	.type	_ZL9mul_mat_fI15__hip_bfloat162Li32ELi13ELi8ELb0EEvPKT_PKfPKiPfiiiiiiiiiiiiiiii,@function
_ZL9mul_mat_fI15__hip_bfloat162Li32ELi13ELi8ELb0EEvPKT_PKfPKiPfiiiiiiiiiiiiiiii: ; @_ZL9mul_mat_fI15__hip_bfloat162Li32ELi13ELi8ELb0EEvPKT_PKfPKiPfiiiiiiiiiiiiiiii
; %bb.0:
	s_add_u32 s8, s0, 0x60
	s_addc_u32 s9, s1, 0
	s_getpc_b64 s[0:1]
	s_add_u32 s0, s0, __FUNCTION__._ZL9mul_mat_fIfLi32ELi13ELi1ELb1EEvPKT_PKfPKiPfiiiiiiiiiiiiiiii@rel32@lo+4
	s_addc_u32 s1, s1, __FUNCTION__._ZL9mul_mat_fIfLi32ELi13ELi1ELb1EEvPKT_PKfPKiPfiiiiiiiiiiiiiiii@rel32@hi+12
	s_getpc_b64 s[2:3]
	s_add_u32 s2, s2, _ZL14no_device_codePKciS0_iS0_@rel32@lo+4
	s_addc_u32 s3, s3, _ZL14no_device_codePKciS0_iS0_@rel32@hi+12
	v_mov_b32_e32 v0, 64
	v_mov_b32_e32 v1, s0
	;; [unrolled: 1-line block ×3, first 2 shown]
	s_mov_b32 s32, 0
	s_swappc_b64 s[30:31], s[2:3]
	.section	.rodata,"a",@progbits
	.p2align	6, 0x0
	.amdhsa_kernel _ZL9mul_mat_fI15__hip_bfloat162Li32ELi13ELi8ELb0EEvPKT_PKfPKiPfiiiiiiiiiiiiiiii
		.amdhsa_group_segment_fixed_size 0
		.amdhsa_private_segment_fixed_size 16
		.amdhsa_kernarg_size 352
		.amdhsa_user_sgpr_count 2
		.amdhsa_user_sgpr_dispatch_ptr 0
		.amdhsa_user_sgpr_queue_ptr 0
		.amdhsa_user_sgpr_kernarg_segment_ptr 1
		.amdhsa_user_sgpr_dispatch_id 0
		.amdhsa_user_sgpr_kernarg_preload_length 0
		.amdhsa_user_sgpr_kernarg_preload_offset 0
		.amdhsa_user_sgpr_private_segment_size 0
		.amdhsa_uses_dynamic_stack 0
		.amdhsa_enable_private_segment 1
		.amdhsa_system_sgpr_workgroup_id_x 1
		.amdhsa_system_sgpr_workgroup_id_y 0
		.amdhsa_system_sgpr_workgroup_id_z 0
		.amdhsa_system_sgpr_workgroup_info 0
		.amdhsa_system_vgpr_workitem_id 0
		.amdhsa_next_free_vgpr 38
		.amdhsa_next_free_sgpr 34
		.amdhsa_accum_offset 40
		.amdhsa_reserve_vcc 1
		.amdhsa_float_round_mode_32 0
		.amdhsa_float_round_mode_16_64 0
		.amdhsa_float_denorm_mode_32 3
		.amdhsa_float_denorm_mode_16_64 3
		.amdhsa_dx10_clamp 1
		.amdhsa_ieee_mode 1
		.amdhsa_fp16_overflow 0
		.amdhsa_tg_split 0
		.amdhsa_exception_fp_ieee_invalid_op 0
		.amdhsa_exception_fp_denorm_src 0
		.amdhsa_exception_fp_ieee_div_zero 0
		.amdhsa_exception_fp_ieee_overflow 0
		.amdhsa_exception_fp_ieee_underflow 0
		.amdhsa_exception_fp_ieee_inexact 0
		.amdhsa_exception_int_div_zero 0
	.end_amdhsa_kernel
	.section	.text._ZL9mul_mat_fI15__hip_bfloat162Li32ELi13ELi8ELb0EEvPKT_PKfPKiPfiiiiiiiiiiiiiiii,"axG",@progbits,_ZL9mul_mat_fI15__hip_bfloat162Li32ELi13ELi8ELb0EEvPKT_PKfPKiPfiiiiiiiiiiiiiiii,comdat
.Lfunc_end74:
	.size	_ZL9mul_mat_fI15__hip_bfloat162Li32ELi13ELi8ELb0EEvPKT_PKfPKiPfiiiiiiiiiiiiiiii, .Lfunc_end74-_ZL9mul_mat_fI15__hip_bfloat162Li32ELi13ELi8ELb0EEvPKT_PKfPKiPfiiiiiiiiiiiiiiii
                                        ; -- End function
	.set _ZL9mul_mat_fI15__hip_bfloat162Li32ELi13ELi8ELb0EEvPKT_PKfPKiPfiiiiiiiiiiiiiiii.num_vgpr, max(3, .L_ZL14no_device_codePKciS0_iS0_.num_vgpr)
	.set _ZL9mul_mat_fI15__hip_bfloat162Li32ELi13ELi8ELb0EEvPKT_PKfPKiPfiiiiiiiiiiiiiiii.num_agpr, max(0, .L_ZL14no_device_codePKciS0_iS0_.num_agpr)
	.set _ZL9mul_mat_fI15__hip_bfloat162Li32ELi13ELi8ELb0EEvPKT_PKfPKiPfiiiiiiiiiiiiiiii.numbered_sgpr, max(33, .L_ZL14no_device_codePKciS0_iS0_.numbered_sgpr)
	.set _ZL9mul_mat_fI15__hip_bfloat162Li32ELi13ELi8ELb0EEvPKT_PKfPKiPfiiiiiiiiiiiiiiii.num_named_barrier, max(0, .L_ZL14no_device_codePKciS0_iS0_.num_named_barrier)
	.set _ZL9mul_mat_fI15__hip_bfloat162Li32ELi13ELi8ELb0EEvPKT_PKfPKiPfiiiiiiiiiiiiiiii.private_seg_size, 0+max(.L_ZL14no_device_codePKciS0_iS0_.private_seg_size)
	.set _ZL9mul_mat_fI15__hip_bfloat162Li32ELi13ELi8ELb0EEvPKT_PKfPKiPfiiiiiiiiiiiiiiii.uses_vcc, or(1, .L_ZL14no_device_codePKciS0_iS0_.uses_vcc)
	.set _ZL9mul_mat_fI15__hip_bfloat162Li32ELi13ELi8ELb0EEvPKT_PKfPKiPfiiiiiiiiiiiiiiii.uses_flat_scratch, or(0, .L_ZL14no_device_codePKciS0_iS0_.uses_flat_scratch)
	.set _ZL9mul_mat_fI15__hip_bfloat162Li32ELi13ELi8ELb0EEvPKT_PKfPKiPfiiiiiiiiiiiiiiii.has_dyn_sized_stack, or(0, .L_ZL14no_device_codePKciS0_iS0_.has_dyn_sized_stack)
	.set _ZL9mul_mat_fI15__hip_bfloat162Li32ELi13ELi8ELb0EEvPKT_PKfPKiPfiiiiiiiiiiiiiiii.has_recursion, or(0, .L_ZL14no_device_codePKciS0_iS0_.has_recursion)
	.set _ZL9mul_mat_fI15__hip_bfloat162Li32ELi13ELi8ELb0EEvPKT_PKfPKiPfiiiiiiiiiiiiiiii.has_indirect_call, or(0, .L_ZL14no_device_codePKciS0_iS0_.has_indirect_call)
	.section	.AMDGPU.csdata,"",@progbits
; Kernel info:
; codeLenInByte = 72
; TotalNumSgprs: 40
; NumVgprs: 38
; NumAgprs: 0
; TotalNumVgprs: 38
; ScratchSize: 16
; MemoryBound: 0
; FloatMode: 240
; IeeeMode: 1
; LDSByteSize: 0 bytes/workgroup (compile time only)
; SGPRBlocks: 4
; VGPRBlocks: 4
; NumSGPRsForWavesPerEU: 40
; NumVGPRsForWavesPerEU: 38
; AccumOffset: 40
; Occupancy: 8
; WaveLimiterHint : 1
; COMPUTE_PGM_RSRC2:SCRATCH_EN: 1
; COMPUTE_PGM_RSRC2:USER_SGPR: 2
; COMPUTE_PGM_RSRC2:TRAP_HANDLER: 0
; COMPUTE_PGM_RSRC2:TGID_X_EN: 1
; COMPUTE_PGM_RSRC2:TGID_Y_EN: 0
; COMPUTE_PGM_RSRC2:TGID_Z_EN: 0
; COMPUTE_PGM_RSRC2:TIDIG_COMP_CNT: 0
; COMPUTE_PGM_RSRC3_GFX90A:ACCUM_OFFSET: 9
; COMPUTE_PGM_RSRC3_GFX90A:TG_SPLIT: 0
	.section	.text._ZL13mul_mat_f_idsIfLi64ELi13ELi1EEvPKT_PKfPKiS6_S6_Pfiiiiiiiiiiiiii15HIP_vector_typeIjLj3EES9_,"axG",@progbits,_ZL13mul_mat_f_idsIfLi64ELi13ELi1EEvPKT_PKfPKiS6_S6_Pfiiiiiiiiiiiiii15HIP_vector_typeIjLj3EES9_,comdat
	.globl	_ZL13mul_mat_f_idsIfLi64ELi13ELi1EEvPKT_PKfPKiS6_S6_Pfiiiiiiiiiiiiii15HIP_vector_typeIjLj3EES9_ ; -- Begin function _ZL13mul_mat_f_idsIfLi64ELi13ELi1EEvPKT_PKfPKiS6_S6_Pfiiiiiiiiiiiiii15HIP_vector_typeIjLj3EES9_
	.p2align	8
	.type	_ZL13mul_mat_f_idsIfLi64ELi13ELi1EEvPKT_PKfPKiS6_S6_Pfiiiiiiiiiiiiii15HIP_vector_typeIjLj3EES9_,@function
_ZL13mul_mat_f_idsIfLi64ELi13ELi1EEvPKT_PKfPKiS6_S6_Pfiiiiiiiiiiiiii15HIP_vector_typeIjLj3EES9_: ; @_ZL13mul_mat_f_idsIfLi64ELi13ELi1EEvPKT_PKfPKiS6_S6_Pfiiiiiiiiiiiiii15HIP_vector_typeIjLj3EES9_
; %bb.0:
	s_load_dwordx2 s[6:7], s[0:1], 0x20
	s_mov_b32 s34, s3
	s_ashr_i32 s35, s3, 31
	s_lshl_b64 s[8:9], s[34:35], 2
	s_waitcnt lgkmcnt(0)
	s_add_u32 s6, s6, s8
	s_addc_u32 s7, s7, s9
	s_load_dwordx2 s[28:29], s[6:7], 0x0
	s_waitcnt lgkmcnt(0)
	s_sub_i32 s26, s29, s28
	s_add_i32 s3, s26, 12
	s_mul_hi_i32 s3, s3, 0x4ec4ec4f
	s_lshr_b32 s5, s3, 31
	s_ashr_i32 s3, s3, 2
	s_add_i32 s3, s3, s5
	s_cmp_ge_i32 s4, s3
	s_cbranch_scc1 .LBB75_85
; %bb.1:
	v_bfe_u32 v2, v0, 10, 10
	v_lshlrev_b32_e32 v70, 6, v2
	v_and_b32_e32 v3, 0x3ff, v0
	s_load_dwordx4 s[12:15], s[0:1], 0x30
	s_load_dwordx2 s[20:21], s[0:1], 0x40
	s_load_dwordx4 s[8:11], s[0:1], 0x4c
	s_load_dwordx4 s[16:19], s[0:1], 0x68
	s_load_dwordx2 s[24:25], s[0:1], 0x78
	v_or_b32_e32 v72, v70, v3
	s_ashr_i32 s29, s28, 31
	s_waitcnt lgkmcnt(0)
	v_cmp_le_i32_e32 vcc, s12, v72
	v_and_b32_e32 v0, 15, v3
                                        ; implicit-def: $vgpr71
	s_and_saveexec_b64 s[6:7], vcc
	s_xor_b64 s[6:7], exec, s[6:7]
; %bb.2:
	v_mul_u32_u24_e32 v71, 0x108, v0
                                        ; implicit-def: $vgpr72
                                        ; implicit-def: $vgpr0
; %bb.3:
	s_or_saveexec_b64 s[30:31], s[6:7]
	s_load_dwordx2 s[22:23], s[0:1], 0x18
	s_load_dwordx2 s[6:7], s[0:1], 0x28
                                        ; implicit-def: $vgpr90 : SGPR spill to VGPR lane
	s_lshl_b32 s3, s2, 6
	s_mul_i32 s2, s4, 13
	v_mov_b32_e32 v1, 0
	v_accvgpr_write_b32 a0, 0
	s_waitcnt lgkmcnt(0)
	v_writelane_b32 v90, s6, 0
	v_accvgpr_write_b32 a1, 0
	v_accvgpr_write_b32 a2, 0
	;; [unrolled: 1-line block ×15, first 2 shown]
	v_writelane_b32 v90, s7, 1
	s_xor_b64 exec, exec, s[30:31]
	s_cbranch_execz .LBB75_46
; %bb.4:
	v_writelane_b32 v90, s30, 2
	v_mul_u32_u24_e32 v71, 0x108, v0
	v_lshrrev_b32_e32 v0, 1, v3
	v_writelane_b32 v90, s31, 3
	v_writelane_b32 v90, s22, 4
	v_and_b32_e32 v0, 0x1f8, v0
	v_lshlrev_b32_e32 v4, 2, v3
	v_writelane_b32 v90, s23, 5
	s_load_dwordx4 s[4:7], s[0:1], 0x0
	s_load_dwordx2 s[22:23], s[0:1], 0x10
	s_mul_i32 s0, s8, s34
	s_ashr_i32 s1, s0, 31
	v_writelane_b32 v90, s24, 6
	s_lshl_b64 s[64:65], s[0:1], 2
	s_waitcnt lgkmcnt(0)
	s_add_u32 s0, s4, s64
	v_writelane_b32 v90, s25, 7
	s_mul_i32 s24, s15, s3
	s_addc_u32 s1, s5, s65
	s_ashr_i32 s25, s24, 31
	s_lshl_b64 s[66:67], s[24:25], 2
	v_writelane_b32 v90, s3, 8
	s_add_u32 s0, s0, s66
	s_addc_u32 s1, s1, s67
	v_writelane_b32 v90, s28, 9
	s_lshl_b64 s[24:25], s[28:29], 2
	s_add_u32 s8, s22, s24
	s_addc_u32 s11, s23, s25
	s_cmp_lt_i32 s2, s26
	v_writelane_b32 v90, s29, 10
	s_movk_i32 s3, 0x1080
	s_cselect_b64 s[22:23], -1, 0
	v_mad_u32_u24 v5, v2, s3, 0
	v_writelane_b32 v90, s22, 11
	s_ashr_i32 s3, s2, 31
	v_add3_u32 v74, v5, v71, v0
	v_writelane_b32 v90, s23, 12
	s_lshl_b64 s[22:23], s[2:3], 2
	s_add_u32 s36, s8, s22
	s_addc_u32 s37, s11, s23
	s_add_i32 s3, s2, 1
	s_cmp_lt_i32 s3, s26
	s_cselect_b64 s[22:23], -1, 0
	s_add_i32 s3, s2, 2
	v_writelane_b32 v90, s22, 13
	s_cmp_lt_i32 s3, s26
	v_lshlrev_b32_e32 v0, 8, v2
	v_writelane_b32 v90, s23, 14
	s_cselect_b64 s[22:23], -1, 0
	s_add_i32 s3, s2, 3
	v_writelane_b32 v90, s22, 15
	s_cmp_lt_i32 s3, s26
	v_add_u32_e32 v73, v5, v4
	v_writelane_b32 v90, s23, 16
	s_cselect_b64 s[22:23], -1, 0
	s_add_i32 s3, s2, 4
	v_writelane_b32 v90, s22, 17
	s_cmp_lt_i32 s3, s26
	v_mov_b32_e32 v5, v1
	v_writelane_b32 v90, s23, 18
	s_cselect_b64 s[22:23], -1, 0
	s_add_i32 s3, s2, 5
	v_writelane_b32 v90, s22, 19
	s_cmp_lt_i32 s3, s26
	s_mul_i32 s8, s15, 3
	v_writelane_b32 v90, s23, 20
	s_cselect_b64 s[22:23], -1, 0
	s_add_i32 s3, s2, 6
	s_cmp_lt_i32 s3, s26
	s_cselect_b64 s[48:49], -1, 0
	s_add_i32 s3, s2, 7
	s_cmp_lt_i32 s3, s26
	;; [unrolled: 3-line block ×6, first 2 shown]
	s_cselect_b64 s[58:59], -1, 0
	s_add_i32 s3, s2, 12
	v_writelane_b32 v90, s22, 21
	s_cmp_lt_i32 s3, s26
	s_cselect_b64 s[60:61], -1, 0
	v_writelane_b32 v90, s23, 22
	s_ashr_i32 s23, s15, 31
	s_mov_b32 s22, s15
	s_add_i32 s3, s15, s15
	s_lshl_b32 s68, s15, 2
	s_lshl_b32 s72, s15, 3
	;; [unrolled: 1-line block ×4, first 2 shown]
	s_lshl_b64 s[62:63], s[22:23], 2
	s_add_u32 s22, s64, s66
	s_addc_u32 s23, s65, s67
	v_lshl_add_u64 v[6:7], s[22:23], 0, v[0:1]
	v_lshl_add_u64 v[4:5], v[6:7], 0, v[4:5]
	v_writelane_b32 v90, s26, 23
	s_mul_i32 s69, s15, 5
	s_mul_i32 s70, s15, 6
	;; [unrolled: 1-line block ×22, first 2 shown]
	v_accvgpr_write_b32 a15, 0
	v_accvgpr_write_b32 a14, 0
	;; [unrolled: 1-line block ×16, first 2 shown]
	v_lshl_add_u64 v[4:5], s[4:5], 0, v[4:5]
	s_mul_i32 s90, s15, 29
	s_mul_i32 s91, s15, 30
	;; [unrolled: 1-line block ×34, first 2 shown]
	s_mov_b64 s[4:5], 0
	s_branch .LBB75_6
.LBB75_5:                               ;   in Loop: Header=BB75_6 Depth=1
	s_waitcnt vmcnt(0)
	ds_write2_b32 v73, v0, v76 offset1:66
	ds_write2_b32 v73, v75, v78 offset0:132 offset1:198
	v_add_u32_e32 v0, 0x400, v73
	ds_write2_b32 v0, v77, v80 offset0:8 offset1:74
	ds_write2_b32 v0, v79, v82 offset0:140 offset1:206
	v_add_u32_e32 v0, 0x800, v73
	ds_write2_b32 v0, v81, v84 offset0:16 offset1:82
	;; [unrolled: 3-line block ×3, first 2 shown]
	ds_write2_b32 v0, v1, v1 offset0:156 offset1:222
	ds_read2_b64 v[76:79], v74 offset1:4
	v_add_u32_e32 v72, 64, v72
	s_waitcnt lgkmcnt(0)
	v_mfma_f32_16x16x4_f32 a[12:15], v12, v76, a[12:15]
	s_mov_b64 vcc, 0x100
	v_lshl_add_u64 v[4:5], v[4:5], 0, vcc
	v_cmp_le_i32_e32 vcc, s12, v72
	s_or_b64 s[4:5], vcc, s[4:5]
	v_mfma_f32_16x16x4_f32 a[8:11], v46, v76, a[8:11]
	v_mfma_f32_16x16x4_f32 a[4:7], v56, v76, a[4:7]
	;; [unrolled: 1-line block ×12, first 2 shown]
	ds_read2_b64 v[10:13], v74 offset0:8 offset1:12
	v_mfma_f32_16x16x4_f32 a[8:11], v43, v79, a[8:11]
	v_mfma_f32_16x16x4_f32 a[4:7], v53, v79, a[4:7]
	;; [unrolled: 1-line block ×3, first 2 shown]
	s_waitcnt lgkmcnt(0)
	v_mfma_f32_16x16x4_f32 a[12:15], v8, v10, a[12:15]
	v_mfma_f32_16x16x4_f32 a[8:11], v38, v10, a[8:11]
	;; [unrolled: 1-line block ×13, first 2 shown]
	ds_read2_b64 v[6:9], v74 offset0:16 offset1:20
	v_mfma_f32_16x16x4_f32 a[8:11], v35, v13, a[8:11]
	v_mfma_f32_16x16x4_f32 a[4:7], v45, v13, a[4:7]
	;; [unrolled: 1-line block ×3, first 2 shown]
	s_waitcnt lgkmcnt(0)
	v_mfma_f32_16x16x4_f32 a[12:15], v22, v6, a[12:15]
	v_mfma_f32_16x16x4_f32 a[8:11], v30, v6, a[8:11]
	;; [unrolled: 1-line block ×16, first 2 shown]
	ds_read2_b64 v[6:9], v74 offset0:24 offset1:28
	s_waitcnt lgkmcnt(0)
	v_mfma_f32_16x16x4_f32 a[12:15], v16, v6, a[12:15]
	v_mfma_f32_16x16x4_f32 a[8:11], v24, v6, a[8:11]
	;; [unrolled: 1-line block ×16, first 2 shown]
	s_andn2_b64 exec, exec, s[4:5]
	s_cbranch_execz .LBB75_45
.LBB75_6:                               ; =>This Inner Loop Header: Depth=1
	v_lshl_add_u64 v[6:7], v[4:5], 0, s[62:63]
	global_load_dword v0, v[4:5], off
	global_load_dword v22, v[6:7], off
	v_add_u32_e32 v6, s3, v72
	v_add_u32_e32 v10, s68, v72
	;; [unrolled: 1-line block ×4, first 2 shown]
	v_ashrrev_i32_e32 v7, 31, v6
	v_add_u32_e32 v8, s8, v72
	v_ashrrev_i32_e32 v11, 31, v10
	v_ashrrev_i32_e32 v13, 31, v12
	v_add_u32_e32 v14, s70, v72
	v_add_u32_e32 v16, s71, v72
	v_ashrrev_i32_e32 v19, 31, v18
	v_add_u32_e32 v20, s73, v72
	v_lshl_add_u64 v[6:7], v[6:7], 2, s[0:1]
	v_ashrrev_i32_e32 v9, 31, v8
	v_lshl_add_u64 v[10:11], v[10:11], 2, s[0:1]
	v_lshl_add_u64 v[12:13], v[12:13], 2, s[0:1]
	v_ashrrev_i32_e32 v15, 31, v14
	v_ashrrev_i32_e32 v17, 31, v16
	v_lshl_add_u64 v[18:19], v[18:19], 2, s[0:1]
	v_ashrrev_i32_e32 v21, 31, v20
	v_lshl_add_u64 v[8:9], v[8:9], 2, s[0:1]
	v_lshl_add_u64 v[14:15], v[14:15], 2, s[0:1]
	;; [unrolled: 1-line block ×4, first 2 shown]
	global_load_dword v23, v[6:7], off
	global_load_dword v24, v[8:9], off
	;; [unrolled: 1-line block ×6, first 2 shown]
	s_nop 0
	global_load_dword v18, v[18:19], off
	s_nop 0
	global_load_dword v19, v[20:21], off
	v_add_u32_e32 v6, s74, v72
	v_add_u32_e32 v10, s76, v72
	v_add_u32_e32 v12, s77, v72
	v_ashrrev_i32_e32 v7, 31, v6
	v_add_u32_e32 v8, s75, v72
	v_ashrrev_i32_e32 v11, 31, v10
	v_ashrrev_i32_e32 v13, 31, v12
	v_add_u32_e32 v14, s78, v72
	v_add_u32_e32 v16, s79, v72
	v_lshl_add_u64 v[6:7], v[6:7], 2, s[0:1]
	v_ashrrev_i32_e32 v9, 31, v8
	v_lshl_add_u64 v[10:11], v[10:11], 2, s[0:1]
	v_lshl_add_u64 v[12:13], v[12:13], 2, s[0:1]
	v_ashrrev_i32_e32 v15, 31, v14
	v_ashrrev_i32_e32 v17, 31, v16
	v_lshl_add_u64 v[8:9], v[8:9], 2, s[0:1]
	v_lshl_add_u64 v[14:15], v[14:15], 2, s[0:1]
	;; [unrolled: 1-line block ×3, first 2 shown]
	global_load_dword v20, v[6:7], off
	global_load_dword v21, v[8:9], off
	s_nop 0
	global_load_dword v10, v[10:11], off
	s_nop 0
	;; [unrolled: 2-line block ×3, first 2 shown]
	global_load_dword v12, v[14:15], off
	global_load_dword v13, v[16:17], off
	v_add_u32_e32 v6, s80, v72
	v_add_u32_e32 v8, s81, v72
	v_ashrrev_i32_e32 v7, 31, v6
	v_ashrrev_i32_e32 v9, 31, v8
	v_lshl_add_u64 v[6:7], v[6:7], 2, s[0:1]
	v_add_u32_e32 v14, s82, v72
	v_lshl_add_u64 v[8:9], v[8:9], 2, s[0:1]
	global_load_dword v30, v[6:7], off
	global_load_dword v31, v[8:9], off
	v_ashrrev_i32_e32 v15, 31, v14
	v_add_u32_e32 v16, s83, v72
	v_lshl_add_u64 v[14:15], v[14:15], 2, s[0:1]
	v_ashrrev_i32_e32 v17, 31, v16
	v_lshl_add_u64 v[16:17], v[16:17], 2, s[0:1]
	v_readlane_b32 vcc_lo, v90, 11
	v_readlane_b32 vcc_hi, v90, 12
	s_andn2_b64 vcc, exec, vcc
	s_waitcnt vmcnt(17)
	ds_write_b32 v73, v0
	s_waitcnt vmcnt(16)
	ds_write_b32 v73, v22 offset:264
	s_waitcnt vmcnt(15)
	ds_write_b32 v73, v23 offset:528
	;; [unrolled: 2-line block ×15, first 2 shown]
	v_add_u32_e32 v18, s84, v72
	v_add_u32_e32 v20, s64, v72
	;; [unrolled: 1-line block ×6, first 2 shown]
	v_ashrrev_i32_e32 v19, 31, v18
	v_ashrrev_i32_e32 v21, 31, v20
	;; [unrolled: 1-line block ×6, first 2 shown]
	ds_read_b64 v[12:13], v74
	ds_read_b64 v[10:11], v74 offset:32
	ds_read_b64 v[8:9], v74 offset:64
	;; [unrolled: 1-line block ×3, first 2 shown]
	v_lshl_add_u64 v[18:19], v[18:19], 2, s[0:1]
	v_lshl_add_u64 v[20:21], v[20:21], 2, s[0:1]
	v_lshl_add_u64 v[22:23], v[22:23], 2, s[0:1]
	v_lshl_add_u64 v[24:25], v[24:25], 2, s[0:1]
	v_lshl_add_u64 v[26:27], v[26:27], 2, s[0:1]
	v_lshl_add_u64 v[28:29], v[28:29], 2, s[0:1]
	global_load_dword v0, v[14:15], off
	global_load_dword v32, v[16:17], off
	global_load_dword v33, v[18:19], off
	global_load_dword v34, v[20:21], off
	global_load_dword v35, v[22:23], off
	global_load_dword v36, v[24:25], off
	global_load_dword v37, v[26:27], off
	global_load_dword v38, v[28:29], off
	v_add_u32_e32 v14, s87, v72
	v_ashrrev_i32_e32 v15, 31, v14
	v_add_u32_e32 v16, s88, v72
	v_add_u32_e32 v18, s89, v72
	v_add_u32_e32 v20, s90, v72
	v_add_u32_e32 v22, s91, v72
	v_add_u32_e32 v24, s92, v72
	v_add_u32_e32 v26, s85, v72
	v_add_u32_e32 v28, s93, v72
	v_lshl_add_u64 v[14:15], v[14:15], 2, s[0:1]
	v_ashrrev_i32_e32 v17, 31, v16
	v_ashrrev_i32_e32 v19, 31, v18
	v_ashrrev_i32_e32 v21, 31, v20
	v_ashrrev_i32_e32 v23, 31, v22
	v_ashrrev_i32_e32 v25, 31, v24
	v_ashrrev_i32_e32 v27, 31, v26
	v_ashrrev_i32_e32 v29, 31, v28
	v_lshl_add_u64 v[16:17], v[16:17], 2, s[0:1]
	v_lshl_add_u64 v[18:19], v[18:19], 2, s[0:1]
	v_lshl_add_u64 v[20:21], v[20:21], 2, s[0:1]
	v_lshl_add_u64 v[22:23], v[22:23], 2, s[0:1]
	v_lshl_add_u64 v[24:25], v[24:25], 2, s[0:1]
	v_lshl_add_u64 v[26:27], v[26:27], 2, s[0:1]
	v_lshl_add_u64 v[28:29], v[28:29], 2, s[0:1]
	global_load_dword v39, v[14:15], off
	global_load_dword v40, v[16:17], off
	global_load_dword v41, v[18:19], off
	global_load_dword v42, v[20:21], off
	global_load_dword v43, v[22:23], off
	global_load_dword v44, v[24:25], off
	global_load_dword v45, v[26:27], off
	global_load_dword v48, v[28:29], off
	v_add_u32_e32 v14, s94, v72
	v_ashrrev_i32_e32 v15, 31, v14
	v_add_u32_e32 v16, s95, v72
	v_add_u32_e32 v18, s96, v72
	v_add_u32_e32 v20, s97, v72
	v_add_u32_e32 v22, s98, v72
	v_add_u32_e32 v24, s99, v72
	v_add_u32_e32 v26, s11, v72
	v_add_u32_e32 v28, s28, v72
	v_lshl_add_u64 v[14:15], v[14:15], 2, s[0:1]
	v_ashrrev_i32_e32 v17, 31, v16
	v_ashrrev_i32_e32 v19, 31, v18
	v_ashrrev_i32_e32 v21, 31, v20
	v_ashrrev_i32_e32 v23, 31, v22
	v_ashrrev_i32_e32 v25, 31, v24
	v_ashrrev_i32_e32 v27, 31, v26
	v_ashrrev_i32_e32 v29, 31, v28
	v_lshl_add_u64 v[16:17], v[16:17], 2, s[0:1]
	;; [unrolled: 32-line block ×4, first 2 shown]
	v_lshl_add_u64 v[18:19], v[18:19], 2, s[0:1]
	v_lshl_add_u64 v[20:21], v[20:21], 2, s[0:1]
	;; [unrolled: 1-line block ×6, first 2 shown]
	global_load_dword v65, v[14:15], off
	global_load_dword v66, v[16:17], off
	;; [unrolled: 1-line block ×8, first 2 shown]
	v_add_u32_e32 v14, s42, v72
	v_ashrrev_i32_e32 v15, 31, v14
	v_add_u32_e32 v16, s43, v72
	v_add_u32_e32 v18, s44, v72
	;; [unrolled: 1-line block ×5, first 2 shown]
	v_lshl_add_u64 v[14:15], v[14:15], 2, s[0:1]
	v_ashrrev_i32_e32 v17, 31, v16
	v_ashrrev_i32_e32 v19, 31, v18
	;; [unrolled: 1-line block ×5, first 2 shown]
	v_lshl_add_u64 v[16:17], v[16:17], 2, s[0:1]
	v_lshl_add_u64 v[18:19], v[18:19], 2, s[0:1]
	;; [unrolled: 1-line block ×5, first 2 shown]
	global_load_dword v78, v[14:15], off
	global_load_dword v79, v[16:17], off
	;; [unrolled: 1-line block ×6, first 2 shown]
	ds_read_b64 v[22:23], v74 offset:128
	ds_read_b64 v[18:19], v74 offset:160
	ds_read_b64 v[16:17], v74 offset:192
	ds_read_b64 v[14:15], v74 offset:224
	s_waitcnt vmcnt(47)
	ds_write_b32 v73, v30
	s_waitcnt vmcnt(46)
	ds_write_b32 v73, v31 offset:264
	s_waitcnt vmcnt(45)
	ds_write_b32 v73, v0 offset:528
	s_waitcnt vmcnt(44)
	ds_write_b32 v73, v32 offset:792
	s_waitcnt vmcnt(43)
	ds_write_b32 v73, v33 offset:1056
	s_waitcnt vmcnt(42)
	ds_write_b32 v73, v34 offset:1320
	s_waitcnt vmcnt(41)
	ds_write_b32 v73, v35 offset:1584
	s_waitcnt vmcnt(40)
	ds_write_b32 v73, v36 offset:1848
	s_waitcnt vmcnt(39)
	ds_write_b32 v73, v37 offset:2112
	s_waitcnt vmcnt(38)
	ds_write_b32 v73, v38 offset:2376
	s_waitcnt vmcnt(37)
	ds_write_b32 v73, v39 offset:2640
	s_waitcnt vmcnt(36)
	ds_write_b32 v73, v40 offset:2904
	s_waitcnt vmcnt(35)
	ds_write_b32 v73, v41 offset:3168
	s_waitcnt vmcnt(34)
	ds_write_b32 v73, v42 offset:3432
	s_waitcnt vmcnt(33)
	ds_write_b32 v73, v43 offset:3696
	s_waitcnt vmcnt(32)
	ds_write_b32 v73, v44 offset:3960
	ds_read_b64 v[46:47], v74
	ds_read_b64 v[42:43], v74 offset:32
	ds_read_b64 v[38:39], v74 offset:64
	ds_read_b64 v[34:35], v74 offset:96
	ds_read_b64 v[30:31], v74 offset:128
	ds_read_b64 v[26:27], v74 offset:160
	ds_read_b64 v[24:25], v74 offset:192
	ds_read_b64 v[20:21], v74 offset:224
	s_waitcnt vmcnt(31)
	ds_write_b32 v73, v45
	s_waitcnt vmcnt(30)
	ds_write_b32 v73, v48 offset:264
	s_waitcnt vmcnt(29)
	ds_write_b32 v73, v49 offset:528
	s_waitcnt vmcnt(28)
	ds_write_b32 v73, v50 offset:792
	s_waitcnt vmcnt(27)
	ds_write_b32 v73, v51 offset:1056
	s_waitcnt vmcnt(26)
	ds_write_b32 v73, v52 offset:1320
	s_waitcnt vmcnt(25)
	ds_write_b32 v73, v53 offset:1584
	s_waitcnt vmcnt(24)
	ds_write_b32 v73, v54 offset:1848
	s_waitcnt vmcnt(23)
	ds_write_b32 v73, v55 offset:2112
	s_waitcnt vmcnt(22)
	ds_write_b32 v73, v56 offset:2376
	s_waitcnt vmcnt(21)
	ds_write_b32 v73, v57 offset:2640
	s_waitcnt vmcnt(20)
	ds_write_b32 v73, v58 offset:2904
	s_waitcnt vmcnt(19)
	ds_write_b32 v73, v59 offset:3168
	s_waitcnt vmcnt(18)
	ds_write_b32 v73, v60 offset:3432
	s_waitcnt vmcnt(17)
	ds_write_b32 v73, v61 offset:3696
	s_waitcnt vmcnt(16)
	ds_write_b32 v73, v62 offset:3960
	ds_read_b64 v[56:57], v74
	ds_read_b64 v[52:53], v74 offset:32
	ds_read_b64 v[50:51], v74 offset:64
	ds_read_b64 v[44:45], v74 offset:96
	;; [unrolled: 40-line block ×3, first 2 shown]
	ds_read_b64 v[60:61], v74 offset:128
	ds_read_b64 v[58:59], v74 offset:160
	;; [unrolled: 1-line block ×4, first 2 shown]
	v_mov_b32_e32 v0, 0
	s_cbranch_vccnz .LBB75_9
; %bb.7:                                ;   in Loop: Header=BB75_6 Depth=1
	s_load_dword s47, s[36:37], 0x0
	v_mov_b32_e32 v0, 0
	s_waitcnt lgkmcnt(0)
	s_mul_hi_u32 vcc_lo, s47, s16
	s_add_i32 vcc_lo, s47, vcc_lo
	s_lshr_b32 vcc_lo, vcc_lo, s17
	s_cmp_ge_i32 vcc_lo, s13
	s_cbranch_scc1 .LBB75_9
; %bb.8:                                ;   in Loop: Header=BB75_6 Depth=1
	s_mul_i32 vcc_hi, vcc_lo, s18
	s_sub_i32 s47, s47, vcc_hi
	s_mul_i32 s47, s47, s9
	s_mul_i32 vcc_lo, vcc_lo, s20
	s_add_i32 vcc_lo, vcc_lo, s47
	v_add_u32_e32 v76, vcc_lo, v72
	v_ashrrev_i32_e32 v77, 31, v76
	v_lshl_add_u64 v[76:77], v[76:77], 2, s[6:7]
	global_load_dword v0, v[76:77], off
.LBB75_9:                               ;   in Loop: Header=BB75_6 Depth=1
	v_readlane_b32 vcc_lo, v90, 13
	v_readlane_b32 vcc_hi, v90, 14
	v_mov_b32_e32 v75, 0
	s_andn2_b64 vcc, exec, vcc
	v_mov_b32_e32 v76, 0
	s_cbranch_vccnz .LBB75_12
; %bb.10:                               ;   in Loop: Header=BB75_6 Depth=1
	s_load_dword s47, s[36:37], 0x4
	v_mov_b32_e32 v76, 0
	s_waitcnt lgkmcnt(0)
	s_mul_hi_u32 vcc_lo, s47, s16
	s_add_i32 vcc_lo, s47, vcc_lo
	s_lshr_b32 vcc_lo, vcc_lo, s17
	s_cmp_ge_i32 vcc_lo, s13
	s_cbranch_scc1 .LBB75_12
; %bb.11:                               ;   in Loop: Header=BB75_6 Depth=1
	s_mul_i32 vcc_hi, vcc_lo, s18
	s_sub_i32 s47, s47, vcc_hi
	s_mul_i32 s47, s47, s9
	s_mul_i32 vcc_lo, vcc_lo, s20
	s_add_i32 vcc_lo, vcc_lo, s47
	v_add_u32_e32 v76, vcc_lo, v72
	v_ashrrev_i32_e32 v77, 31, v76
	v_lshl_add_u64 v[76:77], v[76:77], 2, s[6:7]
	global_load_dword v76, v[76:77], off
.LBB75_12:                              ;   in Loop: Header=BB75_6 Depth=1
	v_readlane_b32 vcc_lo, v90, 15
	v_readlane_b32 vcc_hi, v90, 16
	s_andn2_b64 vcc, exec, vcc
	s_cbranch_vccnz .LBB75_15
; %bb.13:                               ;   in Loop: Header=BB75_6 Depth=1
	s_load_dword s47, s[36:37], 0x8
	v_mov_b32_e32 v75, 0
	s_waitcnt lgkmcnt(0)
	s_mul_hi_u32 vcc_lo, s47, s16
	s_add_i32 vcc_lo, s47, vcc_lo
	s_lshr_b32 vcc_lo, vcc_lo, s17
	s_cmp_ge_i32 vcc_lo, s13
	s_cbranch_scc1 .LBB75_15
; %bb.14:                               ;   in Loop: Header=BB75_6 Depth=1
	s_mul_i32 vcc_hi, vcc_lo, s18
	s_sub_i32 s47, s47, vcc_hi
	s_mul_i32 s47, s47, s9
	s_mul_i32 vcc_lo, vcc_lo, s20
	s_add_i32 vcc_lo, vcc_lo, s47
	v_add_u32_e32 v78, vcc_lo, v72
	v_ashrrev_i32_e32 v79, 31, v78
	v_lshl_add_u64 v[78:79], v[78:79], 2, s[6:7]
	global_load_dword v75, v[78:79], off
.LBB75_15:                              ;   in Loop: Header=BB75_6 Depth=1
	v_readlane_b32 vcc_lo, v90, 17
	v_readlane_b32 vcc_hi, v90, 18
	v_mov_b32_e32 v77, 0
	s_andn2_b64 vcc, exec, vcc
	v_mov_b32_e32 v78, 0
	s_cbranch_vccnz .LBB75_18
; %bb.16:                               ;   in Loop: Header=BB75_6 Depth=1
	s_load_dword s47, s[36:37], 0xc
	v_mov_b32_e32 v78, 0
	s_waitcnt lgkmcnt(0)
	s_mul_hi_u32 vcc_lo, s47, s16
	s_add_i32 vcc_lo, s47, vcc_lo
	s_lshr_b32 vcc_lo, vcc_lo, s17
	s_cmp_ge_i32 vcc_lo, s13
	s_cbranch_scc1 .LBB75_18
; %bb.17:                               ;   in Loop: Header=BB75_6 Depth=1
	s_mul_i32 vcc_hi, vcc_lo, s18
	s_sub_i32 s47, s47, vcc_hi
	s_mul_i32 s47, s47, s9
	s_mul_i32 vcc_lo, vcc_lo, s20
	s_add_i32 vcc_lo, vcc_lo, s47
	v_add_u32_e32 v78, vcc_lo, v72
	v_ashrrev_i32_e32 v79, 31, v78
	v_lshl_add_u64 v[78:79], v[78:79], 2, s[6:7]
	global_load_dword v78, v[78:79], off
.LBB75_18:                              ;   in Loop: Header=BB75_6 Depth=1
	v_readlane_b32 vcc_lo, v90, 19
	v_readlane_b32 vcc_hi, v90, 20
	s_andn2_b64 vcc, exec, vcc
	s_cbranch_vccnz .LBB75_21
; %bb.19:                               ;   in Loop: Header=BB75_6 Depth=1
	s_load_dword s47, s[36:37], 0x10
	v_mov_b32_e32 v77, 0
	s_waitcnt lgkmcnt(0)
	s_mul_hi_u32 vcc_lo, s47, s16
	s_add_i32 vcc_lo, s47, vcc_lo
	s_lshr_b32 vcc_lo, vcc_lo, s17
	s_cmp_ge_i32 vcc_lo, s13
	s_cbranch_scc1 .LBB75_21
; %bb.20:                               ;   in Loop: Header=BB75_6 Depth=1
	s_mul_i32 vcc_hi, vcc_lo, s18
	s_sub_i32 s47, s47, vcc_hi
	s_mul_i32 s47, s47, s9
	s_mul_i32 vcc_lo, vcc_lo, s20
	s_add_i32 vcc_lo, vcc_lo, s47
	v_add_u32_e32 v80, vcc_lo, v72
	v_ashrrev_i32_e32 v81, 31, v80
	v_lshl_add_u64 v[80:81], v[80:81], 2, s[6:7]
	global_load_dword v77, v[80:81], off
.LBB75_21:                              ;   in Loop: Header=BB75_6 Depth=1
	v_readlane_b32 vcc_lo, v90, 21
	v_readlane_b32 vcc_hi, v90, 22
	v_mov_b32_e32 v79, 0
	s_andn2_b64 vcc, exec, vcc
	v_mov_b32_e32 v80, 0
	s_cbranch_vccnz .LBB75_24
; %bb.22:                               ;   in Loop: Header=BB75_6 Depth=1
	s_load_dword s47, s[36:37], 0x14
	v_mov_b32_e32 v80, 0
	s_waitcnt lgkmcnt(0)
	s_mul_hi_u32 vcc_lo, s47, s16
	s_add_i32 vcc_lo, s47, vcc_lo
	s_lshr_b32 vcc_lo, vcc_lo, s17
	s_cmp_ge_i32 vcc_lo, s13
	s_cbranch_scc1 .LBB75_24
; %bb.23:                               ;   in Loop: Header=BB75_6 Depth=1
	s_mul_i32 vcc_hi, vcc_lo, s18
	s_sub_i32 s47, s47, vcc_hi
	s_mul_i32 s47, s47, s9
	s_mul_i32 vcc_lo, vcc_lo, s20
	s_add_i32 vcc_lo, vcc_lo, s47
	v_add_u32_e32 v80, vcc_lo, v72
	v_ashrrev_i32_e32 v81, 31, v80
	v_lshl_add_u64 v[80:81], v[80:81], 2, s[6:7]
	global_load_dword v80, v[80:81], off
.LBB75_24:                              ;   in Loop: Header=BB75_6 Depth=1
	s_andn2_b64 vcc, exec, s[48:49]
	s_cbranch_vccnz .LBB75_27
; %bb.25:                               ;   in Loop: Header=BB75_6 Depth=1
	s_load_dword s47, s[36:37], 0x18
	v_mov_b32_e32 v79, 0
	s_waitcnt lgkmcnt(0)
	s_mul_hi_u32 vcc_lo, s47, s16
	s_add_i32 vcc_lo, s47, vcc_lo
	s_lshr_b32 vcc_lo, vcc_lo, s17
	s_cmp_ge_i32 vcc_lo, s13
	s_cbranch_scc1 .LBB75_27
; %bb.26:                               ;   in Loop: Header=BB75_6 Depth=1
	s_mul_i32 vcc_hi, vcc_lo, s18
	s_sub_i32 s47, s47, vcc_hi
	s_mul_i32 s47, s47, s9
	s_mul_i32 vcc_lo, vcc_lo, s20
	s_add_i32 vcc_lo, vcc_lo, s47
	v_add_u32_e32 v82, vcc_lo, v72
	v_ashrrev_i32_e32 v83, 31, v82
	v_lshl_add_u64 v[82:83], v[82:83], 2, s[6:7]
	global_load_dword v79, v[82:83], off
.LBB75_27:                              ;   in Loop: Header=BB75_6 Depth=1
	v_mov_b32_e32 v81, 0
	s_andn2_b64 vcc, exec, s[50:51]
	v_mov_b32_e32 v82, 0
	s_cbranch_vccnz .LBB75_30
; %bb.28:                               ;   in Loop: Header=BB75_6 Depth=1
	s_load_dword s47, s[36:37], 0x1c
	v_mov_b32_e32 v82, 0
	s_waitcnt lgkmcnt(0)
	s_mul_hi_u32 vcc_lo, s47, s16
	s_add_i32 vcc_lo, s47, vcc_lo
	s_lshr_b32 vcc_lo, vcc_lo, s17
	s_cmp_ge_i32 vcc_lo, s13
	s_cbranch_scc1 .LBB75_30
; %bb.29:                               ;   in Loop: Header=BB75_6 Depth=1
	s_mul_i32 vcc_hi, vcc_lo, s18
	s_sub_i32 s47, s47, vcc_hi
	s_mul_i32 s47, s47, s9
	s_mul_i32 vcc_lo, vcc_lo, s20
	s_add_i32 vcc_lo, vcc_lo, s47
	v_add_u32_e32 v82, vcc_lo, v72
	v_ashrrev_i32_e32 v83, 31, v82
	v_lshl_add_u64 v[82:83], v[82:83], 2, s[6:7]
	global_load_dword v82, v[82:83], off
.LBB75_30:                              ;   in Loop: Header=BB75_6 Depth=1
	s_andn2_b64 vcc, exec, s[52:53]
	s_cbranch_vccnz .LBB75_33
; %bb.31:                               ;   in Loop: Header=BB75_6 Depth=1
	s_load_dword s47, s[36:37], 0x20
	v_mov_b32_e32 v81, 0
	s_waitcnt lgkmcnt(0)
	s_mul_hi_u32 vcc_lo, s47, s16
	s_add_i32 vcc_lo, s47, vcc_lo
	s_lshr_b32 vcc_lo, vcc_lo, s17
	s_cmp_ge_i32 vcc_lo, s13
	s_cbranch_scc1 .LBB75_33
; %bb.32:                               ;   in Loop: Header=BB75_6 Depth=1
	s_mul_i32 vcc_hi, vcc_lo, s18
	s_sub_i32 s47, s47, vcc_hi
	s_mul_i32 s47, s47, s9
	s_mul_i32 vcc_lo, vcc_lo, s20
	s_add_i32 vcc_lo, vcc_lo, s47
	v_add_u32_e32 v84, vcc_lo, v72
	v_ashrrev_i32_e32 v85, 31, v84
	v_lshl_add_u64 v[84:85], v[84:85], 2, s[6:7]
	global_load_dword v81, v[84:85], off
.LBB75_33:                              ;   in Loop: Header=BB75_6 Depth=1
	v_mov_b32_e32 v83, 0
	s_andn2_b64 vcc, exec, s[54:55]
	;; [unrolled: 46-line block ×3, first 2 shown]
	v_mov_b32_e32 v86, 0
	s_cbranch_vccnz .LBB75_42
; %bb.40:                               ;   in Loop: Header=BB75_6 Depth=1
	s_load_dword s47, s[36:37], 0x2c
	v_mov_b32_e32 v86, 0
	s_waitcnt lgkmcnt(0)
	s_mul_hi_u32 vcc_lo, s47, s16
	s_add_i32 vcc_lo, s47, vcc_lo
	s_lshr_b32 vcc_lo, vcc_lo, s17
	s_cmp_ge_i32 vcc_lo, s13
	s_cbranch_scc1 .LBB75_42
; %bb.41:                               ;   in Loop: Header=BB75_6 Depth=1
	s_mul_i32 vcc_hi, vcc_lo, s18
	s_sub_i32 s47, s47, vcc_hi
	s_mul_i32 s47, s47, s9
	s_mul_i32 vcc_lo, vcc_lo, s20
	s_add_i32 vcc_lo, vcc_lo, s47
	v_add_u32_e32 v86, vcc_lo, v72
	v_ashrrev_i32_e32 v87, 31, v86
	v_lshl_add_u64 v[86:87], v[86:87], 2, s[6:7]
	global_load_dword v86, v[86:87], off
.LBB75_42:                              ;   in Loop: Header=BB75_6 Depth=1
	s_andn2_b64 vcc, exec, s[60:61]
	s_cbranch_vccnz .LBB75_5
; %bb.43:                               ;   in Loop: Header=BB75_6 Depth=1
	s_load_dword s47, s[36:37], 0x30
	v_mov_b32_e32 v85, 0
	s_waitcnt lgkmcnt(0)
	s_mul_hi_u32 vcc_lo, s47, s16
	s_add_i32 vcc_lo, s47, vcc_lo
	s_lshr_b32 vcc_lo, vcc_lo, s17
	s_cmp_ge_i32 vcc_lo, s13
	s_cbranch_scc1 .LBB75_5
; %bb.44:                               ;   in Loop: Header=BB75_6 Depth=1
	s_mul_i32 vcc_hi, vcc_lo, s18
	s_sub_i32 s47, s47, vcc_hi
	s_mul_i32 s47, s47, s9
	s_mul_i32 vcc_lo, vcc_lo, s20
	s_add_i32 vcc_lo, vcc_lo, s47
	v_add_u32_e32 v88, vcc_lo, v72
	v_ashrrev_i32_e32 v89, 31, v88
	v_lshl_add_u64 v[88:89], v[88:89], 2, s[6:7]
	global_load_dword v85, v[88:89], off
	s_branch .LBB75_5
.LBB75_45:
	s_or_b64 exec, exec, s[4:5]
	v_readlane_b32 s24, v90, 6
	v_readlane_b32 s28, v90, 9
	;; [unrolled: 1-line block ×10, first 2 shown]
.LBB75_46:
	s_or_b64 exec, exec, s[30:31]
	v_lshl_add_u32 v0, v70, 2, 0
	v_and_b32_e32 v1, 0x3f0, v3
	v_add3_u32 v0, v0, v71, v1
	v_accvgpr_read_b32 v1, a13
	v_accvgpr_read_b32 v4, a12
	ds_write2_b32 v0, v4, v1 offset1:1
	v_accvgpr_read_b32 v1, a15
	v_accvgpr_read_b32 v4, a14
	ds_write2_b32 v0, v4, v1 offset0:2 offset1:3
	v_accvgpr_read_b32 v1, a9
	v_accvgpr_read_b32 v4, a8
	ds_write2_b32 v0, v4, v1 offset0:16 offset1:17
	;; [unrolled: 3-line block ×3, first 2 shown]
	v_accvgpr_read_b32 v1, a5
	v_accvgpr_read_b32 v4, a4
	s_lshl_b64 s[0:1], s[28:29], 2
	ds_write2_b32 v0, v4, v1 offset0:32 offset1:33
	v_accvgpr_read_b32 v1, a7
	v_accvgpr_read_b32 v4, a6
	s_add_u32 s4, s22, s0
	ds_write2_b32 v0, v4, v1 offset0:34 offset1:35
	v_accvgpr_read_b32 v1, a1
	v_accvgpr_read_b32 v4, a0
	s_addc_u32 s5, s23, s1
	ds_write2_b32 v0, v4, v1 offset0:48 offset1:49
	v_accvgpr_read_b32 v1, a3
	v_accvgpr_read_b32 v4, a2
	ds_write2_b32 v0, v4, v1 offset0:50 offset1:51
	s_cmp_gt_i32 s14, 0
	v_add_u32_e32 v0, s2, v2
	s_cselect_b64 s[6:7], -1, 0
	v_cmp_gt_i32_e64 s[0:1], s26, v0
	v_cmp_gt_u32_e32 vcc, 13, v2
	s_and_b64 s[0:1], s[6:7], s[0:1]
	v_lshl_add_u32 v5, v3, 2, 0
	v_add_u32_e32 v4, s3, v3
	v_mul_u32_u24_e32 v6, 0x108, v2
	s_and_b64 s[8:9], vcc, s[0:1]
	s_and_saveexec_b64 s[0:1], s[8:9]
	v_readlane_b32 s14, v90, 0
	v_readlane_b32 s15, v90, 1
	s_cbranch_execz .LBB75_49
; %bb.47:
	v_ashrrev_i32_e32 v1, 31, v0
	v_lshl_add_u64 v[8:9], v[0:1], 2, s[4:5]
	global_load_dword v1, v[8:9], off
	s_waitcnt vmcnt(0)
	v_mul_hi_u32 v3, v1, s19
	v_add_u32_e32 v3, v1, v3
	v_lshrrev_b32_e32 v3, s24, v3
	v_cmp_gt_i32_e32 vcc, s13, v3
	s_and_b64 exec, exec, vcc
	s_cbranch_execz .LBB75_49
; %bb.48:
	v_add_u32_e32 v7, v5, v6
	ds_read_b32 v7, v7
	v_mul_lo_u32 v8, v3, s25
	v_sub_u32_e32 v1, v1, v8
	v_mul_lo_u32 v3, v3, s21
	v_mul_lo_u32 v1, v1, s10
	v_add3_u32 v8, v4, v3, v1
	v_mov_b32_e32 v9, 0
	s_waitcnt lgkmcnt(0)
	v_add_f32_e32 v7, 0, v7
	v_lshl_add_u64 v[8:9], v[8:9], 2, s[14:15]
	global_store_dword v[8:9], v7, off
.LBB75_49:
	s_or_b64 exec, exec, s[0:1]
	v_add_u32_e32 v1, 1, v0
	v_cmp_gt_i32_e64 s[0:1], s26, v1
	v_cmp_gt_u32_e32 vcc, 12, v2
	s_and_b64 s[0:1], s[6:7], s[0:1]
	s_and_b64 s[8:9], vcc, s[0:1]
	s_and_saveexec_b64 s[0:1], s[8:9]
	s_cbranch_execz .LBB75_52
; %bb.50:
	s_ashr_i32 s3, s2, 31
	v_mov_b32_e32 v3, 0
	v_lshl_add_u64 v[8:9], v[2:3], 0, s[2:3]
	v_lshl_add_u64 v[8:9], v[8:9], 2, s[4:5]
	global_load_dword v1, v[8:9], off offset:4
	s_waitcnt vmcnt(0)
	v_mul_hi_u32 v7, v1, s19
	v_add_u32_e32 v7, v1, v7
	v_lshrrev_b32_e32 v7, s24, v7
	v_cmp_gt_i32_e32 vcc, s13, v7
	s_and_b64 exec, exec, vcc
	s_cbranch_execz .LBB75_52
; %bb.51:
	v_add_u32_e32 v8, v6, v5
	ds_read_b32 v8, v8 offset:264
	v_mul_lo_u32 v9, v7, s25
	v_sub_u32_e32 v1, v1, v9
	v_mul_lo_u32 v7, v7, s21
	v_mul_lo_u32 v1, v1, s10
	s_waitcnt lgkmcnt(0)
	v_add_f32_e32 v10, 0, v8
	v_add3_u32 v8, v4, v7, v1
	v_mov_b32_e32 v9, v3
	v_lshl_add_u64 v[8:9], v[8:9], 2, s[14:15]
	global_store_dword v[8:9], v10, off
.LBB75_52:
	s_or_b64 exec, exec, s[0:1]
	v_add_u32_e32 v1, 2, v0
	v_cmp_gt_i32_e64 s[0:1], s26, v1
	v_cmp_gt_u32_e32 vcc, 11, v2
	s_and_b64 s[0:1], s[6:7], s[0:1]
	s_and_b64 s[8:9], vcc, s[0:1]
	s_and_saveexec_b64 s[0:1], s[8:9]
	s_cbranch_execz .LBB75_55
; %bb.53:
	s_ashr_i32 s3, s2, 31
	v_mov_b32_e32 v3, 0
	v_lshl_add_u64 v[8:9], v[2:3], 0, s[2:3]
	v_lshl_add_u64 v[8:9], v[8:9], 2, s[4:5]
	global_load_dword v1, v[8:9], off offset:8
	s_waitcnt vmcnt(0)
	v_mul_hi_u32 v7, v1, s19
	v_add_u32_e32 v7, v1, v7
	v_lshrrev_b32_e32 v7, s24, v7
	v_cmp_gt_i32_e32 vcc, s13, v7
	s_and_b64 exec, exec, vcc
	s_cbranch_execz .LBB75_55
; %bb.54:
	v_add_u32_e32 v8, v5, v6
	ds_read_b32 v8, v8 offset:528
	v_mul_lo_u32 v9, v7, s25
	v_sub_u32_e32 v1, v1, v9
	v_mul_lo_u32 v7, v7, s21
	v_mul_lo_u32 v1, v1, s10
	s_waitcnt lgkmcnt(0)
	v_add_f32_e32 v10, 0, v8
	v_add3_u32 v8, v4, v7, v1
	v_mov_b32_e32 v9, v3
	v_lshl_add_u64 v[8:9], v[8:9], 2, s[14:15]
	global_store_dword v[8:9], v10, off
.LBB75_55:
	;; [unrolled: 35-line block ×11, first 2 shown]
	s_or_b64 exec, exec, s[0:1]
	v_add_u32_e32 v0, 12, v0
	v_cmp_gt_i32_e64 s[0:1], s26, v0
	v_cmp_eq_u32_e32 vcc, 0, v2
	s_and_b64 s[0:1], s[6:7], s[0:1]
	s_and_b64 s[0:1], vcc, s[0:1]
	s_and_saveexec_b64 s[6:7], s[0:1]
	s_cbranch_execz .LBB75_85
; %bb.83:
	s_ashr_i32 s3, s2, 31
	s_lshl_b64 s[0:1], s[2:3], 2
	s_add_u32 s0, s4, s0
	s_addc_u32 s1, s5, s1
	s_load_dword s0, s[0:1], 0x30
	s_waitcnt lgkmcnt(0)
	s_mul_hi_u32 s1, s0, s19
	s_add_i32 s1, s0, s1
	s_lshr_b32 s1, s1, s24
	s_cmp_ge_i32 s1, s13
	s_cbranch_scc1 .LBB75_85
; %bb.84:
	v_add_u32_e32 v0, v5, v6
	ds_read_b32 v0, v0 offset:3168
	s_mul_i32 s2, s1, s25
	s_sub_i32 s0, s0, s2
	s_mul_i32 s1, s1, s21
	s_mul_i32 s0, s0, s10
	s_add_i32 s0, s0, s1
	s_waitcnt lgkmcnt(0)
	v_add_f32_e32 v2, 0, v0
	v_add_u32_e32 v0, s0, v4
	v_mov_b32_e32 v1, 0
	v_lshl_add_u64 v[0:1], v[0:1], 2, s[14:15]
	global_store_dword v[0:1], v2, off
.LBB75_85:
	s_endpgm
	.section	.rodata,"a",@progbits
	.p2align	6, 0x0
	.amdhsa_kernel _ZL13mul_mat_f_idsIfLi64ELi13ELi1EEvPKT_PKfPKiS6_S6_Pfiiiiiiiiiiiiii15HIP_vector_typeIjLj3EES9_
		.amdhsa_group_segment_fixed_size 0
		.amdhsa_private_segment_fixed_size 0
		.amdhsa_kernarg_size 128
		.amdhsa_user_sgpr_count 2
		.amdhsa_user_sgpr_dispatch_ptr 0
		.amdhsa_user_sgpr_queue_ptr 0
		.amdhsa_user_sgpr_kernarg_segment_ptr 1
		.amdhsa_user_sgpr_dispatch_id 0
		.amdhsa_user_sgpr_kernarg_preload_length 0
		.amdhsa_user_sgpr_kernarg_preload_offset 0
		.amdhsa_user_sgpr_private_segment_size 0
		.amdhsa_uses_dynamic_stack 0
		.amdhsa_enable_private_segment 0
		.amdhsa_system_sgpr_workgroup_id_x 1
		.amdhsa_system_sgpr_workgroup_id_y 1
		.amdhsa_system_sgpr_workgroup_id_z 1
		.amdhsa_system_sgpr_workgroup_info 0
		.amdhsa_system_vgpr_workitem_id 1
		.amdhsa_next_free_vgpr 108
		.amdhsa_next_free_sgpr 100
		.amdhsa_accum_offset 92
		.amdhsa_reserve_vcc 1
		.amdhsa_float_round_mode_32 0
		.amdhsa_float_round_mode_16_64 0
		.amdhsa_float_denorm_mode_32 3
		.amdhsa_float_denorm_mode_16_64 3
		.amdhsa_dx10_clamp 1
		.amdhsa_ieee_mode 1
		.amdhsa_fp16_overflow 0
		.amdhsa_tg_split 0
		.amdhsa_exception_fp_ieee_invalid_op 0
		.amdhsa_exception_fp_denorm_src 0
		.amdhsa_exception_fp_ieee_div_zero 0
		.amdhsa_exception_fp_ieee_overflow 0
		.amdhsa_exception_fp_ieee_underflow 0
		.amdhsa_exception_fp_ieee_inexact 0
		.amdhsa_exception_int_div_zero 0
	.end_amdhsa_kernel
	.section	.text._ZL13mul_mat_f_idsIfLi64ELi13ELi1EEvPKT_PKfPKiS6_S6_Pfiiiiiiiiiiiiii15HIP_vector_typeIjLj3EES9_,"axG",@progbits,_ZL13mul_mat_f_idsIfLi64ELi13ELi1EEvPKT_PKfPKiS6_S6_Pfiiiiiiiiiiiiii15HIP_vector_typeIjLj3EES9_,comdat
.Lfunc_end75:
	.size	_ZL13mul_mat_f_idsIfLi64ELi13ELi1EEvPKT_PKfPKiS6_S6_Pfiiiiiiiiiiiiii15HIP_vector_typeIjLj3EES9_, .Lfunc_end75-_ZL13mul_mat_f_idsIfLi64ELi13ELi1EEvPKT_PKfPKiS6_S6_Pfiiiiiiiiiiiiii15HIP_vector_typeIjLj3EES9_
                                        ; -- End function
	.set _ZL13mul_mat_f_idsIfLi64ELi13ELi1EEvPKT_PKfPKiS6_S6_Pfiiiiiiiiiiiiii15HIP_vector_typeIjLj3EES9_.num_vgpr, 91
	.set _ZL13mul_mat_f_idsIfLi64ELi13ELi1EEvPKT_PKfPKiS6_S6_Pfiiiiiiiiiiiiii15HIP_vector_typeIjLj3EES9_.num_agpr, 16
	.set _ZL13mul_mat_f_idsIfLi64ELi13ELi1EEvPKT_PKfPKiS6_S6_Pfiiiiiiiiiiiiii15HIP_vector_typeIjLj3EES9_.numbered_sgpr, 100
	.set _ZL13mul_mat_f_idsIfLi64ELi13ELi1EEvPKT_PKfPKiS6_S6_Pfiiiiiiiiiiiiii15HIP_vector_typeIjLj3EES9_.num_named_barrier, 0
	.set _ZL13mul_mat_f_idsIfLi64ELi13ELi1EEvPKT_PKfPKiS6_S6_Pfiiiiiiiiiiiiii15HIP_vector_typeIjLj3EES9_.private_seg_size, 0
	.set _ZL13mul_mat_f_idsIfLi64ELi13ELi1EEvPKT_PKfPKiS6_S6_Pfiiiiiiiiiiiiii15HIP_vector_typeIjLj3EES9_.uses_vcc, 1
	.set _ZL13mul_mat_f_idsIfLi64ELi13ELi1EEvPKT_PKfPKiS6_S6_Pfiiiiiiiiiiiiii15HIP_vector_typeIjLj3EES9_.uses_flat_scratch, 0
	.set _ZL13mul_mat_f_idsIfLi64ELi13ELi1EEvPKT_PKfPKiS6_S6_Pfiiiiiiiiiiiiii15HIP_vector_typeIjLj3EES9_.has_dyn_sized_stack, 0
	.set _ZL13mul_mat_f_idsIfLi64ELi13ELi1EEvPKT_PKfPKiS6_S6_Pfiiiiiiiiiiiiii15HIP_vector_typeIjLj3EES9_.has_recursion, 0
	.set _ZL13mul_mat_f_idsIfLi64ELi13ELi1EEvPKT_PKfPKiS6_S6_Pfiiiiiiiiiiiiii15HIP_vector_typeIjLj3EES9_.has_indirect_call, 0
	.section	.AMDGPU.csdata,"",@progbits
; Kernel info:
; codeLenInByte = 8412
; TotalNumSgprs: 106
; NumVgprs: 91
; NumAgprs: 16
; TotalNumVgprs: 108
; ScratchSize: 0
; MemoryBound: 0
; FloatMode: 240
; IeeeMode: 1
; LDSByteSize: 0 bytes/workgroup (compile time only)
; SGPRBlocks: 13
; VGPRBlocks: 13
; NumSGPRsForWavesPerEU: 106
; NumVGPRsForWavesPerEU: 108
; AccumOffset: 92
; Occupancy: 4
; WaveLimiterHint : 1
; COMPUTE_PGM_RSRC2:SCRATCH_EN: 0
; COMPUTE_PGM_RSRC2:USER_SGPR: 2
; COMPUTE_PGM_RSRC2:TRAP_HANDLER: 0
; COMPUTE_PGM_RSRC2:TGID_X_EN: 1
; COMPUTE_PGM_RSRC2:TGID_Y_EN: 1
; COMPUTE_PGM_RSRC2:TGID_Z_EN: 1
; COMPUTE_PGM_RSRC2:TIDIG_COMP_CNT: 1
; COMPUTE_PGM_RSRC3_GFX90A:ACCUM_OFFSET: 22
; COMPUTE_PGM_RSRC3_GFX90A:TG_SPLIT: 0
	.section	.text._ZL9mul_mat_fIfLi64ELi13ELi1ELb1EEvPKT_PKfPKiPfiiiiiiiiiiiiiiii,"axG",@progbits,_ZL9mul_mat_fIfLi64ELi13ELi1ELb1EEvPKT_PKfPKiPfiiiiiiiiiiiiiiii,comdat
	.globl	_ZL9mul_mat_fIfLi64ELi13ELi1ELb1EEvPKT_PKfPKiPfiiiiiiiiiiiiiiii ; -- Begin function _ZL9mul_mat_fIfLi64ELi13ELi1ELb1EEvPKT_PKfPKiPfiiiiiiiiiiiiiiii
	.p2align	8
	.type	_ZL9mul_mat_fIfLi64ELi13ELi1ELb1EEvPKT_PKfPKiPfiiiiiiiiiiiiiiii,@function
_ZL9mul_mat_fIfLi64ELi13ELi1ELb1EEvPKT_PKfPKiPfiiiiiiiiiiiiiiii: ; @_ZL9mul_mat_fIfLi64ELi13ELi1ELb1EEvPKT_PKfPKiPfiiiiiiiiiiiiiiii
; %bb.0:
	s_load_dwordx8 s[60:67], s[0:1], 0x20
	s_mov_b32 s26, s4
	s_load_dwordx2 s[8:9], s[0:1], 0x10
	s_waitcnt lgkmcnt(0)
	s_add_i32 s4, s61, 12
	s_mul_hi_i32 s4, s4, 0x4ec4ec4f
	s_lshr_b32 s5, s4, 31
	s_ashr_i32 s4, s4, 2
	s_add_i32 s4, s4, s5
	v_cvt_f32_u32_e32 v1, s4
	s_load_dword s5, s[0:1], 0x64
	s_add_u32 s34, s0, 0x60
	s_addc_u32 s35, s1, 0
	v_rcp_iflag_f32_e32 v1, v1
	s_sub_i32 s6, 0, s4
	v_mul_f32_e32 v1, 0x4f7ffffe, v1
	v_cvt_u32_f32_e32 v1, v1
	v_mul_lo_u32 v2, s6, v1
	v_mul_hi_u32 v2, v1, v2
	v_add_u32_e32 v1, v1, v2
	s_waitcnt lgkmcnt(0)
	v_mul_hi_u32 v1, s5, v1
	v_mul_lo_u32 v2, v1, s4
	v_sub_u32_e32 v2, s5, v2
	v_add_u32_e32 v3, 1, v1
	v_subrev_u32_e32 v4, s4, v2
	v_cmp_le_u32_e32 vcc, s4, v2
	s_nop 1
	v_cndmask_b32_e32 v1, v1, v3, vcc
	v_cndmask_b32_e32 v2, v2, v4, vcc
	v_add_u32_e32 v3, 1, v1
	v_cmp_le_u32_e32 vcc, s4, v2
	s_nop 1
	v_cndmask_b32_e32 v1, v1, v3, vcc
	v_cvt_f32_u32_e32 v2, v1
	v_sub_u32_e32 v5, 0, v1
	v_bfe_u32 v3, v0, 10, 10
	v_rcp_iflag_f32_e32 v2, v2
	s_nop 0
	v_mul_f32_e32 v2, 0x4f7ffffe, v2
	v_cvt_u32_f32_e32 v4, v2
	v_and_b32_e32 v2, 0x3ff, v0
	v_cmp_eq_u32_e32 vcc, 0, v2
	v_mul_lo_u32 v5, v5, v4
	v_mul_hi_u32 v5, v4, v5
	v_add_u32_e32 v4, v4, v5
	v_mul_hi_u32 v4, s3, v4
	s_and_saveexec_b64 s[6:7], vcc
; %bb.1:
	v_mov_b32_e32 v5, 0x100
	v_lshl_add_u32 v5, v3, 2, v5
	v_mov_b32_e32 v6, -1
	ds_write_b32 v5, v6
; %bb.2:
	s_or_b64 exec, exec, s[6:7]
	v_mul_lo_u32 v5, v4, v1
	v_sub_u32_e32 v5, s3, v5
	v_add_u32_e32 v6, 1, v4
	v_sub_u32_e32 v7, v5, v1
	v_cmp_ge_u32_e64 s[6:7], v5, v1
	v_cmp_gt_i32_e64 s[28:29], s62, v2
	s_nop 0
	v_cndmask_b32_e64 v4, v4, v6, s[6:7]
	v_cndmask_b32_e64 v5, v5, v7, s[6:7]
	v_add_u32_e32 v6, 1, v4
	v_cmp_ge_u32_e64 s[6:7], v5, v1
	s_nop 1
	v_cndmask_b32_e64 v4, v4, v6, s[6:7]
	v_mul_lo_u32 v74, v4, 13
	v_mul_lo_u32 v1, v4, v1
	v_mul_hi_i32 v5, v74, s67
	v_mul_lo_u32 v4, v74, s67
	v_sub_u32_e32 v10, s3, v1
	v_lshlrev_b64 v[4:5], 2, v[4:5]
	v_add_u32_e32 v1, v3, v74
	v_lshl_add_u64 v[4:5], s[8:9], 0, v[4:5]
	v_cmp_gt_i32_e64 s[44:45], s61, v1
	v_mov_b32_e32 v1, 0
	s_and_saveexec_b64 s[10:11], s[44:45]
	s_cbranch_execz .LBB76_10
; %bb.3:
	v_mov_b32_e32 v1, 0
	s_and_saveexec_b64 s[12:13], s[28:29]
	s_cbranch_execz .LBB76_9
; %bb.4:
	v_mul_lo_u32 v6, v3, s67
	v_ashrrev_i32_e32 v7, 31, v6
	v_mov_b32_e32 v1, 0x100
	v_lshl_add_u64 v[6:7], v[6:7], 2, v[4:5]
	v_lshl_add_u32 v11, v3, 2, v1
	v_mul_lo_u32 v8, v2, s66
	s_lshl_b32 s3, s66, 6
	v_mov_b32_e32 v1, 0
	s_mov_b64 s[14:15], 0
	v_mov_b32_e32 v12, v2
	s_branch .LBB76_6
.LBB76_5:                               ;   in Loop: Header=BB76_6 Depth=1
	s_or_b64 exec, exec, s[16:17]
	v_add_u32_e32 v12, 64, v12
	v_cmp_le_i32_e64 s[8:9], s62, v12
	s_xor_b64 s[4:5], s[6:7], -1
	s_or_b64 s[4:5], s[4:5], s[8:9]
	s_and_b64 s[4:5], exec, s[4:5]
	s_or_b64 s[14:15], s[4:5], s[14:15]
	v_add_u32_e32 v8, s3, v8
	s_andn2_b64 exec, exec, s[14:15]
	s_cbranch_execz .LBB76_8
.LBB76_6:                               ; =>This Inner Loop Header: Depth=1
	v_ashrrev_i32_e32 v9, 31, v8
	v_lshl_add_u64 v[14:15], v[8:9], 2, v[6:7]
	global_load_dword v9, v[14:15], off
	s_waitcnt vmcnt(0)
	v_cmp_ne_u32_e64 s[6:7], v9, v10
	v_cmp_eq_u32_e64 s[8:9], v9, v10
	s_and_saveexec_b64 s[16:17], s[8:9]
	s_cbranch_execz .LBB76_5
; %bb.7:                                ;   in Loop: Header=BB76_6 Depth=1
	v_mov_b32_e32 v1, 1
	ds_write_b32 v11, v12
	s_branch .LBB76_5
.LBB76_8:
	s_or_b64 exec, exec, s[14:15]
.LBB76_9:
	s_or_b64 exec, exec, s[12:13]
.LBB76_10:
	s_or_b64 exec, exec, s[10:11]
	s_and_saveexec_b64 s[6:7], vcc
; %bb.11:
	v_mov_b32_e32 v6, 0x100
	v_lshl_add_u32 v6, v3, 2, v6
	v_mov_b32_e32 v7, -1
	ds_write_b32 v6, v7 offset:4
; %bb.12:
	s_or_b64 exec, exec, s[6:7]
	v_add_u32_e32 v75, 1, v3
	v_add_u32_e32 v6, v75, v74
	v_cmp_gt_i32_e64 s[4:5], s61, v6
	s_mov_b64 s[10:11], exec
                                        ; implicit-def: $vgpr102 : SGPR spill to VGPR lane
	s_nop 0
	v_writelane_b32 v102, s4, 0
	s_nop 1
	v_writelane_b32 v102, s5, 1
	s_and_b64 s[4:5], s[10:11], s[4:5]
	s_mov_b64 exec, s[4:5]
	s_cbranch_execz .LBB76_20
; %bb.13:
	s_and_saveexec_b64 s[12:13], s[28:29]
	s_cbranch_execz .LBB76_19
; %bb.14:
	v_mul_lo_u32 v6, v75, s67
	v_ashrrev_i32_e32 v7, 31, v6
	v_mov_b32_e32 v8, 0x100
	v_lshl_add_u64 v[6:7], v[6:7], 2, v[4:5]
	v_lshl_add_u32 v11, v3, 2, v8
	v_mul_lo_u32 v8, v2, s66
	s_lshl_b32 s3, s66, 6
	s_mov_b64 s[14:15], 0
	v_mov_b32_e32 v12, v2
	s_branch .LBB76_16
.LBB76_15:                              ;   in Loop: Header=BB76_16 Depth=1
	s_or_b64 exec, exec, s[16:17]
	v_add_u32_e32 v12, 64, v12
	v_cmp_le_i32_e64 s[8:9], s62, v12
	s_xor_b64 s[4:5], s[6:7], -1
	s_or_b64 s[4:5], s[4:5], s[8:9]
	s_and_b64 s[4:5], exec, s[4:5]
	s_or_b64 s[14:15], s[4:5], s[14:15]
	v_add_u32_e32 v8, s3, v8
	s_andn2_b64 exec, exec, s[14:15]
	s_cbranch_execz .LBB76_18
.LBB76_16:                              ; =>This Inner Loop Header: Depth=1
	v_ashrrev_i32_e32 v9, 31, v8
	v_lshl_add_u64 v[14:15], v[8:9], 2, v[6:7]
	global_load_dword v9, v[14:15], off
	s_waitcnt vmcnt(0)
	v_cmp_ne_u32_e64 s[6:7], v9, v10
	v_cmp_eq_u32_e64 s[8:9], v9, v10
	s_and_saveexec_b64 s[16:17], s[8:9]
	s_cbranch_execz .LBB76_15
; %bb.17:                               ;   in Loop: Header=BB76_16 Depth=1
	v_mov_b32_e32 v1, 1
	ds_write_b32 v11, v12 offset:4
	s_branch .LBB76_15
.LBB76_18:
	s_or_b64 exec, exec, s[14:15]
.LBB76_19:
	s_or_b64 exec, exec, s[12:13]
.LBB76_20:
	s_or_b64 exec, exec, s[10:11]
	s_and_saveexec_b64 s[6:7], vcc
; %bb.21:
	v_mov_b32_e32 v6, 0x100
	v_lshl_add_u32 v6, v3, 2, v6
	v_mov_b32_e32 v7, -1
	ds_write_b32 v6, v7 offset:8
; %bb.22:
	s_or_b64 exec, exec, s[6:7]
	v_add_u32_e32 v76, 2, v3
	v_add_u32_e32 v6, v76, v74
	v_cmp_gt_i32_e64 s[4:5], s61, v6
	s_mov_b64 s[10:11], exec
	s_nop 0
	v_writelane_b32 v102, s4, 2
	s_nop 1
	v_writelane_b32 v102, s5, 3
	s_and_b64 s[4:5], s[10:11], s[4:5]
	s_mov_b64 exec, s[4:5]
	s_cbranch_execz .LBB76_30
; %bb.23:
	s_and_saveexec_b64 s[12:13], s[28:29]
	s_cbranch_execz .LBB76_29
; %bb.24:
	v_mul_lo_u32 v6, v76, s67
	v_ashrrev_i32_e32 v7, 31, v6
	v_mov_b32_e32 v8, 0x100
	v_lshl_add_u64 v[6:7], v[6:7], 2, v[4:5]
	v_lshl_add_u32 v11, v3, 2, v8
	v_mul_lo_u32 v8, v2, s66
	s_lshl_b32 s3, s66, 6
	s_mov_b64 s[14:15], 0
	v_mov_b32_e32 v12, v2
	s_branch .LBB76_26
.LBB76_25:                              ;   in Loop: Header=BB76_26 Depth=1
	s_or_b64 exec, exec, s[16:17]
	v_add_u32_e32 v12, 64, v12
	v_cmp_le_i32_e64 s[8:9], s62, v12
	s_xor_b64 s[4:5], s[6:7], -1
	s_or_b64 s[4:5], s[4:5], s[8:9]
	s_and_b64 s[4:5], exec, s[4:5]
	s_or_b64 s[14:15], s[4:5], s[14:15]
	v_add_u32_e32 v8, s3, v8
	s_andn2_b64 exec, exec, s[14:15]
	s_cbranch_execz .LBB76_28
.LBB76_26:                              ; =>This Inner Loop Header: Depth=1
	v_ashrrev_i32_e32 v9, 31, v8
	v_lshl_add_u64 v[14:15], v[8:9], 2, v[6:7]
	global_load_dword v9, v[14:15], off
	s_waitcnt vmcnt(0)
	v_cmp_ne_u32_e64 s[6:7], v9, v10
	v_cmp_eq_u32_e64 s[8:9], v9, v10
	s_and_saveexec_b64 s[16:17], s[8:9]
	s_cbranch_execz .LBB76_25
; %bb.27:                               ;   in Loop: Header=BB76_26 Depth=1
	v_mov_b32_e32 v1, 1
	ds_write_b32 v11, v12 offset:8
	s_branch .LBB76_25
.LBB76_28:
	s_or_b64 exec, exec, s[14:15]
.LBB76_29:
	s_or_b64 exec, exec, s[12:13]
.LBB76_30:
	s_or_b64 exec, exec, s[10:11]
	s_and_saveexec_b64 s[6:7], vcc
; %bb.31:
	v_mov_b32_e32 v6, 0x100
	v_lshl_add_u32 v6, v3, 2, v6
	v_mov_b32_e32 v7, -1
	ds_write_b32 v6, v7 offset:12
; %bb.32:
	s_or_b64 exec, exec, s[6:7]
	v_add_u32_e32 v77, 3, v3
	v_add_u32_e32 v6, v77, v74
	v_cmp_gt_i32_e64 s[4:5], s61, v6
	s_mov_b64 s[12:13], exec
	;; [unrolled: 63-line block ×6, first 2 shown]
	s_nop 0
	v_writelane_b32 v102, s4, 12
	s_nop 1
	v_writelane_b32 v102, s5, 13
	s_and_b64 s[4:5], s[20:21], s[4:5]
	s_mov_b64 exec, s[4:5]
	s_cbranch_execz .LBB76_80
; %bb.73:
	s_and_saveexec_b64 s[22:23], s[28:29]
	s_cbranch_execz .LBB76_79
; %bb.74:
	v_mul_lo_u32 v6, v81, s67
	v_ashrrev_i32_e32 v7, 31, v6
	v_mov_b32_e32 v8, 0x100
	v_lshl_add_u64 v[6:7], v[6:7], 2, v[4:5]
	v_lshl_add_u32 v11, v3, 2, v8
	v_mul_lo_u32 v8, v2, s66
	s_lshl_b32 s3, s66, 6
	s_mov_b64 s[24:25], 0
	v_mov_b32_e32 v12, v2
	s_branch .LBB76_76
.LBB76_75:                              ;   in Loop: Header=BB76_76 Depth=1
	s_or_b64 exec, exec, s[30:31]
	v_add_u32_e32 v12, 64, v12
	v_cmp_le_i32_e64 s[18:19], s62, v12
	s_xor_b64 s[4:5], s[16:17], -1
	s_or_b64 s[4:5], s[4:5], s[18:19]
	s_and_b64 s[4:5], exec, s[4:5]
	s_or_b64 s[24:25], s[4:5], s[24:25]
	v_add_u32_e32 v8, s3, v8
	s_andn2_b64 exec, exec, s[24:25]
	s_cbranch_execz .LBB76_78
.LBB76_76:                              ; =>This Inner Loop Header: Depth=1
	v_ashrrev_i32_e32 v9, 31, v8
	v_lshl_add_u64 v[14:15], v[8:9], 2, v[6:7]
	global_load_dword v9, v[14:15], off
	s_waitcnt vmcnt(0)
	v_cmp_ne_u32_e64 s[16:17], v9, v10
	v_cmp_eq_u32_e64 s[18:19], v9, v10
	s_and_saveexec_b64 s[30:31], s[18:19]
	s_cbranch_execz .LBB76_75
; %bb.77:                               ;   in Loop: Header=BB76_76 Depth=1
	v_mov_b32_e32 v1, 1
	ds_write_b32 v11, v12 offset:28
	s_branch .LBB76_75
.LBB76_78:
	s_or_b64 exec, exec, s[24:25]
.LBB76_79:
	s_or_b64 exec, exec, s[22:23]
.LBB76_80:
	s_or_b64 exec, exec, s[20:21]
	s_load_dwordx4 s[68:71], s[0:1], 0x44
	s_and_saveexec_b64 s[16:17], vcc
; %bb.81:
	v_mov_b32_e32 v6, 0x100
	v_lshl_add_u32 v6, v3, 2, v6
	v_mov_b32_e32 v7, -1
	ds_write_b32 v6, v7 offset:32
; %bb.82:
	s_or_b64 exec, exec, s[16:17]
	v_add_u32_e32 v82, 8, v3
	v_add_u32_e32 v6, v82, v74
	v_cmp_gt_i32_e64 s[4:5], s61, v6
	s_mov_b64 s[22:23], exec
	s_nop 0
	v_writelane_b32 v102, s4, 14
	s_nop 1
	v_writelane_b32 v102, s5, 15
	s_and_b64 s[4:5], s[22:23], s[4:5]
	s_mov_b64 exec, s[4:5]
	s_cbranch_execz .LBB76_90
; %bb.83:
	s_and_saveexec_b64 s[24:25], s[28:29]
	s_cbranch_execz .LBB76_89
; %bb.84:
	v_mul_lo_u32 v6, v82, s67
	v_ashrrev_i32_e32 v7, 31, v6
	v_mov_b32_e32 v8, 0x100
	v_lshl_add_u64 v[6:7], v[6:7], 2, v[4:5]
	v_lshl_add_u32 v11, v3, 2, v8
	v_mul_lo_u32 v8, v2, s66
	s_lshl_b32 s3, s66, 6
	s_mov_b64 s[30:31], 0
	v_mov_b32_e32 v12, v2
	s_branch .LBB76_86
.LBB76_85:                              ;   in Loop: Header=BB76_86 Depth=1
	s_or_b64 exec, exec, s[36:37]
	v_add_u32_e32 v12, 64, v12
	v_cmp_le_i32_e64 s[20:21], s62, v12
	s_xor_b64 s[4:5], s[18:19], -1
	s_or_b64 s[4:5], s[4:5], s[20:21]
	s_and_b64 s[4:5], exec, s[4:5]
	s_or_b64 s[30:31], s[4:5], s[30:31]
	v_add_u32_e32 v8, s3, v8
	s_andn2_b64 exec, exec, s[30:31]
	s_cbranch_execz .LBB76_88
.LBB76_86:                              ; =>This Inner Loop Header: Depth=1
	v_ashrrev_i32_e32 v9, 31, v8
	v_lshl_add_u64 v[14:15], v[8:9], 2, v[6:7]
	global_load_dword v9, v[14:15], off
	s_waitcnt vmcnt(0)
	v_cmp_ne_u32_e64 s[18:19], v9, v10
	v_cmp_eq_u32_e64 s[20:21], v9, v10
	s_and_saveexec_b64 s[36:37], s[20:21]
	s_cbranch_execz .LBB76_85
; %bb.87:                               ;   in Loop: Header=BB76_86 Depth=1
	v_mov_b32_e32 v1, 1
	ds_write_b32 v11, v12 offset:32
	s_branch .LBB76_85
.LBB76_88:
	s_or_b64 exec, exec, s[30:31]
.LBB76_89:
	s_or_b64 exec, exec, s[24:25]
.LBB76_90:
	s_or_b64 exec, exec, s[22:23]
	s_waitcnt lgkmcnt(0)
	s_abs_i32 s3, s71
	s_and_saveexec_b64 s[18:19], vcc
; %bb.91:
	v_mov_b32_e32 v6, 0x100
	v_lshl_add_u32 v6, v3, 2, v6
	v_mov_b32_e32 v7, -1
	ds_write_b32 v6, v7 offset:36
; %bb.92:
	s_or_b64 exec, exec, s[18:19]
	v_cvt_f32_u32_e32 v11, s3
	v_add_u32_e32 v83, 9, v3
	v_add_u32_e32 v6, v83, v74
	v_cmp_gt_i32_e64 s[4:5], s61, v6
	s_mov_b64 s[24:25], exec
	s_nop 0
	v_writelane_b32 v102, s4, 16
	s_nop 1
	v_writelane_b32 v102, s5, 17
	s_and_b64 s[4:5], s[24:25], s[4:5]
	s_mov_b64 exec, s[4:5]
	s_cbranch_execz .LBB76_100
; %bb.93:
	s_and_saveexec_b64 s[30:31], s[28:29]
	s_cbranch_execz .LBB76_99
; %bb.94:
	v_mul_lo_u32 v6, v83, s67
	v_ashrrev_i32_e32 v7, 31, v6
	v_mov_b32_e32 v8, 0x100
	v_lshl_add_u64 v[6:7], v[6:7], 2, v[4:5]
	v_lshl_add_u32 v12, v3, 2, v8
	v_mul_lo_u32 v8, v2, s66
	s_lshl_b32 s4, s66, 6
	s_mov_b64 s[36:37], 0
	v_mov_b32_e32 v13, v2
	s_branch .LBB76_96
.LBB76_95:                              ;   in Loop: Header=BB76_96 Depth=1
	s_or_b64 exec, exec, s[38:39]
	v_add_u32_e32 v13, 64, v13
	v_cmp_le_i32_e64 s[22:23], s62, v13
	s_xor_b64 s[6:7], s[20:21], -1
	s_or_b64 s[6:7], s[6:7], s[22:23]
	s_and_b64 s[6:7], exec, s[6:7]
	s_or_b64 s[36:37], s[6:7], s[36:37]
	v_add_u32_e32 v8, s4, v8
	s_andn2_b64 exec, exec, s[36:37]
	s_cbranch_execz .LBB76_98
.LBB76_96:                              ; =>This Inner Loop Header: Depth=1
	v_ashrrev_i32_e32 v9, 31, v8
	v_lshl_add_u64 v[14:15], v[8:9], 2, v[6:7]
	global_load_dword v9, v[14:15], off
	s_waitcnt vmcnt(0)
	v_cmp_ne_u32_e64 s[20:21], v9, v10
	v_cmp_eq_u32_e64 s[22:23], v9, v10
	s_and_saveexec_b64 s[38:39], s[22:23]
	s_cbranch_execz .LBB76_95
; %bb.97:                               ;   in Loop: Header=BB76_96 Depth=1
	v_mov_b32_e32 v1, 1
	ds_write_b32 v12, v13 offset:36
	s_branch .LBB76_95
.LBB76_98:
	s_or_b64 exec, exec, s[36:37]
.LBB76_99:
	s_or_b64 exec, exec, s[30:31]
.LBB76_100:
	s_or_b64 exec, exec, s[24:25]
	v_rcp_iflag_f32_e32 v6, v11
	s_and_saveexec_b64 s[20:21], vcc
; %bb.101:
	v_mov_b32_e32 v7, 0x100
	v_lshl_add_u32 v7, v3, 2, v7
	v_mov_b32_e32 v8, -1
	ds_write_b32 v7, v8 offset:40
; %bb.102:
	s_or_b64 exec, exec, s[20:21]
	v_add_u32_e32 v84, 10, v3
	v_mul_f32_e32 v11, 0x4f7ffffe, v6
	v_add_u32_e32 v6, v84, v74
	v_cmp_gt_i32_e64 s[4:5], s61, v6
	s_mov_b64 s[30:31], exec
	s_nop 0
	v_writelane_b32 v102, s4, 18
	s_nop 1
	v_writelane_b32 v102, s5, 19
	s_and_b64 s[4:5], s[30:31], s[4:5]
	s_mov_b64 exec, s[4:5]
	s_cbranch_execz .LBB76_110
; %bb.103:
	s_and_saveexec_b64 s[36:37], s[28:29]
	s_cbranch_execz .LBB76_109
; %bb.104:
	v_mul_lo_u32 v6, v84, s67
	v_ashrrev_i32_e32 v7, 31, v6
	v_mov_b32_e32 v8, 0x100
	v_lshl_add_u64 v[6:7], v[6:7], 2, v[4:5]
	v_lshl_add_u32 v12, v3, 2, v8
	v_mul_lo_u32 v8, v2, s66
	s_lshl_b32 s4, s66, 6
	s_mov_b64 s[38:39], 0
	v_mov_b32_e32 v13, v2
	s_branch .LBB76_106
.LBB76_105:                             ;   in Loop: Header=BB76_106 Depth=1
	s_or_b64 exec, exec, s[40:41]
	v_add_u32_e32 v13, 64, v13
	v_cmp_le_i32_e64 s[24:25], s62, v13
	s_xor_b64 s[6:7], s[22:23], -1
	s_or_b64 s[6:7], s[6:7], s[24:25]
	s_and_b64 s[6:7], exec, s[6:7]
	s_or_b64 s[38:39], s[6:7], s[38:39]
	v_add_u32_e32 v8, s4, v8
	s_andn2_b64 exec, exec, s[38:39]
	s_cbranch_execz .LBB76_108
.LBB76_106:                             ; =>This Inner Loop Header: Depth=1
	v_ashrrev_i32_e32 v9, 31, v8
	v_lshl_add_u64 v[14:15], v[8:9], 2, v[6:7]
	global_load_dword v9, v[14:15], off
	s_waitcnt vmcnt(0)
	v_cmp_ne_u32_e64 s[22:23], v9, v10
	v_cmp_eq_u32_e64 s[24:25], v9, v10
	s_and_saveexec_b64 s[40:41], s[24:25]
	s_cbranch_execz .LBB76_105
; %bb.107:                              ;   in Loop: Header=BB76_106 Depth=1
	v_mov_b32_e32 v1, 1
	ds_write_b32 v12, v13 offset:40
	s_branch .LBB76_105
.LBB76_108:
	s_or_b64 exec, exec, s[38:39]
.LBB76_109:
	s_or_b64 exec, exec, s[36:37]
.LBB76_110:
	s_or_b64 exec, exec, s[30:31]
	v_cvt_u32_f32_e32 v11, v11
	s_sub_i32 s4, 0, s3
	s_and_saveexec_b64 s[22:23], vcc
; %bb.111:
	v_mov_b32_e32 v6, 0x100
	v_lshl_add_u32 v6, v3, 2, v6
	v_mov_b32_e32 v7, -1
	ds_write_b32 v6, v7 offset:44
; %bb.112:
	s_or_b64 exec, exec, s[22:23]
	v_add_u32_e32 v85, 11, v3
	v_mul_lo_u32 v12, s4, v11
	v_add_u32_e32 v6, v85, v74
	v_cmp_gt_i32_e64 s[4:5], s61, v6
	s_mov_b64 s[36:37], exec
	s_nop 0
	v_writelane_b32 v102, s4, 20
	s_nop 1
	v_writelane_b32 v102, s5, 21
	s_and_b64 s[4:5], s[36:37], s[4:5]
	s_mov_b64 exec, s[4:5]
	s_cbranch_execz .LBB76_120
; %bb.113:
	s_and_saveexec_b64 s[38:39], s[28:29]
	s_cbranch_execz .LBB76_119
; %bb.114:
	v_mul_lo_u32 v6, v85, s67
	v_ashrrev_i32_e32 v7, 31, v6
	v_mov_b32_e32 v8, 0x100
	v_lshl_add_u64 v[6:7], v[6:7], 2, v[4:5]
	v_lshl_add_u32 v13, v3, 2, v8
	v_mul_lo_u32 v8, v2, s66
	s_lshl_b32 s4, s66, 6
	s_mov_b64 s[40:41], 0
	v_mov_b32_e32 v14, v2
	s_branch .LBB76_116
.LBB76_115:                             ;   in Loop: Header=BB76_116 Depth=1
	s_or_b64 exec, exec, s[42:43]
	v_add_u32_e32 v14, 64, v14
	v_cmp_le_i32_e64 s[30:31], s62, v14
	s_xor_b64 s[6:7], s[24:25], -1
	s_or_b64 s[6:7], s[6:7], s[30:31]
	s_and_b64 s[6:7], exec, s[6:7]
	s_or_b64 s[40:41], s[6:7], s[40:41]
	v_add_u32_e32 v8, s4, v8
	s_andn2_b64 exec, exec, s[40:41]
	s_cbranch_execz .LBB76_118
.LBB76_116:                             ; =>This Inner Loop Header: Depth=1
	v_ashrrev_i32_e32 v9, 31, v8
	v_lshl_add_u64 v[16:17], v[8:9], 2, v[6:7]
	global_load_dword v9, v[16:17], off
	s_waitcnt vmcnt(0)
	v_cmp_ne_u32_e64 s[24:25], v9, v10
	v_cmp_eq_u32_e64 s[30:31], v9, v10
	s_and_saveexec_b64 s[42:43], s[30:31]
	s_cbranch_execz .LBB76_115
; %bb.117:                              ;   in Loop: Header=BB76_116 Depth=1
	v_mov_b32_e32 v1, 1
	ds_write_b32 v13, v14 offset:44
	s_branch .LBB76_115
.LBB76_118:
	s_or_b64 exec, exec, s[40:41]
.LBB76_119:
	s_or_b64 exec, exec, s[38:39]
.LBB76_120:
	s_or_b64 exec, exec, s[36:37]
	v_mul_hi_u32 v6, v11, v12
	s_and_saveexec_b64 s[24:25], vcc
; %bb.121:
	v_mov_b32_e32 v7, 0x100
	v_lshl_add_u32 v7, v3, 2, v7
	v_mov_b32_e32 v8, -1
	ds_write_b32 v7, v8 offset:48
; %bb.122:
	s_or_b64 exec, exec, s[24:25]
	s_load_dwordx4 s[12:15], s[0:1], 0x54
	v_add_u32_e32 v86, 12, v3
	s_abs_i32 s4, s26
	v_add_u32_e32 v8, v11, v6
	v_add_u32_e32 v6, v86, v74
	v_cmp_gt_i32_e64 s[6:7], s61, v6
	s_mov_b64 s[30:31], exec
	s_nop 0
	v_writelane_b32 v102, s6, 22
	s_nop 1
	v_writelane_b32 v102, s7, 23
	s_and_b64 s[6:7], s[30:31], s[6:7]
	s_mov_b64 exec, s[6:7]
	s_cbranch_execz .LBB76_130
; %bb.123:
	s_and_saveexec_b64 s[36:37], s[28:29]
	s_cbranch_execz .LBB76_129
; %bb.124:
	v_mul_lo_u32 v6, v86, s67
	v_ashrrev_i32_e32 v7, 31, v6
	v_lshl_add_u64 v[4:5], v[6:7], 2, v[4:5]
	v_mov_b32_e32 v6, 0x100
	v_lshl_add_u32 v9, v3, 2, v6
	v_mul_lo_u32 v6, v2, s66
	s_lshl_b32 s5, s66, 6
	s_mov_b64 s[38:39], 0
	v_mov_b32_e32 v11, v2
	s_branch .LBB76_126
.LBB76_125:                             ;   in Loop: Header=BB76_126 Depth=1
	s_or_b64 exec, exec, s[40:41]
	v_add_u32_e32 v11, 64, v11
	v_cmp_le_i32_e64 s[28:29], s62, v11
	s_xor_b64 s[6:7], vcc, -1
	s_or_b64 s[6:7], s[6:7], s[28:29]
	s_and_b64 s[6:7], exec, s[6:7]
	s_or_b64 s[38:39], s[6:7], s[38:39]
	v_add_u32_e32 v6, s5, v6
	s_andn2_b64 exec, exec, s[38:39]
	s_cbranch_execz .LBB76_128
.LBB76_126:                             ; =>This Inner Loop Header: Depth=1
	v_ashrrev_i32_e32 v7, 31, v6
	v_lshl_add_u64 v[12:13], v[6:7], 2, v[4:5]
	global_load_dword v7, v[12:13], off
	s_waitcnt vmcnt(0)
	v_cmp_ne_u32_e32 vcc, v7, v10
	v_cmp_eq_u32_e64 s[28:29], v7, v10
	s_and_saveexec_b64 s[40:41], s[28:29]
	s_cbranch_execz .LBB76_125
; %bb.127:                              ;   in Loop: Header=BB76_126 Depth=1
	v_mov_b32_e32 v1, 1
	ds_write_b32 v9, v11 offset:48
	s_branch .LBB76_125
.LBB76_128:
	s_or_b64 exec, exec, s[38:39]
.LBB76_129:
	s_or_b64 exec, exec, s[36:37]
.LBB76_130:
	s_or_b64 exec, exec, s[30:31]
	s_load_dwordx2 s[6:7], s[34:35], 0xc
	s_load_dwordx2 s[30:31], s[0:1], 0x8
	;; [unrolled: 1-line block ×3, first 2 shown]
	v_or_b32_dpp v1, v1, v1 row_shl:1 row_mask:0xf bank_mask:0xf bound_ctrl:1
	v_mul_hi_u32 v4, s4, v8
	s_waitcnt lgkmcnt(0)
	s_and_b32 s5, s7, 0xffff
	s_lshr_b32 s7, s6, 16
	v_writelane_b32 v102, s8, 24
	s_and_b32 s6, s6, 0xffff
	v_or_b32_dpp v1, v1, v1 row_shl:2 row_mask:0xf bank_mask:0xf bound_ctrl:1
	v_writelane_b32 v102, s9, 25
	s_mul_i32 s8, s7, s6
	v_or_b32_dpp v1, v1, v1 row_shl:4 row_mask:0xf bank_mask:0xf bound_ctrl:1
	s_bfe_i32 s8, s8, 0x180000
	s_mul_i32 s5, s8, s5
	v_or_b32_dpp v1, v1, v1 row_shl:8 row_mask:0xf bank_mask:0xf bound_ctrl:1
	s_add_i32 s8, s5, 63
	s_bitcmp1_b32 exec_hi, 0
	v_mov_b32_dpp v5, v1 wave_shl:1 row_mask:0xf bank_mask:0xf bound_ctrl:1
	s_nop 1
	v_or_b32_dpp v1, v5, v1 row_mirror row_mask:0xf bank_mask:0xf bound_ctrl:1
	s_nop 0
	v_readlane_b32 s5, v1, 32
	s_cselect_b32 s5, s5, 0
	v_readlane_b32 s9, v1, 0
	s_or_b32 s5, s5, s9
	s_andn2_b32 s8, s8, 63
	s_cmp_lg_u32 s8, 64
	v_mov_b32_e32 v1, s5
	s_cbranch_scc0 .LBB76_137
; %bb.131:
	v_bfe_u32 v0, v0, 20, 10
	v_mbcnt_lo_u32_b32 v1, -1, 0
	v_mad_u32_u24 v0, v0, s7, v3
	v_mbcnt_hi_u32_b32 v5, -1, v1
	v_mad_u64_u32 v[0:1], s[6:7], v0, s6, v[2:3]
	v_lshrrev_b32_e32 v1, 6, v0
	v_or_b32_e32 v1, v5, v1
	v_cmp_eq_u32_e32 vcc, 0, v1
	s_and_saveexec_b64 s[28:29], vcc
; %bb.132:
	v_mov_b32_e32 v1, 0
	v_mov_b32_e32 v6, s5
	ds_write_b32 v1, v6
; %bb.133:
	s_or_b64 exec, exec, s[28:29]
	v_cmp_eq_u32_e32 vcc, 0, v5
	v_cmp_lt_u32_e64 s[28:29], 63, v0
	s_and_b64 s[6:7], s[28:29], vcc
	s_waitcnt lgkmcnt(0)
	; wave barrier
	s_and_saveexec_b64 s[28:29], s[6:7]
	s_cbranch_execz .LBB76_136
; %bb.134:
	v_mbcnt_lo_u32_b32 v0, exec_lo, 0
	v_mbcnt_hi_u32_b32 v0, exec_hi, v0
	v_cmp_eq_u32_e32 vcc, 0, v0
	s_and_b64 exec, exec, vcc
; %bb.135:
	v_mov_b32_e32 v0, 0
	v_mov_b32_e32 v1, s5
	ds_or_b32 v0, v1
.LBB76_136:
	s_or_b64 exec, exec, s[28:29]
	v_mov_b32_e32 v0, 0
	s_waitcnt lgkmcnt(0)
	; wave barrier
	ds_read_b32 v1, v0
	s_waitcnt lgkmcnt(0)
	; wave barrier
.LBB76_137:
	s_load_dwordx2 s[0:1], s[0:1], 0x0
	v_cmp_ne_u32_e32 vcc, 0, v1
	s_ashr_i32 s5, s26, 31
	s_ashr_i32 s6, s71, 31
	s_cbranch_vccz .LBB76_248
; %bb.138:
	v_lshlrev_b32_e32 v87, 6, v3
	v_add_u32_e32 v88, v87, v2
	v_cmp_le_i32_e32 vcc, s60, v88
	v_and_b32_e32 v0, 15, v2
                                        ; implicit-def: $vgpr89
	s_and_saveexec_b64 s[8:9], vcc
	s_xor_b64 s[28:29], exec, s[8:9]
; %bb.139:
	v_mul_u32_u24_e32 v89, 0x108, v0
                                        ; implicit-def: $vgpr88
                                        ; implicit-def: $vgpr4
                                        ; implicit-def: $vgpr10
                                        ; implicit-def: $vgpr0
; %bb.140:
	s_or_saveexec_b64 s[8:9], s[28:29]
	s_lshl_b32 s7, s2, 6
	v_mov_b32_e32 v1, 0
	v_accvgpr_write_b32 a0, 0
	v_accvgpr_write_b32 a1, 0
	;; [unrolled: 1-line block ×16, first 2 shown]
	v_writelane_b32 v102, s8, 26
	s_nop 1
	v_writelane_b32 v102, s9, 27
	s_xor_b64 exec, exec, s[8:9]
	s_cbranch_execz .LBB76_196
; %bb.141:
	v_mul_lo_u32 v5, v4, s3
	v_sub_u32_e32 v5, s4, v5
	v_add_u32_e32 v6, 1, v4
	v_subrev_u32_e32 v7, s3, v5
	v_cmp_le_u32_e32 vcc, s3, v5
	v_writelane_b32 v102, s44, 28
	s_xor_b32 s2, s5, s6
	v_cndmask_b32_e32 v4, v4, v6, vcc
	v_cndmask_b32_e32 v5, v5, v7, vcc
	v_add_u32_e32 v6, 1, v4
	v_cmp_le_u32_e32 vcc, s3, v5
	v_writelane_b32 v102, s45, 29
	v_writelane_b32 v102, s7, 30
	v_cndmask_b32_e32 v4, v4, v6, vcc
	v_xor_b32_e32 v4, s2, v4
	v_subrev_u32_e32 v4, s2, v4
	s_mul_i32 s2, s63, s7
	s_movk_i32 s4, 0x1080
	v_mov_b32_e32 v90, 0x100
	v_writelane_b32 v102, s26, 31
	v_mul_hi_i32 v5, v4, s12
	v_mul_lo_u32 v4, v4, s12
	v_mul_lo_u32 v6, v10, s68
	s_ashr_i32 s3, s2, 31
	v_mad_u32_u24 v12, v3, s4, v90
	s_mul_hi_i32 s5, s13, s26
	v_writelane_b32 v102, s12, 32
	s_mul_i32 s4, s13, s26
	v_ashrrev_i32_e32 v7, 31, v6
	s_lshl_b64 s[2:3], s[2:3], 2
	s_lshl_b64 s[4:5], s[4:5], 2
	v_lshlrev_b64 v[8:9], 2, v[4:5]
	v_lshlrev_b64 v[10:11], 2, v[6:7]
	v_writelane_b32 v102, s13, 33
	v_mul_hi_i32 v7, v74, s64
	v_mul_lo_u32 v6, v74, s64
	s_add_u32 s4, s30, s4
	s_waitcnt lgkmcnt(0)
	v_lshl_add_u64 v[4:5], s[0:1], 0, v[8:9]
	v_writelane_b32 v102, s14, 34
	s_addc_u32 s5, s31, s5
	v_lshlrev_b64 v[6:7], 2, v[6:7]
	v_mul_u32_u24_e32 v89, 0x108, v0
	v_lshrrev_b32_e32 v0, 1, v2
	v_lshl_add_u64 v[8:9], v[8:9], 0, s[2:3]
	v_writelane_b32 v102, s15, 35
	v_lshl_add_u64 v[6:7], s[4:5], 0, v[6:7]
	v_and_b32_e32 v0, 0x1f8, v0
	s_lshl_b32 s4, s64, 1
	v_lshl_add_u64 v[8:9], v[8:9], 0, v[10:11]
	v_lshl_add_u64 v[4:5], v[4:5], 0, v[10:11]
	v_lshl_add_u32 v91, v2, 2, v12
	v_add3_u32 v92, v12, v89, v0
	v_add_u32_e32 v12, 1, v74
	v_add_u32_e32 v13, 2, v74
	v_writelane_b32 v102, s4, 36
	v_add_u32_e32 v14, 3, v74
	v_add_u32_e32 v15, 4, v74
	s_lshl_b32 s4, s64, 2
	v_add_u32_e32 v16, 5, v74
	v_add_u32_e32 v17, 6, v74
	v_add_u32_e32 v18, 7, v74
	v_add_u32_e32 v19, 8, v74
	v_add_u32_e32 v20, 9, v74
	v_add_u32_e32 v21, 10, v74
	v_add_u32_e32 v22, 11, v74
	v_add_u32_e32 v23, 12, v74
	s_ashr_i32 s19, s63, 31
	s_mov_b32 s18, s63
	v_lshl_add_u64 v[8:9], s[0:1], 0, v[8:9]
	v_lshlrev_b32_e32 v0, 2, v88
	v_lshl_add_u64 v[4:5], v[4:5], 0, s[2:3]
	v_writelane_b32 v102, s4, 37
	s_lshl_b32 s71, s64, 3
	s_add_i32 s72, s63, s63
	s_mul_i32 s73, s63, 3
	s_lshl_b32 s75, s63, 2
	s_mul_i32 s76, s63, 5
	s_mul_i32 s77, s63, 6
	;; [unrolled: 1-line block ×3, first 2 shown]
	s_lshl_b32 s79, s63, 3
	s_mul_i32 s80, s63, 9
	s_mul_i32 s81, s63, 10
	;; [unrolled: 1-line block ×7, first 2 shown]
	s_lshl_b32 s87, s63, 4
	s_mul_i32 s88, s63, 17
	s_mul_i32 s89, s63, 18
	;; [unrolled: 1-line block ×15, first 2 shown]
	s_lshl_b32 s57, s63, 5
	s_mul_i32 s54, s63, 33
	s_mul_i32 s55, s63, 34
	s_mul_i32 s6, s63, 35
	s_mul_i32 s7, s63, 36
	s_mul_i32 s8, s63, 37
	s_mul_i32 s9, s63, 38
	s_mul_i32 s5, s63, 39
	s_mul_i32 s10, s63, 40
	s_mul_i32 s11, s63, 41
	s_mul_i32 s12, s63, 42
	s_mul_i32 s13, s63, 43
	s_mul_i32 s14, s63, 44
	v_cmp_gt_i32_e64 s[0:1], s61, v74
	s_mul_i32 s15, s63, 45
	s_mul_i32 s16, s63, 46
	s_lshl_b64 s[2:3], s[18:19], 2
	v_accvgpr_write_b32 a15, 0
	v_accvgpr_write_b32 a14, 0
	;; [unrolled: 1-line block ×16, first 2 shown]
	v_lshl_add_u64 v[8:9], v[8:9], 0, v[0:1]
	s_mul_i32 s17, s63, 47
	s_mul_i32 s18, s63, 48
	;; [unrolled: 1-line block ×17, first 2 shown]
	v_cmp_gt_i32_e64 s[28:29], s61, v12
	v_cmp_gt_i32_e64 s[30:31], s61, v13
	;; [unrolled: 1-line block ×12, first 2 shown]
	s_mov_b64 s[62:63], 0
	s_branch .LBB76_144
.LBB76_142:                             ;   in Loop: Header=BB76_144 Depth=1
	v_mul_lo_u32 v0, v0, s69
	s_mul_i32 s61, s64, 12
	v_add_u32_e32 v0, s61, v0
	v_add_u32_e32 v94, v0, v88
	v_ashrrev_i32_e32 v95, 31, v94
	v_lshl_add_u64 v[94:95], v[94:95], 2, v[6:7]
	global_load_dword v0, v[94:95], off
.LBB76_143:                             ;   in Loop: Header=BB76_144 Depth=1
	v_add_u32_e32 v93, 0xc00, v91
	s_waitcnt vmcnt(0)
	ds_write2_b32 v93, v0, v1 offset0:40 offset1:106
	ds_write2_b32 v93, v1, v1 offset0:172 offset1:238
	ds_read2_b64 v[94:97], v92 offset0:8 offset1:12
	v_add_u32_e32 v88, 64, v88
	s_mov_b64 vcc, 0x100
	v_lshl_add_u64 v[8:9], v[8:9], 0, vcc
	v_cmp_le_i32_e32 vcc, s60, v88
	s_waitcnt lgkmcnt(0)
	v_mfma_f32_16x16x4_f32 a[12:15], v16, v94, a[12:15]
	s_or_b64 s[62:63], vcc, s[62:63]
	v_mfma_f32_16x16x4_f32 a[8:11], v50, v94, a[8:11]
	v_mfma_f32_16x16x4_f32 a[4:7], v60, v94, a[4:7]
	;; [unrolled: 1-line block ×12, first 2 shown]
	ds_read2_b64 v[14:17], v92 offset0:16 offset1:20
	v_mfma_f32_16x16x4_f32 a[8:11], v47, v97, a[8:11]
	v_mfma_f32_16x16x4_f32 a[4:7], v57, v97, a[4:7]
	v_mfma_f32_16x16x4_f32 a[0:3], v71, v97, a[0:3]
	s_waitcnt lgkmcnt(0)
	v_mfma_f32_16x16x4_f32 a[12:15], v12, v14, a[12:15]
	v_mfma_f32_16x16x4_f32 a[8:11], v42, v14, a[8:11]
	;; [unrolled: 1-line block ×13, first 2 shown]
	ds_read2_b64 v[10:13], v92 offset0:24 offset1:28
	v_mfma_f32_16x16x4_f32 a[8:11], v39, v17, a[8:11]
	v_mfma_f32_16x16x4_f32 a[4:7], v49, v17, a[4:7]
	;; [unrolled: 1-line block ×3, first 2 shown]
	s_waitcnt lgkmcnt(0)
	v_mfma_f32_16x16x4_f32 a[12:15], v26, v10, a[12:15]
	v_mfma_f32_16x16x4_f32 a[8:11], v34, v10, a[8:11]
	;; [unrolled: 1-line block ×16, first 2 shown]
	ds_read2_b64 v[10:13], v92 offset0:32 offset1:36
	s_waitcnt lgkmcnt(0)
	v_mfma_f32_16x16x4_f32 a[12:15], v20, v10, a[12:15]
	v_mfma_f32_16x16x4_f32 a[8:11], v28, v10, a[8:11]
	;; [unrolled: 1-line block ×16, first 2 shown]
	s_andn2_b64 exec, exec, s[62:63]
	s_cbranch_execz .LBB76_195
.LBB76_144:                             ; =>This Inner Loop Header: Depth=1
	v_lshl_add_u64 v[10:11], v[8:9], 0, s[2:3]
	global_load_dword v0, v[8:9], off
	global_load_dword v26, v[10:11], off
	v_add_u32_e32 v10, s72, v88
	v_add_u32_e32 v14, s75, v88
	;; [unrolled: 1-line block ×4, first 2 shown]
	v_ashrrev_i32_e32 v11, 31, v10
	v_add_u32_e32 v12, s73, v88
	v_ashrrev_i32_e32 v15, 31, v14
	v_ashrrev_i32_e32 v17, 31, v16
	v_add_u32_e32 v18, s77, v88
	v_add_u32_e32 v20, s78, v88
	v_ashrrev_i32_e32 v23, 31, v22
	v_add_u32_e32 v24, s80, v88
	v_lshl_add_u64 v[10:11], v[10:11], 2, v[4:5]
	v_ashrrev_i32_e32 v13, 31, v12
	v_lshl_add_u64 v[14:15], v[14:15], 2, v[4:5]
	v_lshl_add_u64 v[16:17], v[16:17], 2, v[4:5]
	v_ashrrev_i32_e32 v19, 31, v18
	v_ashrrev_i32_e32 v21, 31, v20
	v_lshl_add_u64 v[22:23], v[22:23], 2, v[4:5]
	v_ashrrev_i32_e32 v25, 31, v24
	v_lshl_add_u64 v[12:13], v[12:13], 2, v[4:5]
	v_lshl_add_u64 v[18:19], v[18:19], 2, v[4:5]
	;; [unrolled: 1-line block ×4, first 2 shown]
	global_load_dword v27, v[10:11], off
	global_load_dword v28, v[12:13], off
	;; [unrolled: 1-line block ×6, first 2 shown]
	s_nop 0
	global_load_dword v22, v[22:23], off
	s_nop 0
	global_load_dword v23, v[24:25], off
	v_add_u32_e32 v10, s81, v88
	v_add_u32_e32 v14, s83, v88
	;; [unrolled: 1-line block ×3, first 2 shown]
	v_ashrrev_i32_e32 v11, 31, v10
	v_add_u32_e32 v12, s82, v88
	v_ashrrev_i32_e32 v15, 31, v14
	v_ashrrev_i32_e32 v17, 31, v16
	v_add_u32_e32 v18, s85, v88
	v_add_u32_e32 v20, s86, v88
	v_lshl_add_u64 v[10:11], v[10:11], 2, v[4:5]
	v_ashrrev_i32_e32 v13, 31, v12
	v_lshl_add_u64 v[14:15], v[14:15], 2, v[4:5]
	v_lshl_add_u64 v[16:17], v[16:17], 2, v[4:5]
	v_ashrrev_i32_e32 v19, 31, v18
	v_ashrrev_i32_e32 v21, 31, v20
	v_lshl_add_u64 v[12:13], v[12:13], 2, v[4:5]
	v_lshl_add_u64 v[18:19], v[18:19], 2, v[4:5]
	;; [unrolled: 1-line block ×3, first 2 shown]
	global_load_dword v24, v[10:11], off
	global_load_dword v25, v[12:13], off
	s_nop 0
	global_load_dword v14, v[14:15], off
	s_nop 0
	;; [unrolled: 2-line block ×3, first 2 shown]
	global_load_dword v16, v[18:19], off
	global_load_dword v17, v[20:21], off
	v_add_u32_e32 v10, s87, v88
	v_add_u32_e32 v12, s88, v88
	v_ashrrev_i32_e32 v11, 31, v10
	v_ashrrev_i32_e32 v13, 31, v12
	v_lshl_add_u64 v[10:11], v[10:11], 2, v[4:5]
	v_add_u32_e32 v18, s89, v88
	v_lshl_add_u64 v[12:13], v[12:13], 2, v[4:5]
	global_load_dword v34, v[10:11], off
	global_load_dword v35, v[12:13], off
	v_ashrrev_i32_e32 v19, 31, v18
	v_add_u32_e32 v20, s90, v88
	v_lshl_add_u64 v[18:19], v[18:19], 2, v[4:5]
	v_ashrrev_i32_e32 v21, 31, v20
	v_lshl_add_u64 v[20:21], v[20:21], 2, v[4:5]
	s_andn2_b64 vcc, exec, s[0:1]
	s_waitcnt vmcnt(17)
	ds_write_b32 v91, v0 offset:64
	s_waitcnt vmcnt(16)
	ds_write_b32 v91, v26 offset:328
	;; [unrolled: 2-line block ×16, first 2 shown]
	v_add_u32_e32 v22, s91, v88
	v_add_u32_e32 v24, s92, v88
	v_add_u32_e32 v26, s93, v88
	v_add_u32_e32 v28, s94, v88
	v_add_u32_e32 v30, s95, v88
	v_add_u32_e32 v32, s96, v88
	v_ashrrev_i32_e32 v23, 31, v22
	v_ashrrev_i32_e32 v25, 31, v24
	v_ashrrev_i32_e32 v27, 31, v26
	v_ashrrev_i32_e32 v29, 31, v28
	v_ashrrev_i32_e32 v31, 31, v30
	v_ashrrev_i32_e32 v33, 31, v32
	ds_read_b64 v[16:17], v92 offset:64
	ds_read_b64 v[14:15], v92 offset:96
	;; [unrolled: 1-line block ×4, first 2 shown]
	v_lshl_add_u64 v[22:23], v[22:23], 2, v[4:5]
	v_lshl_add_u64 v[24:25], v[24:25], 2, v[4:5]
	v_lshl_add_u64 v[26:27], v[26:27], 2, v[4:5]
	v_lshl_add_u64 v[28:29], v[28:29], 2, v[4:5]
	v_lshl_add_u64 v[30:31], v[30:31], 2, v[4:5]
	v_lshl_add_u64 v[32:33], v[32:33], 2, v[4:5]
	global_load_dword v0, v[18:19], off
	global_load_dword v36, v[20:21], off
	global_load_dword v37, v[22:23], off
	global_load_dword v38, v[24:25], off
	global_load_dword v39, v[26:27], off
	global_load_dword v40, v[28:29], off
	global_load_dword v41, v[30:31], off
	global_load_dword v42, v[32:33], off
	v_add_u32_e32 v18, s97, v88
	v_ashrrev_i32_e32 v19, 31, v18
	v_add_u32_e32 v20, s98, v88
	v_add_u32_e32 v22, s99, v88
	v_add_u32_e32 v24, s26, v88
	v_add_u32_e32 v26, s27, v88
	v_add_u32_e32 v28, s56, v88
	v_add_u32_e32 v30, s57, v88
	v_add_u32_e32 v32, s54, v88
	v_lshl_add_u64 v[18:19], v[18:19], 2, v[4:5]
	v_ashrrev_i32_e32 v21, 31, v20
	v_ashrrev_i32_e32 v23, 31, v22
	v_ashrrev_i32_e32 v25, 31, v24
	v_ashrrev_i32_e32 v27, 31, v26
	v_ashrrev_i32_e32 v29, 31, v28
	v_ashrrev_i32_e32 v31, 31, v30
	v_ashrrev_i32_e32 v33, 31, v32
	v_lshl_add_u64 v[20:21], v[20:21], 2, v[4:5]
	v_lshl_add_u64 v[22:23], v[22:23], 2, v[4:5]
	v_lshl_add_u64 v[24:25], v[24:25], 2, v[4:5]
	v_lshl_add_u64 v[26:27], v[26:27], 2, v[4:5]
	v_lshl_add_u64 v[28:29], v[28:29], 2, v[4:5]
	v_lshl_add_u64 v[30:31], v[30:31], 2, v[4:5]
	v_lshl_add_u64 v[32:33], v[32:33], 2, v[4:5]
	global_load_dword v43, v[18:19], off
	global_load_dword v44, v[20:21], off
	global_load_dword v45, v[22:23], off
	global_load_dword v46, v[24:25], off
	global_load_dword v47, v[26:27], off
	global_load_dword v48, v[28:29], off
	global_load_dword v49, v[30:31], off
	global_load_dword v52, v[32:33], off
	v_add_u32_e32 v18, s55, v88
	v_ashrrev_i32_e32 v19, 31, v18
	v_add_u32_e32 v20, s6, v88
	v_add_u32_e32 v22, s7, v88
	v_add_u32_e32 v24, s8, v88
	v_add_u32_e32 v26, s9, v88
	v_add_u32_e32 v28, s5, v88
	v_add_u32_e32 v30, s10, v88
	v_add_u32_e32 v32, s11, v88
	v_lshl_add_u64 v[18:19], v[18:19], 2, v[4:5]
	v_ashrrev_i32_e32 v21, 31, v20
	v_ashrrev_i32_e32 v23, 31, v22
	v_ashrrev_i32_e32 v25, 31, v24
	v_ashrrev_i32_e32 v27, 31, v26
	v_ashrrev_i32_e32 v29, 31, v28
	v_ashrrev_i32_e32 v31, 31, v30
	v_ashrrev_i32_e32 v33, 31, v32
	v_lshl_add_u64 v[20:21], v[20:21], 2, v[4:5]
	;; [unrolled: 32-line block ×4, first 2 shown]
	v_lshl_add_u64 v[22:23], v[22:23], 2, v[4:5]
	v_lshl_add_u64 v[24:25], v[24:25], 2, v[4:5]
	;; [unrolled: 1-line block ×6, first 2 shown]
	global_load_dword v69, v[18:19], off
	global_load_dword v70, v[20:21], off
	;; [unrolled: 1-line block ×8, first 2 shown]
	v_add_u32_e32 v18, s58, v88
	v_ashrrev_i32_e32 v19, 31, v18
	v_add_u32_e32 v20, s59, v88
	v_add_u32_e32 v22, s74, v88
	;; [unrolled: 1-line block ×5, first 2 shown]
	v_lshl_add_u64 v[18:19], v[18:19], 2, v[4:5]
	v_ashrrev_i32_e32 v21, 31, v20
	v_ashrrev_i32_e32 v23, 31, v22
	;; [unrolled: 1-line block ×5, first 2 shown]
	v_lshl_add_u64 v[20:21], v[20:21], 2, v[4:5]
	v_lshl_add_u64 v[22:23], v[22:23], 2, v[4:5]
	;; [unrolled: 1-line block ×5, first 2 shown]
	global_load_dword v96, v[18:19], off
	global_load_dword v97, v[20:21], off
	;; [unrolled: 1-line block ×6, first 2 shown]
	ds_read_b64 v[26:27], v92 offset:192
	ds_read_b64 v[22:23], v92 offset:224
	ds_read_b64 v[20:21], v92 offset:256
	ds_read_b64 v[18:19], v92 offset:288
	s_waitcnt vmcnt(47)
	ds_write_b32 v91, v34 offset:64
	s_waitcnt vmcnt(46)
	ds_write_b32 v91, v35 offset:328
	s_waitcnt vmcnt(45)
	ds_write_b32 v91, v0 offset:592
	s_waitcnt vmcnt(44)
	ds_write_b32 v91, v36 offset:856
	s_waitcnt vmcnt(43)
	ds_write_b32 v91, v37 offset:1120
	s_waitcnt vmcnt(42)
	ds_write_b32 v91, v38 offset:1384
	s_waitcnt vmcnt(41)
	ds_write_b32 v91, v39 offset:1648
	s_waitcnt vmcnt(40)
	ds_write_b32 v91, v40 offset:1912
	s_waitcnt vmcnt(39)
	ds_write_b32 v91, v41 offset:2176
	s_waitcnt vmcnt(38)
	ds_write_b32 v91, v42 offset:2440
	s_waitcnt vmcnt(37)
	ds_write_b32 v91, v43 offset:2704
	s_waitcnt vmcnt(36)
	ds_write_b32 v91, v44 offset:2968
	s_waitcnt vmcnt(35)
	ds_write_b32 v91, v45 offset:3232
	s_waitcnt vmcnt(34)
	ds_write_b32 v91, v46 offset:3496
	s_waitcnt vmcnt(33)
	ds_write_b32 v91, v47 offset:3760
	s_waitcnt vmcnt(32)
	ds_write_b32 v91, v48 offset:4024
	ds_read_b64 v[50:51], v92 offset:64
	ds_read_b64 v[46:47], v92 offset:96
	ds_read_b64 v[42:43], v92 offset:128
	ds_read_b64 v[38:39], v92 offset:160
	ds_read_b64 v[34:35], v92 offset:192
	ds_read_b64 v[30:31], v92 offset:224
	ds_read_b64 v[28:29], v92 offset:256
	ds_read_b64 v[24:25], v92 offset:288
	s_waitcnt vmcnt(31)
	ds_write_b32 v91, v49 offset:64
	s_waitcnt vmcnt(30)
	ds_write_b32 v91, v52 offset:328
	s_waitcnt vmcnt(29)
	ds_write_b32 v91, v53 offset:592
	s_waitcnt vmcnt(28)
	ds_write_b32 v91, v54 offset:856
	s_waitcnt vmcnt(27)
	ds_write_b32 v91, v55 offset:1120
	s_waitcnt vmcnt(26)
	ds_write_b32 v91, v56 offset:1384
	s_waitcnt vmcnt(25)
	ds_write_b32 v91, v57 offset:1648
	s_waitcnt vmcnt(24)
	ds_write_b32 v91, v58 offset:1912
	s_waitcnt vmcnt(23)
	ds_write_b32 v91, v59 offset:2176
	s_waitcnt vmcnt(22)
	ds_write_b32 v91, v60 offset:2440
	s_waitcnt vmcnt(21)
	ds_write_b32 v91, v61 offset:2704
	s_waitcnt vmcnt(20)
	ds_write_b32 v91, v62 offset:2968
	s_waitcnt vmcnt(19)
	ds_write_b32 v91, v63 offset:3232
	s_waitcnt vmcnt(18)
	ds_write_b32 v91, v64 offset:3496
	s_waitcnt vmcnt(17)
	ds_write_b32 v91, v65 offset:3760
	s_waitcnt vmcnt(16)
	ds_write_b32 v91, v66 offset:4024
	ds_read_b64 v[60:61], v92 offset:64
	ds_read_b64 v[56:57], v92 offset:96
	ds_read_b64 v[54:55], v92 offset:128
	ds_read_b64 v[48:49], v92 offset:160
	ds_read_b64 v[44:45], v92 offset:192
	ds_read_b64 v[40:41], v92 offset:224
	ds_read_b64 v[36:37], v92 offset:256
	ds_read_b64 v[32:33], v92 offset:288
	s_waitcnt vmcnt(15)
	ds_write_b32 v91, v67 offset:64
	s_waitcnt vmcnt(14)
	ds_write_b32 v91, v68 offset:328
	s_waitcnt vmcnt(13)
	ds_write_b32 v91, v69 offset:592
	s_waitcnt vmcnt(12)
	ds_write_b32 v91, v70 offset:856
	s_waitcnt vmcnt(11)
	ds_write_b32 v91, v71 offset:1120
	s_waitcnt vmcnt(10)
	ds_write_b32 v91, v72 offset:1384
	s_waitcnt vmcnt(9)
	ds_write_b32 v91, v73 offset:1648
	s_waitcnt vmcnt(8)
	ds_write_b32 v91, v93 offset:1912
	s_waitcnt vmcnt(7)
	ds_write_b32 v91, v94 offset:2176
	s_waitcnt vmcnt(6)
	ds_write_b32 v91, v95 offset:2440
	s_waitcnt vmcnt(5)
	ds_write_b32 v91, v96 offset:2704
	s_waitcnt vmcnt(4)
	ds_write_b32 v91, v97 offset:2968
	s_waitcnt vmcnt(3)
	ds_write_b32 v91, v98 offset:3232
	s_waitcnt vmcnt(2)
	ds_write_b32 v91, v99 offset:3496
	s_waitcnt vmcnt(1)
	ds_write_b32 v91, v100 offset:3760
	s_waitcnt vmcnt(0)
	ds_write_b32 v91, v101 offset:4024
	ds_read_b64 v[72:73], v92 offset:64
	ds_read_b64 v[70:71], v92 offset:96
	ds_read_b64 v[68:69], v92 offset:128
	ds_read_b64 v[66:67], v92 offset:160
	ds_read_b64 v[64:65], v92 offset:192
	ds_read_b64 v[62:63], v92 offset:224
	;; [unrolled: 1-line block ×4, first 2 shown]
	v_mov_b32_e32 v0, 0
	s_cbranch_vccnz .LBB76_148
; %bb.145:                              ;   in Loop: Header=BB76_144 Depth=1
	ds_read_b32 v0, v90
	s_waitcnt lgkmcnt(0)
	v_cmp_gt_i32_e32 vcc, 0, v0
	s_cbranch_vccnz .LBB76_147
; %bb.146:                              ;   in Loop: Header=BB76_144 Depth=1
	v_mul_lo_u32 v0, v0, s69
	v_add_u32_e32 v94, v88, v0
	v_ashrrev_i32_e32 v95, 31, v94
	v_lshl_add_u64 v[94:95], v[94:95], 2, v[6:7]
	global_load_dword v0, v[94:95], off
	s_branch .LBB76_148
.LBB76_147:                             ;   in Loop: Header=BB76_144 Depth=1
	v_mov_b32_e32 v0, 0
.LBB76_148:                             ;   in Loop: Header=BB76_144 Depth=1
	s_waitcnt vmcnt(0)
	ds_write_b32 v91, v0 offset:64
	v_mov_b32_e32 v93, 0
	s_andn2_b64 vcc, exec, s[28:29]
	v_mov_b32_e32 v0, 0
	s_cbranch_vccnz .LBB76_151
; %bb.149:                              ;   in Loop: Header=BB76_144 Depth=1
	ds_read_b32 v0, v90 offset:4
	s_waitcnt lgkmcnt(0)
	v_cmp_gt_i32_e32 vcc, 0, v0
	s_cbranch_vccnz .LBB76_154
; %bb.150:                              ;   in Loop: Header=BB76_144 Depth=1
	v_mul_lo_u32 v0, v0, s69
	v_add_u32_e32 v0, s64, v0
	v_add_u32_e32 v94, v0, v88
	v_ashrrev_i32_e32 v95, 31, v94
	v_lshl_add_u64 v[94:95], v[94:95], 2, v[6:7]
	global_load_dword v0, v[94:95], off
.LBB76_151:                             ;   in Loop: Header=BB76_144 Depth=1
	s_andn2_b64 vcc, exec, s[30:31]
	s_waitcnt vmcnt(0)
	ds_write_b32 v91, v0 offset:328
	s_cbranch_vccnz .LBB76_156
.LBB76_152:                             ;   in Loop: Header=BB76_144 Depth=1
	ds_read_b32 v0, v90 offset:8
	s_waitcnt lgkmcnt(0)
	v_cmp_gt_i32_e32 vcc, 0, v0
	s_cbranch_vccnz .LBB76_155
; %bb.153:                              ;   in Loop: Header=BB76_144 Depth=1
	v_mul_lo_u32 v0, v0, s69
	v_readlane_b32 s61, v102, 36
	s_nop 1
	v_add_u32_e32 v0, s61, v0
	v_add_u32_e32 v94, v0, v88
	v_ashrrev_i32_e32 v95, 31, v94
	v_lshl_add_u64 v[94:95], v[94:95], 2, v[6:7]
	global_load_dword v93, v[94:95], off
	s_branch .LBB76_156
.LBB76_154:                             ;   in Loop: Header=BB76_144 Depth=1
	v_mov_b32_e32 v0, 0
	s_andn2_b64 vcc, exec, s[30:31]
	ds_write_b32 v91, v0 offset:328
	s_cbranch_vccz .LBB76_152
	s_branch .LBB76_156
.LBB76_155:                             ;   in Loop: Header=BB76_144 Depth=1
	v_mov_b32_e32 v93, 0
.LBB76_156:                             ;   in Loop: Header=BB76_144 Depth=1
	s_waitcnt vmcnt(0)
	ds_write_b32 v91, v93 offset:592
	v_mov_b32_e32 v93, 0
	s_andn2_b64 vcc, exec, s[34:35]
	v_mov_b32_e32 v0, 0
	s_cbranch_vccnz .LBB76_159
; %bb.157:                              ;   in Loop: Header=BB76_144 Depth=1
	ds_read_b32 v0, v90 offset:12
	s_waitcnt lgkmcnt(0)
	v_cmp_gt_i32_e32 vcc, 0, v0
	s_cbranch_vccnz .LBB76_162
; %bb.158:                              ;   in Loop: Header=BB76_144 Depth=1
	v_mul_lo_u32 v0, v0, s69
	s_mul_i32 s61, s64, 3
	v_add_u32_e32 v0, s61, v0
	v_add_u32_e32 v94, v0, v88
	v_ashrrev_i32_e32 v95, 31, v94
	v_lshl_add_u64 v[94:95], v[94:95], 2, v[6:7]
	global_load_dword v0, v[94:95], off
.LBB76_159:                             ;   in Loop: Header=BB76_144 Depth=1
	s_andn2_b64 vcc, exec, s[36:37]
	s_waitcnt vmcnt(0)
	ds_write_b32 v91, v0 offset:856
	s_cbranch_vccnz .LBB76_164
.LBB76_160:                             ;   in Loop: Header=BB76_144 Depth=1
	ds_read_b32 v0, v90 offset:16
	s_waitcnt lgkmcnt(0)
	v_cmp_gt_i32_e32 vcc, 0, v0
	s_cbranch_vccnz .LBB76_163
; %bb.161:                              ;   in Loop: Header=BB76_144 Depth=1
	v_mul_lo_u32 v0, v0, s69
	v_readlane_b32 s61, v102, 37
	s_nop 1
	v_add_u32_e32 v0, s61, v0
	v_add_u32_e32 v94, v0, v88
	v_ashrrev_i32_e32 v95, 31, v94
	v_lshl_add_u64 v[94:95], v[94:95], 2, v[6:7]
	global_load_dword v93, v[94:95], off
	s_branch .LBB76_164
.LBB76_162:                             ;   in Loop: Header=BB76_144 Depth=1
	v_mov_b32_e32 v0, 0
	s_andn2_b64 vcc, exec, s[36:37]
	ds_write_b32 v91, v0 offset:856
	s_cbranch_vccz .LBB76_160
	s_branch .LBB76_164
.LBB76_163:                             ;   in Loop: Header=BB76_144 Depth=1
	v_mov_b32_e32 v93, 0
.LBB76_164:                             ;   in Loop: Header=BB76_144 Depth=1
	s_waitcnt vmcnt(0)
	ds_write_b32 v91, v93 offset:1120
	v_mov_b32_e32 v93, 0
	s_andn2_b64 vcc, exec, s[38:39]
	v_mov_b32_e32 v0, 0
	s_cbranch_vccnz .LBB76_167
; %bb.165:                              ;   in Loop: Header=BB76_144 Depth=1
	ds_read_b32 v0, v90 offset:20
	s_waitcnt lgkmcnt(0)
	v_cmp_gt_i32_e32 vcc, 0, v0
	s_cbranch_vccnz .LBB76_170
; %bb.166:                              ;   in Loop: Header=BB76_144 Depth=1
	v_mul_lo_u32 v0, v0, s69
	s_mul_i32 s61, s64, 5
	v_add_u32_e32 v0, s61, v0
	v_add_u32_e32 v94, v0, v88
	v_ashrrev_i32_e32 v95, 31, v94
	v_lshl_add_u64 v[94:95], v[94:95], 2, v[6:7]
	global_load_dword v0, v[94:95], off
.LBB76_167:                             ;   in Loop: Header=BB76_144 Depth=1
	s_andn2_b64 vcc, exec, s[40:41]
	s_waitcnt vmcnt(0)
	ds_write_b32 v91, v0 offset:1384
	s_cbranch_vccnz .LBB76_172
.LBB76_168:                             ;   in Loop: Header=BB76_144 Depth=1
	ds_read_b32 v0, v90 offset:24
	s_waitcnt lgkmcnt(0)
	v_cmp_gt_i32_e32 vcc, 0, v0
	s_cbranch_vccnz .LBB76_171
; %bb.169:                              ;   in Loop: Header=BB76_144 Depth=1
	v_mul_lo_u32 v0, v0, s69
	s_mul_i32 s61, s64, 6
	v_add_u32_e32 v0, s61, v0
	v_add_u32_e32 v94, v0, v88
	v_ashrrev_i32_e32 v95, 31, v94
	v_lshl_add_u64 v[94:95], v[94:95], 2, v[6:7]
	global_load_dword v93, v[94:95], off
	s_branch .LBB76_172
.LBB76_170:                             ;   in Loop: Header=BB76_144 Depth=1
	v_mov_b32_e32 v0, 0
	s_andn2_b64 vcc, exec, s[40:41]
	ds_write_b32 v91, v0 offset:1384
	s_cbranch_vccz .LBB76_168
	s_branch .LBB76_172
.LBB76_171:                             ;   in Loop: Header=BB76_144 Depth=1
	v_mov_b32_e32 v93, 0
.LBB76_172:                             ;   in Loop: Header=BB76_144 Depth=1
	s_waitcnt vmcnt(0)
	ds_write_b32 v91, v93 offset:1648
	v_mov_b32_e32 v93, 0
	s_andn2_b64 vcc, exec, s[42:43]
	v_mov_b32_e32 v0, 0
	s_cbranch_vccnz .LBB76_175
; %bb.173:                              ;   in Loop: Header=BB76_144 Depth=1
	ds_read_b32 v0, v90 offset:28
	s_waitcnt lgkmcnt(0)
	v_cmp_gt_i32_e32 vcc, 0, v0
	s_cbranch_vccnz .LBB76_178
; %bb.174:                              ;   in Loop: Header=BB76_144 Depth=1
	v_mul_lo_u32 v0, v0, s69
	s_mul_i32 s61, s64, 7
	v_add_u32_e32 v0, s61, v0
	v_add_u32_e32 v94, v0, v88
	v_ashrrev_i32_e32 v95, 31, v94
	v_lshl_add_u64 v[94:95], v[94:95], 2, v[6:7]
	global_load_dword v0, v[94:95], off
.LBB76_175:                             ;   in Loop: Header=BB76_144 Depth=1
	s_andn2_b64 vcc, exec, s[44:45]
	s_waitcnt vmcnt(0)
	ds_write_b32 v91, v0 offset:1912
	s_cbranch_vccnz .LBB76_180
.LBB76_176:                             ;   in Loop: Header=BB76_144 Depth=1
	ds_read_b32 v0, v90 offset:32
	s_waitcnt lgkmcnt(0)
	v_cmp_gt_i32_e32 vcc, 0, v0
	s_cbranch_vccnz .LBB76_179
; %bb.177:                              ;   in Loop: Header=BB76_144 Depth=1
	v_mul_lo_u32 v0, v0, s69
	v_add_u32_e32 v0, s71, v0
	v_add_u32_e32 v94, v0, v88
	v_ashrrev_i32_e32 v95, 31, v94
	v_lshl_add_u64 v[94:95], v[94:95], 2, v[6:7]
	global_load_dword v93, v[94:95], off
	s_branch .LBB76_180
.LBB76_178:                             ;   in Loop: Header=BB76_144 Depth=1
	v_mov_b32_e32 v0, 0
	s_andn2_b64 vcc, exec, s[44:45]
	ds_write_b32 v91, v0 offset:1912
	s_cbranch_vccz .LBB76_176
	s_branch .LBB76_180
.LBB76_179:                             ;   in Loop: Header=BB76_144 Depth=1
	v_mov_b32_e32 v93, 0
.LBB76_180:                             ;   in Loop: Header=BB76_144 Depth=1
	s_waitcnt vmcnt(0)
	ds_write_b32 v91, v93 offset:2176
	v_mov_b32_e32 v93, 0
	s_andn2_b64 vcc, exec, s[46:47]
	v_mov_b32_e32 v0, 0
	s_cbranch_vccnz .LBB76_183
; %bb.181:                              ;   in Loop: Header=BB76_144 Depth=1
	ds_read_b32 v0, v90 offset:36
	s_waitcnt lgkmcnt(0)
	v_cmp_gt_i32_e32 vcc, 0, v0
	s_cbranch_vccnz .LBB76_186
; %bb.182:                              ;   in Loop: Header=BB76_144 Depth=1
	v_mul_lo_u32 v0, v0, s69
	s_mul_i32 s61, s64, 9
	v_add_u32_e32 v0, s61, v0
	v_add_u32_e32 v94, v0, v88
	v_ashrrev_i32_e32 v95, 31, v94
	v_lshl_add_u64 v[94:95], v[94:95], 2, v[6:7]
	global_load_dword v0, v[94:95], off
.LBB76_183:                             ;   in Loop: Header=BB76_144 Depth=1
	s_andn2_b64 vcc, exec, s[48:49]
	s_waitcnt vmcnt(0)
	ds_write_b32 v91, v0 offset:2440
	s_cbranch_vccnz .LBB76_188
.LBB76_184:                             ;   in Loop: Header=BB76_144 Depth=1
	ds_read_b32 v0, v90 offset:40
	s_waitcnt lgkmcnt(0)
	v_cmp_gt_i32_e32 vcc, 0, v0
	s_cbranch_vccnz .LBB76_187
; %bb.185:                              ;   in Loop: Header=BB76_144 Depth=1
	v_mul_lo_u32 v0, v0, s69
	s_mul_i32 s61, s64, 10
	v_add_u32_e32 v0, s61, v0
	v_add_u32_e32 v94, v0, v88
	v_ashrrev_i32_e32 v95, 31, v94
	v_lshl_add_u64 v[94:95], v[94:95], 2, v[6:7]
	global_load_dword v93, v[94:95], off
	s_branch .LBB76_188
.LBB76_186:                             ;   in Loop: Header=BB76_144 Depth=1
	v_mov_b32_e32 v0, 0
	s_andn2_b64 vcc, exec, s[48:49]
	ds_write_b32 v91, v0 offset:2440
	s_cbranch_vccz .LBB76_184
	s_branch .LBB76_188
.LBB76_187:                             ;   in Loop: Header=BB76_144 Depth=1
	v_mov_b32_e32 v93, 0
.LBB76_188:                             ;   in Loop: Header=BB76_144 Depth=1
	s_waitcnt vmcnt(0)
	ds_write_b32 v91, v93 offset:2704
	v_mov_b32_e32 v0, 0
	s_andn2_b64 vcc, exec, s[50:51]
	v_mov_b32_e32 v93, 0
	s_cbranch_vccnz .LBB76_191
; %bb.189:                              ;   in Loop: Header=BB76_144 Depth=1
	ds_read_b32 v93, v90 offset:44
	s_waitcnt lgkmcnt(0)
	v_cmp_gt_i32_e32 vcc, 0, v93
	s_cbranch_vccnz .LBB76_194
; %bb.190:                              ;   in Loop: Header=BB76_144 Depth=1
	v_mul_lo_u32 v93, v93, s69
	s_mul_i32 s61, s64, 11
	v_add_u32_e32 v93, s61, v93
	v_add_u32_e32 v94, v93, v88
	v_ashrrev_i32_e32 v95, 31, v94
	v_lshl_add_u64 v[94:95], v[94:95], 2, v[6:7]
	global_load_dword v93, v[94:95], off
.LBB76_191:                             ;   in Loop: Header=BB76_144 Depth=1
	s_andn2_b64 vcc, exec, s[52:53]
	s_waitcnt vmcnt(0)
	ds_write_b32 v91, v93 offset:2968
	s_cbranch_vccnz .LBB76_143
.LBB76_192:                             ;   in Loop: Header=BB76_144 Depth=1
	ds_read_b32 v0, v90 offset:48
	s_waitcnt lgkmcnt(0)
	v_cmp_gt_i32_e32 vcc, 0, v0
	s_cbranch_vccz .LBB76_142
; %bb.193:                              ;   in Loop: Header=BB76_144 Depth=1
	v_mov_b32_e32 v0, 0
	s_branch .LBB76_143
.LBB76_194:                             ;   in Loop: Header=BB76_144 Depth=1
	v_mov_b32_e32 v93, 0
	s_andn2_b64 vcc, exec, s[52:53]
	ds_write_b32 v91, v93 offset:2968
	s_cbranch_vccnz .LBB76_143
	s_branch .LBB76_192
.LBB76_195:
	s_or_b64 exec, exec, s[62:63]
	v_readlane_b32 s44, v102, 28
	v_readlane_b32 s12, v102, 32
	;; [unrolled: 1-line block ×8, first 2 shown]
.LBB76_196:
	s_waitcnt lgkmcnt(0)
	v_readlane_b32 s0, v102, 26
	v_readlane_b32 s1, v102, 27
	s_or_b64 exec, exec, s[0:1]
	v_mov_b32_e32 v0, 0x100
	v_lshl_add_u32 v5, v87, 2, v0
	v_and_b32_e32 v1, 0x3f0, v2
	v_add3_u32 v1, v5, v89, v1
	v_accvgpr_read_b32 v4, a13
	v_accvgpr_read_b32 v6, a12
	ds_write2_b32 v1, v6, v4 offset0:16 offset1:17
	v_accvgpr_read_b32 v4, a15
	v_accvgpr_read_b32 v6, a14
	ds_write2_b32 v1, v6, v4 offset0:18 offset1:19
	;; [unrolled: 3-line block ×8, first 2 shown]
	v_lshl_add_u32 v4, v2, 2, v0
	s_movk_i32 s0, 0x108
	v_mad_u32_u24 v0, v3, s0, v4
	ds_read_b32 v6, v0 offset:64
	v_cmp_gt_u32_e32 vcc, 13, v3
	v_mov_b32_e32 v7, -1
	s_and_saveexec_b64 s[0:1], vcc
; %bb.197:
	s_movk_i32 s2, 0xff04
	v_mad_i32_i24 v0, v3, s2, v5
	ds_read_b32 v7, v0
; %bb.198:
	s_or_b64 exec, exec, s[0:1]
	s_mul_hi_i32 s1, s14, s26
	s_mul_i32 s0, s14, s26
	s_lshl_b64 s[0:1], s[0:1], 2
	v_readlane_b32 s2, v102, 24
	v_mul_hi_i32 v1, v74, s65
	v_mul_lo_u32 v0, v74, s65
	v_readlane_b32 s3, v102, 25
	s_add_u32 s0, s2, s0
	s_addc_u32 s1, s3, s1
	v_lshlrev_b64 v[0:1], 2, v[0:1]
	s_waitcnt lgkmcnt(0)
	v_cmp_lt_i32_e32 vcc, -1, v7
	v_mul_u32_u24_e32 v8, 0x108, v3
	v_add_u32_e32 v2, s7, v2
	v_lshl_add_u64 v[0:1], s[0:1], 0, v[0:1]
	s_and_b64 s[2:3], vcc, s[44:45]
	s_and_saveexec_b64 s[0:1], s[2:3]
	s_cbranch_execz .LBB76_200
; %bb.199:
	v_add_f32_e32 v9, 0, v6
	v_mul_lo_u32 v6, v7, s70
	v_mul_lo_u32 v7, v3, s65
	v_add3_u32 v6, v2, v7, v6
	v_mov_b32_e32 v7, 0
	v_lshl_add_u64 v[6:7], v[6:7], 2, v[0:1]
	global_store_dword v[6:7], v9, off
.LBB76_200:
	s_or_b64 exec, exec, s[0:1]
	v_add_u32_e32 v4, v8, v4
	ds_read_b32 v6, v4 offset:328
	v_cmp_gt_u32_e32 vcc, 12, v3
	v_mov_b32_e32 v7, -1
	s_and_saveexec_b64 s[0:1], vcc
; %bb.201:
	s_movk_i32 s2, 0xff04
	v_mad_i32_i24 v5, v3, s2, v5
	ds_read_b32 v7, v5 offset:4
; %bb.202:
	s_or_b64 exec, exec, s[0:1]
	v_readlane_b32 s0, v102, 0
	s_waitcnt lgkmcnt(0)
	v_cmp_lt_i32_e32 vcc, -1, v7
	v_readlane_b32 s1, v102, 1
	s_and_b64 s[2:3], vcc, s[0:1]
	s_and_saveexec_b64 s[0:1], s[2:3]
	s_cbranch_execz .LBB76_204
; %bb.203:
	v_add_f32_e32 v5, 0, v6
	v_mul_lo_u32 v6, v7, s70
	v_mul_lo_u32 v7, v75, s65
	v_add3_u32 v6, v2, v7, v6
	v_mov_b32_e32 v7, 0
	v_lshl_add_u64 v[6:7], v[6:7], 2, v[0:1]
	global_store_dword v[6:7], v5, off
.LBB76_204:
	s_or_b64 exec, exec, s[0:1]
	ds_read_b32 v5, v4 offset:592
	v_cmp_gt_u32_e32 vcc, 11, v3
	v_mov_b32_e32 v6, -1
	s_and_saveexec_b64 s[0:1], vcc
; %bb.205:
	v_mov_b32_e32 v6, 0x100
	v_lshl_add_u32 v6, v3, 2, v6
	ds_read_b32 v6, v6 offset:8
; %bb.206:
	s_or_b64 exec, exec, s[0:1]
	v_readlane_b32 s0, v102, 2
	s_waitcnt lgkmcnt(0)
	v_cmp_lt_i32_e32 vcc, -1, v6
	v_readlane_b32 s1, v102, 3
	s_and_b64 s[2:3], vcc, s[0:1]
	s_and_saveexec_b64 s[0:1], s[2:3]
	s_cbranch_execz .LBB76_208
; %bb.207:
	v_mul_lo_u32 v6, v6, s70
	v_mul_lo_u32 v7, v76, s65
	v_add3_u32 v6, v2, v7, v6
	v_mov_b32_e32 v7, 0
	v_add_f32_e32 v5, 0, v5
	v_lshl_add_u64 v[6:7], v[6:7], 2, v[0:1]
	global_store_dword v[6:7], v5, off
.LBB76_208:
	s_or_b64 exec, exec, s[0:1]
	ds_read_b32 v5, v4 offset:856
	v_cmp_gt_u32_e32 vcc, 10, v3
	v_mov_b32_e32 v6, -1
	s_and_saveexec_b64 s[0:1], vcc
; %bb.209:
	v_mov_b32_e32 v6, 0x100
	v_lshl_add_u32 v6, v3, 2, v6
	ds_read_b32 v6, v6 offset:12
; %bb.210:
	s_or_b64 exec, exec, s[0:1]
	v_readlane_b32 s0, v102, 4
	s_waitcnt lgkmcnt(0)
	v_cmp_lt_i32_e32 vcc, -1, v6
	v_readlane_b32 s1, v102, 5
	s_and_b64 s[2:3], vcc, s[0:1]
	s_and_saveexec_b64 s[0:1], s[2:3]
	s_cbranch_execz .LBB76_212
; %bb.211:
	v_mul_lo_u32 v6, v6, s70
	v_mul_lo_u32 v7, v77, s65
	v_add3_u32 v6, v2, v7, v6
	v_mov_b32_e32 v7, 0
	v_add_f32_e32 v5, 0, v5
	v_lshl_add_u64 v[6:7], v[6:7], 2, v[0:1]
	global_store_dword v[6:7], v5, off
.LBB76_212:
	;; [unrolled: 27-line block ×10, first 2 shown]
	s_or_b64 exec, exec, s[0:1]
	ds_read_b32 v4, v4 offset:3232
	v_cmp_eq_u32_e32 vcc, 0, v3
	v_mov_b32_e32 v3, -1
	s_and_saveexec_b64 s[0:1], vcc
; %bb.245:
	v_mov_b32_e32 v3, 0x100
	ds_read_b32 v3, v3 offset:48
; %bb.246:
	s_or_b64 exec, exec, s[0:1]
	v_readlane_b32 s0, v102, 22
	s_waitcnt lgkmcnt(0)
	v_cmp_lt_i32_e32 vcc, -1, v3
	v_readlane_b32 s1, v102, 23
	s_and_b64 s[0:1], vcc, s[0:1]
	s_and_saveexec_b64 s[2:3], s[0:1]
	s_cbranch_execz .LBB76_248
; %bb.247:
	v_mul_lo_u32 v3, v3, s70
	v_mul_lo_u32 v5, v86, s65
	v_add3_u32 v2, v2, v5, v3
	v_mov_b32_e32 v3, 0
	v_add_f32_e32 v4, 0, v4
	v_lshl_add_u64 v[0:1], v[2:3], 2, v[0:1]
	global_store_dword v[0:1], v4, off
.LBB76_248:
	s_endpgm
	.section	.rodata,"a",@progbits
	.p2align	6, 0x0
	.amdhsa_kernel _ZL9mul_mat_fIfLi64ELi13ELi1ELb1EEvPKT_PKfPKiPfiiiiiiiiiiiiiiii
		.amdhsa_group_segment_fixed_size 256
		.amdhsa_private_segment_fixed_size 0
		.amdhsa_kernarg_size 352
		.amdhsa_user_sgpr_count 2
		.amdhsa_user_sgpr_dispatch_ptr 0
		.amdhsa_user_sgpr_queue_ptr 0
		.amdhsa_user_sgpr_kernarg_segment_ptr 1
		.amdhsa_user_sgpr_dispatch_id 0
		.amdhsa_user_sgpr_kernarg_preload_length 0
		.amdhsa_user_sgpr_kernarg_preload_offset 0
		.amdhsa_user_sgpr_private_segment_size 0
		.amdhsa_uses_dynamic_stack 0
		.amdhsa_enable_private_segment 0
		.amdhsa_system_sgpr_workgroup_id_x 1
		.amdhsa_system_sgpr_workgroup_id_y 1
		.amdhsa_system_sgpr_workgroup_id_z 1
		.amdhsa_system_sgpr_workgroup_info 0
		.amdhsa_system_vgpr_workitem_id 2
		.amdhsa_next_free_vgpr 120
		.amdhsa_next_free_sgpr 100
		.amdhsa_accum_offset 104
		.amdhsa_reserve_vcc 1
		.amdhsa_float_round_mode_32 0
		.amdhsa_float_round_mode_16_64 0
		.amdhsa_float_denorm_mode_32 3
		.amdhsa_float_denorm_mode_16_64 3
		.amdhsa_dx10_clamp 1
		.amdhsa_ieee_mode 1
		.amdhsa_fp16_overflow 0
		.amdhsa_tg_split 0
		.amdhsa_exception_fp_ieee_invalid_op 0
		.amdhsa_exception_fp_denorm_src 0
		.amdhsa_exception_fp_ieee_div_zero 0
		.amdhsa_exception_fp_ieee_overflow 0
		.amdhsa_exception_fp_ieee_underflow 0
		.amdhsa_exception_fp_ieee_inexact 0
		.amdhsa_exception_int_div_zero 0
	.end_amdhsa_kernel
	.section	.text._ZL9mul_mat_fIfLi64ELi13ELi1ELb1EEvPKT_PKfPKiPfiiiiiiiiiiiiiiii,"axG",@progbits,_ZL9mul_mat_fIfLi64ELi13ELi1ELb1EEvPKT_PKfPKiPfiiiiiiiiiiiiiiii,comdat
.Lfunc_end76:
	.size	_ZL9mul_mat_fIfLi64ELi13ELi1ELb1EEvPKT_PKfPKiPfiiiiiiiiiiiiiiii, .Lfunc_end76-_ZL9mul_mat_fIfLi64ELi13ELi1ELb1EEvPKT_PKfPKiPfiiiiiiiiiiiiiiii
                                        ; -- End function
	.set _ZL9mul_mat_fIfLi64ELi13ELi1ELb1EEvPKT_PKfPKiPfiiiiiiiiiiiiiiii.num_vgpr, 103
	.set _ZL9mul_mat_fIfLi64ELi13ELi1ELb1EEvPKT_PKfPKiPfiiiiiiiiiiiiiiii.num_agpr, 16
	.set _ZL9mul_mat_fIfLi64ELi13ELi1ELb1EEvPKT_PKfPKiPfiiiiiiiiiiiiiiii.numbered_sgpr, 100
	.set _ZL9mul_mat_fIfLi64ELi13ELi1ELb1EEvPKT_PKfPKiPfiiiiiiiiiiiiiiii.num_named_barrier, 0
	.set _ZL9mul_mat_fIfLi64ELi13ELi1ELb1EEvPKT_PKfPKiPfiiiiiiiiiiiiiiii.private_seg_size, 0
	.set _ZL9mul_mat_fIfLi64ELi13ELi1ELb1EEvPKT_PKfPKiPfiiiiiiiiiiiiiiii.uses_vcc, 1
	.set _ZL9mul_mat_fIfLi64ELi13ELi1ELb1EEvPKT_PKfPKiPfiiiiiiiiiiiiiiii.uses_flat_scratch, 0
	.set _ZL9mul_mat_fIfLi64ELi13ELi1ELb1EEvPKT_PKfPKiPfiiiiiiiiiiiiiiii.has_dyn_sized_stack, 0
	.set _ZL9mul_mat_fIfLi64ELi13ELi1ELb1EEvPKT_PKfPKiPfiiiiiiiiiiiiiiii.has_recursion, 0
	.set _ZL9mul_mat_fIfLi64ELi13ELi1ELb1EEvPKT_PKfPKiPfiiiiiiiiiiiiiiii.has_indirect_call, 0
	.section	.AMDGPU.csdata,"",@progbits
; Kernel info:
; codeLenInByte = 12192
; TotalNumSgprs: 106
; NumVgprs: 103
; NumAgprs: 16
; TotalNumVgprs: 120
; ScratchSize: 0
; MemoryBound: 0
; FloatMode: 240
; IeeeMode: 1
; LDSByteSize: 256 bytes/workgroup (compile time only)
; SGPRBlocks: 13
; VGPRBlocks: 14
; NumSGPRsForWavesPerEU: 106
; NumVGPRsForWavesPerEU: 120
; AccumOffset: 104
; Occupancy: 4
; WaveLimiterHint : 0
; COMPUTE_PGM_RSRC2:SCRATCH_EN: 0
; COMPUTE_PGM_RSRC2:USER_SGPR: 2
; COMPUTE_PGM_RSRC2:TRAP_HANDLER: 0
; COMPUTE_PGM_RSRC2:TGID_X_EN: 1
; COMPUTE_PGM_RSRC2:TGID_Y_EN: 1
; COMPUTE_PGM_RSRC2:TGID_Z_EN: 1
; COMPUTE_PGM_RSRC2:TIDIG_COMP_CNT: 2
; COMPUTE_PGM_RSRC3_GFX90A:ACCUM_OFFSET: 25
; COMPUTE_PGM_RSRC3_GFX90A:TG_SPLIT: 0
	.section	.text._ZL9mul_mat_fIfLi64ELi13ELi1ELb0EEvPKT_PKfPKiPfiiiiiiiiiiiiiiii,"axG",@progbits,_ZL9mul_mat_fIfLi64ELi13ELi1ELb0EEvPKT_PKfPKiPfiiiiiiiiiiiiiiii,comdat
	.globl	_ZL9mul_mat_fIfLi64ELi13ELi1ELb0EEvPKT_PKfPKiPfiiiiiiiiiiiiiiii ; -- Begin function _ZL9mul_mat_fIfLi64ELi13ELi1ELb0EEvPKT_PKfPKiPfiiiiiiiiiiiiiiii
	.p2align	8
	.type	_ZL9mul_mat_fIfLi64ELi13ELi1ELb0EEvPKT_PKfPKiPfiiiiiiiiiiiiiiii,@function
_ZL9mul_mat_fIfLi64ELi13ELi1ELb0EEvPKT_PKfPKiPfiiiiiiiiiiiiiiii: ; @_ZL9mul_mat_fIfLi64ELi13ELi1ELb0EEvPKT_PKfPKiPfiiiiiiiiiiiiiiii
; %bb.0:
	s_load_dword s5, s[0:1], 0x20
	s_load_dwordx4 s[16:19], s[0:1], 0x2c
	v_bfe_u32 v78, v0, 10, 10
	v_lshlrev_b32_e32 v80, 6, v78
	v_and_b32_e32 v79, 0x3ff, v0
	v_or_b32_e32 v81, v80, v79
	s_waitcnt lgkmcnt(0)
	s_ashr_i32 s19, s4, 31
	v_cmp_le_i32_e32 vcc, s5, v81
	v_and_b32_e32 v4, 15, v79
                                        ; implicit-def: $vgpr82
	s_and_saveexec_b64 s[6:7], vcc
	s_xor_b64 s[6:7], exec, s[6:7]
; %bb.1:
	v_mul_u32_u24_e32 v82, 0x108, v4
                                        ; implicit-def: $vgpr81
                                        ; implicit-def: $vgpr4
; %bb.2:
	s_or_saveexec_b64 s[24:25], s[6:7]
	s_load_dwordx8 s[8:15], s[0:1], 0x40
	s_load_dwordx2 s[6:7], s[0:1], 0x18
	s_lshl_b32 s2, s2, 6
	v_mov_b32_e32 v1, 0
	v_accvgpr_write_b32 a0, 0
	v_accvgpr_write_b32 a1, 0
	;; [unrolled: 1-line block ×16, first 2 shown]
	v_lshlrev_b32_e32 v0, 2, v79
	s_xor_b64 exec, exec, s[24:25]
	s_cbranch_execz .LBB77_6
; %bb.3:
	s_waitcnt lgkmcnt(0)
	s_abs_i32 s26, s8
	v_cvt_f32_u32_e32 v2, s26
	s_abs_i32 s27, s12
	v_cvt_f32_u32_e32 v3, s27
	s_sub_i32 s20, 0, s26
	v_rcp_iflag_f32_e32 v2, v2
	s_abs_i32 s28, s3
	v_rcp_iflag_f32_e32 v3, v3
	s_sub_i32 s21, 0, s27
	v_mul_f32_e32 v2, 0x4f7ffffe, v2
	v_cvt_u32_f32_e32 v2, v2
	v_mul_f32_e32 v3, 0x4f7ffffe, v3
	v_cvt_u32_f32_e32 v3, v3
	s_abs_i32 s29, s4
	v_mul_lo_u32 v5, s20, v2
	v_mul_hi_u32 v5, v2, v5
	v_add_u32_e32 v2, v2, v5
	v_mul_hi_u32 v2, s28, v2
	v_mul_lo_u32 v6, s21, v3
	v_mul_lo_u32 v5, v2, s26
	v_mul_hi_u32 v6, v3, v6
	v_sub_u32_e32 v5, s28, v5
	v_add_u32_e32 v3, v3, v6
	v_add_u32_e32 v6, 1, v2
	v_subrev_u32_e32 v7, s26, v5
	v_cmp_le_u32_e32 vcc, s26, v5
	s_load_dwordx4 s[20:23], s[0:1], 0x0
	s_ashr_i32 s0, s3, 31
	v_cndmask_b32_e32 v2, v2, v6, vcc
	v_cndmask_b32_e32 v5, v5, v7, vcc
	s_ashr_i32 s1, s8, 31
	v_add_u32_e32 v6, 1, v2
	v_cmp_le_u32_e32 vcc, s26, v5
	s_xor_b32 s0, s0, s1
	v_mul_hi_u32 v3, s29, v3
	v_cndmask_b32_e32 v2, v2, v6, vcc
	v_xor_b32_e32 v2, s0, v2
	v_subrev_u32_e32 v5, s0, v2
	v_mul_lo_u32 v2, v3, s27
	v_sub_u32_e32 v2, s29, v2
	v_add_u32_e32 v6, 1, v3
	v_subrev_u32_e32 v7, s27, v2
	v_cmp_le_u32_e32 vcc, s27, v2
	s_ashr_i32 s8, s12, 31
	s_xor_b32 s0, s19, s8
	v_cndmask_b32_e32 v3, v3, v6, vcc
	v_cndmask_b32_e32 v2, v2, v7, vcc
	v_add_u32_e32 v6, 1, v3
	v_cmp_le_u32_e32 vcc, s27, v2
	s_mul_i32 s8, s14, s4
	s_mul_i32 s26, s10, s3
	v_cndmask_b32_e32 v2, v3, v6, vcc
	v_mul_lo_u32 v6, v5, s9
	s_mul_hi_i32 s9, s14, s4
	v_xor_b32_e32 v2, s0, v2
	s_lshl_b64 s[8:9], s[8:9], 2
	v_subrev_u32_e32 v2, s0, v2
	s_mul_i32 s0, s16, s2
	s_waitcnt lgkmcnt(0)
	s_add_u32 s10, s22, s8
	s_addc_u32 s14, s23, s9
	s_ashr_i32 s1, s0, 31
	s_ashr_i32 s27, s26, 31
	v_mul_hi_i32 v3, v2, s13
	v_mul_lo_u32 v2, v2, s13
	s_lshl_b64 s[12:13], s[0:1], 2
	s_lshl_b64 s[26:27], s[26:27], 2
	s_add_u32 s0, s10, s26
	s_addc_u32 s1, s14, s27
	s_movk_i32 s10, 0x1080
	s_ashr_i32 s31, s16, 31
	s_mov_b32 s30, s16
	s_ashr_i32 s29, s17, 31
	s_mov_b32 s28, s17
	v_ashrrev_i32_e32 v7, 31, v6
	v_mad_u32_u24 v5, v78, s10, 0
	v_mul_u32_u24_e32 v82, 0x108, v4
	v_lshrrev_b32_e32 v4, 1, v79
	s_add_i32 s10, s16, s16
	s_add_i32 s14, s17, s17
	s_lshl_b32 s33, s17, 2
	s_lshl_b32 s37, s17, 3
	;; [unrolled: 1-line block ×6, first 2 shown]
	s_lshl_b64 s[30:31], s[30:31], 2
	s_lshl_b64 s[72:73], s[28:29], 2
	v_lshlrev_b64 v[8:9], 2, v[2:3]
	v_lshlrev_b64 v[6:7], 2, v[6:7]
	v_and_b32_e32 v4, 0x1f8, v4
	s_add_u32 s76, s22, s26
	v_lshl_add_u64 v[2:3], s[20:21], 0, v[8:9]
	v_add_u32_e32 v83, v5, v0
	v_add3_u32 v84, v5, v82, v4
	s_addc_u32 s77, s23, s27
	v_lshl_add_u64 v[4:5], s[20:21], 0, v[6:7]
	v_lshlrev_b32_e32 v14, 8, v78
	v_mov_b32_e32 v15, v1
	v_lshl_add_u64 v[2:3], v[2:3], 0, v[6:7]
	v_lshl_add_u64 v[10:11], v[4:5], 0, s[12:13]
	v_lshl_add_u64 v[6:7], s[8:9], 0, v[14:15]
	s_add_u32 s8, s76, s72
	v_lshl_add_u64 v[12:13], v[10:11], 0, s[30:31]
	s_addc_u32 s9, s77, s73
	v_lshl_add_u64 v[14:15], v[8:9], 0, v[14:15]
	v_lshl_add_u64 v[2:3], v[2:3], 0, s[12:13]
	s_mul_i32 s19, s17, 3
	s_mul_i32 s34, s17, 5
	;; [unrolled: 1-line block ×47, first 2 shown]
	v_lshl_add_u64 v[4:5], s[8:9], 0, v[6:7]
	s_mul_i32 s74, s16, 46
	s_mul_i32 s75, s16, 47
	v_lshl_add_u64 v[6:7], s[76:77], 0, v[6:7]
	s_mul_i32 s76, s16, 48
	s_mul_i32 s77, s16, 49
	v_accvgpr_write_b32 a15, 0
	v_accvgpr_write_b32 a14, 0
	v_accvgpr_write_b32 a13, 0
	v_accvgpr_write_b32 a12, 0
	v_accvgpr_write_b32 a11, 0
	v_accvgpr_write_b32 a10, 0
	v_accvgpr_write_b32 a9, 0
	v_accvgpr_write_b32 a8, 0
	v_accvgpr_write_b32 a7, 0
	v_accvgpr_write_b32 a6, 0
	v_accvgpr_write_b32 a5, 0
	v_accvgpr_write_b32 a4, 0
	v_accvgpr_write_b32 a3, 0
	v_accvgpr_write_b32 a2, 0
	v_accvgpr_write_b32 a1, 0
	v_accvgpr_write_b32 a0, 0
	v_lshl_add_u64 v[8:9], v[12:13], 0, v[14:15]
	v_lshl_add_u64 v[10:11], v[10:11], 0, v[14:15]
	s_mul_i32 s78, s16, 50
	s_mul_i32 s79, s16, 51
	s_mul_i32 s80, s16, 52
	s_mul_i32 s81, s16, 53
	s_mul_i32 s82, s16, 54
	s_mul_i32 s83, s16, 55
	s_mul_i32 s84, s16, 56
	s_mul_i32 s85, s16, 57
	s_mul_i32 s86, s16, 58
	s_mul_i32 s87, s16, 59
	s_mul_i32 s88, s16, 60
	s_mul_i32 s89, s16, 61
	s_mul_i32 s90, s16, 62
	s_mul_i32 s16, s16, 63
	s_mov_b64 s[8:9], 0
	s_mov_b64 s[12:13], 0x100
.LBB77_4:                               ; =>This Inner Loop Header: Depth=1
	v_add_u32_e32 v52, s10, v81
	v_add_u32_e32 v56, s41, v81
	;; [unrolled: 1-line block ×9, first 2 shown]
	v_lshl_add_u64 v[58:59], v[10:11], 0, v[0:1]
	v_add_u32_e32 v54, s43, v81
	v_add_u32_e32 v50, s45, v81
	;; [unrolled: 1-line block ×7, first 2 shown]
	v_lshl_add_u64 v[90:91], v[6:7], 0, v[0:1]
	v_ashrrev_i32_e32 v53, 31, v52
	v_ashrrev_i32_e32 v57, 31, v56
	;; [unrolled: 1-line block ×9, first 2 shown]
	v_lshl_add_u64 v[60:61], v[8:9], 0, v[0:1]
	v_add_u32_e32 v20, s56, v81
	v_add_u32_e32 v28, s57, v81
	v_lshl_add_u64 v[92:93], v[4:5], 0, v[0:1]
	global_load_dword v87, v[58:59], off
	global_load_dword v88, v[60:61], off
	global_load_dword v85, v[90:91], off
	global_load_dword v86, v[92:93], off
	v_lshl_add_u64 v[52:53], v[52:53], 2, v[2:3]
	v_lshl_add_u64 v[90:91], v[56:57], 2, v[2:3]
	v_ashrrev_i32_e32 v55, 31, v54
	v_lshl_add_u64 v[48:49], v[48:49], 2, v[2:3]
	v_ashrrev_i32_e32 v51, 31, v50
	;; [unrolled: 2-line block ×5, first 2 shown]
	v_lshl_add_u64 v[30:31], v[30:31], 2, v[2:3]
	v_lshl_add_u64 v[24:25], v[24:25], 2, v[2:3]
	;; [unrolled: 1-line block ×3, first 2 shown]
	v_ashrrev_i32_e32 v27, 31, v26
	v_ashrrev_i32_e32 v35, 31, v34
	v_add_u32_e32 v16, s58, v81
	v_add_u32_e32 v22, s59, v81
	global_load_dword v56, v[52:53], off
	global_load_dword v57, v[90:91], off
	v_lshl_add_u64 v[90:91], v[54:55], 2, v[2:3]
	global_load_dword v54, v[48:49], off
	global_load_dword v55, v[90:91], off
	v_lshl_add_u64 v[50:51], v[50:51], 2, v[2:3]
	global_load_dword v44, v[44:45], off
	s_nop 0
	global_load_dword v45, v[50:51], off
	v_lshl_add_u64 v[46:47], v[46:47], 2, v[2:3]
	global_load_dword v40, v[40:41], off
	s_nop 0
	;; [unrolled: 4-line block ×4, first 2 shown]
	global_load_dword v31, v[38:39], off
	s_nop 0
	global_load_dword v24, v[24:25], off
	s_nop 0
	global_load_dword v25, v[32:33], off
	v_lshl_add_u64 v[26:27], v[26:27], 2, v[2:3]
	v_lshl_add_u64 v[32:33], v[34:35], 2, v[2:3]
	v_ashrrev_i32_e32 v21, 31, v20
	v_ashrrev_i32_e32 v29, 31, v28
	v_add_u32_e32 v14, s60, v81
	v_add_u32_e32 v18, s61, v81
	;; [unrolled: 1-line block ×4, first 2 shown]
	global_load_dword v26, v[26:27], off
	s_nop 0
	global_load_dword v27, v[32:33], off
	v_lshl_add_u64 v[20:21], v[20:21], 2, v[2:3]
	v_lshl_add_u64 v[32:33], v[28:29], 2, v[2:3]
	v_ashrrev_i32_e32 v17, 31, v16
	v_ashrrev_i32_e32 v23, 31, v22
	v_add_u32_e32 v68, s64, v81
	v_add_u32_e32 v74, s65, v81
	global_load_dword v28, v[20:21], off
	global_load_dword v29, v[32:33], off
	v_lshl_add_u64 v[16:17], v[16:17], 2, v[2:3]
	v_lshl_add_u64 v[32:33], v[22:23], 2, v[2:3]
	v_ashrrev_i32_e32 v15, 31, v14
	v_ashrrev_i32_e32 v19, 31, v18
	;; [unrolled: 1-line block ×4, first 2 shown]
	v_add_u32_e32 v66, s66, v81
	v_add_u32_e32 v72, s67, v81
	global_load_dword v22, v[16:17], off
	global_load_dword v23, v[32:33], off
	v_lshl_add_u64 v[14:15], v[14:15], 2, v[2:3]
	v_lshl_add_u64 v[18:19], v[18:19], 2, v[2:3]
	;; [unrolled: 1-line block ×4, first 2 shown]
	v_ashrrev_i32_e32 v69, 31, v68
	v_ashrrev_i32_e32 v75, 31, v74
	v_add_u32_e32 v64, s68, v81
	v_add_u32_e32 v70, s69, v81
	global_load_dword v14, v[14:15], off
	s_nop 0
	global_load_dword v15, v[18:19], off
	s_nop 0
	global_load_dword v18, v[12:13], off
	global_load_dword v19, v[32:33], off
	v_lshl_add_u64 v[32:33], v[68:69], 2, v[2:3]
	v_lshl_add_u64 v[38:39], v[74:75], 2, v[2:3]
	v_ashrrev_i32_e32 v67, 31, v66
	v_ashrrev_i32_e32 v73, 31, v72
	v_add_u32_e32 v62, s70, v81
	v_add_u32_e32 v60, s71, v81
	global_load_dword v32, v[32:33], off
	s_nop 0
	global_load_dword v33, v[38:39], off
	v_lshl_add_u64 v[38:39], v[66:67], 2, v[2:3]
	v_lshl_add_u64 v[42:43], v[72:73], 2, v[2:3]
	v_ashrrev_i32_e32 v65, 31, v64
	v_ashrrev_i32_e32 v71, 31, v70
	v_add_u32_e32 v58, s22, v81
	v_add_u32_e32 v48, s20, v81
	;; [unrolled: 1-line block ×3, first 2 shown]
	global_load_dword v38, v[38:39], off
	s_nop 0
	global_load_dword v39, v[42:43], off
	v_lshl_add_u64 v[42:43], v[64:65], 2, v[2:3]
	v_lshl_add_u64 v[46:47], v[70:71], 2, v[2:3]
	v_ashrrev_i32_e32 v63, 31, v62
	v_ashrrev_i32_e32 v61, 31, v60
	v_add_u32_e32 v52, s23, v81
	v_add_u32_e32 v92, s26, v81
	v_add_u32_e32 v94, s27, v81
	global_load_dword v42, v[42:43], off
	s_nop 0
	global_load_dword v43, v[46:47], off
	v_lshl_add_u64 v[46:47], v[62:63], 2, v[2:3]
	v_lshl_add_u64 v[50:51], v[60:61], 2, v[2:3]
	v_ashrrev_i32_e32 v59, 31, v58
	v_ashrrev_i32_e32 v49, 31, v48
	;; [unrolled: 1-line block ×3, first 2 shown]
	v_add_u32_e32 v96, s28, v81
	v_add_u32_e32 v34, s30, v81
	global_load_dword v46, v[46:47], off
	s_nop 0
	global_load_dword v47, v[50:51], off
	v_ashrrev_i32_e32 v53, 31, v52
	v_lshl_add_u64 v[50:51], v[58:59], 2, v[2:3]
	v_lshl_add_u64 v[48:49], v[48:49], 2, v[2:3]
	;; [unrolled: 1-line block ×3, first 2 shown]
	v_ashrrev_i32_e32 v93, 31, v92
	v_ashrrev_i32_e32 v95, 31, v94
	v_add_u32_e32 v98, s29, v81
	v_add_u32_e32 v20, s31, v81
	;; [unrolled: 1-line block ×4, first 2 shown]
	v_lshl_add_u64 v[52:53], v[52:53], 2, v[2:3]
	global_load_dword v50, v[50:51], off
	s_nop 0
	global_load_dword v51, v[52:53], off
	global_load_dword v72, v[48:49], off
	;; [unrolled: 1-line block ×3, first 2 shown]
	v_lshl_add_u64 v[58:59], v[92:93], 2, v[2:3]
	v_lshl_add_u64 v[62:63], v[94:95], 2, v[2:3]
	v_ashrrev_i32_e32 v97, 31, v96
	v_ashrrev_i32_e32 v35, 31, v34
	v_add_u32_e32 v12, s74, v81
	v_add_u32_e32 v68, s75, v81
	global_load_dword v74, v[58:59], off
	global_load_dword v75, v[62:63], off
	v_ashrrev_i32_e32 v99, 31, v98
	v_lshl_add_u64 v[62:63], v[96:97], 2, v[2:3]
	v_ashrrev_i32_e32 v21, 31, v20
	v_lshl_add_u64 v[34:35], v[34:35], 2, v[2:3]
	v_ashrrev_i32_e32 v17, 31, v16
	v_ashrrev_i32_e32 v101, 31, v100
	v_add_u32_e32 v66, s76, v81
	v_add_u32_e32 v64, s77, v81
	v_lshl_add_u64 v[70:71], v[98:99], 2, v[2:3]
	global_load_dword v76, v[62:63], off
	global_load_dword v77, v[70:71], off
	v_lshl_add_u64 v[20:21], v[20:21], 2, v[2:3]
	global_load_dword v89, v[34:35], off
	global_load_dword v90, v[20:21], off
	v_lshl_add_u64 v[16:17], v[16:17], 2, v[2:3]
	v_lshl_add_u64 v[34:35], v[100:101], 2, v[2:3]
	v_ashrrev_i32_e32 v13, 31, v12
	v_ashrrev_i32_e32 v69, 31, v68
	v_add_u32_e32 v60, s78, v81
	v_add_u32_e32 v52, s79, v81
	;; [unrolled: 1-line block ×4, first 2 shown]
	global_load_dword v91, v[16:17], off
	global_load_dword v92, v[34:35], off
	v_lshl_add_u64 v[12:13], v[12:13], 2, v[2:3]
	v_lshl_add_u64 v[34:35], v[68:69], 2, v[2:3]
	v_ashrrev_i32_e32 v67, 31, v66
	v_ashrrev_i32_e32 v65, 31, v64
	v_add_u32_e32 v62, s82, v81
	v_add_u32_e32 v20, s83, v81
	v_add_u32_e32 v16, s84, v81
	global_load_dword v68, v[12:13], off
	global_load_dword v69, v[34:35], off
	v_add_u32_e32 v12, s85, v81
	v_lshl_add_u64 v[34:35], v[66:67], 2, v[2:3]
	v_lshl_add_u64 v[64:65], v[64:65], 2, v[2:3]
	v_ashrrev_i32_e32 v61, 31, v60
	v_ashrrev_i32_e32 v53, 31, v52
	;; [unrolled: 1-line block ×4, first 2 shown]
	global_load_dword v93, v[34:35], off
	s_nop 0
	global_load_dword v64, v[64:65], off
	v_add_u32_e32 v34, s86, v81
	v_lshl_add_u64 v[60:61], v[60:61], 2, v[2:3]
	v_lshl_add_u64 v[52:53], v[52:53], 2, v[2:3]
	;; [unrolled: 1-line block ×4, first 2 shown]
	v_ashrrev_i32_e32 v63, 31, v62
	v_ashrrev_i32_e32 v21, 31, v20
	;; [unrolled: 1-line block ×4, first 2 shown]
	global_load_dword v65, v[60:61], off
	global_load_dword v94, v[52:53], off
	v_add_u32_e32 v52, s87, v81
	global_load_dword v95, v[48:49], off
	global_load_dword v96, v[58:59], off
	v_lshl_add_u64 v[58:59], v[62:63], 2, v[2:3]
	v_lshl_add_u64 v[20:21], v[20:21], 2, v[2:3]
	;; [unrolled: 1-line block ×4, first 2 shown]
	v_ashrrev_i32_e32 v35, 31, v34
	v_add_u32_e32 v48, s88, v81
	global_load_dword v97, v[58:59], off
	global_load_dword v98, v[20:21], off
	v_add_u32_e32 v20, s89, v81
	global_load_dword v99, v[16:17], off
	global_load_dword v100, v[12:13], off
	v_add_u32_e32 v12, s90, v81
	v_ashrrev_i32_e32 v53, 31, v52
	v_lshl_add_u64 v[16:17], v[34:35], 2, v[2:3]
	v_lshl_add_u64 v[34:35], v[52:53], 2, v[2:3]
	global_load_dword v52, v[16:17], off
	global_load_dword v53, v[34:35], off
	v_add_u32_e32 v16, s16, v81
	v_ashrrev_i32_e32 v49, 31, v48
	v_ashrrev_i32_e32 v21, 31, v20
	;; [unrolled: 1-line block ×3, first 2 shown]
	v_lshl_add_u64 v[34:35], v[48:49], 2, v[2:3]
	v_lshl_add_u64 v[20:21], v[20:21], 2, v[2:3]
	v_ashrrev_i32_e32 v17, 31, v16
	v_lshl_add_u64 v[12:13], v[12:13], 2, v[2:3]
	global_load_dword v101, v[34:35], off
	global_load_dword v102, v[20:21], off
	v_add_u32_e32 v20, s14, v81
	v_lshl_add_u64 v[16:17], v[16:17], 2, v[2:3]
	global_load_dword v103, v[12:13], off
	global_load_dword v104, v[16:17], off
	v_add_u32_e32 v12, s19, v81
	v_ashrrev_i32_e32 v21, 31, v20
	v_ashrrev_i32_e32 v13, 31, v12
	v_lshl_add_u64 v[16:17], v[20:21], 2, s[0:1]
	v_lshl_add_u64 v[12:13], v[12:13], 2, s[0:1]
	global_load_dword v105, v[16:17], off
	global_load_dword v106, v[12:13], off
	v_add_u32_e32 v12, s33, v81
	v_ashrrev_i32_e32 v13, 31, v12
	v_lshl_add_u64 v[12:13], v[12:13], 2, s[0:1]
	global_load_dword v107, v[12:13], off
	v_add_u32_e32 v12, s34, v81
	v_ashrrev_i32_e32 v13, 31, v12
	v_lshl_add_u64 v[12:13], v[12:13], 2, s[0:1]
	;; [unrolled: 4-line block ×9, first 2 shown]
	global_load_dword v115, v[12:13], off
	s_waitcnt vmcnt(62)
	ds_write_b32 v83, v87
	ds_write_b32 v83, v88 offset:264
	ds_write_b32 v83, v56 offset:528
	ds_write_b32 v83, v57 offset:792
	ds_write_b32 v83, v54 offset:1056
	ds_write_b32 v83, v55 offset:1320
	ds_write_b32 v83, v44 offset:1584
	ds_write_b32 v83, v45 offset:1848
	ds_write_b32 v83, v40 offset:2112
	ds_write_b32 v83, v41 offset:2376
	ds_write_b32 v83, v36 offset:2640
	ds_write_b32 v83, v37 offset:2904
	ds_write_b32 v83, v30 offset:3168
	s_waitcnt vmcnt(61)
	ds_write_b32 v83, v31 offset:3432
	s_waitcnt vmcnt(60)
	ds_write_b32 v83, v24 offset:3696
	s_waitcnt vmcnt(59)
	ds_write_b32 v83, v25 offset:3960
	ds_read_b64 v[66:67], v84
	ds_read_b64 v[54:55], v84 offset:32
	ds_read_b64 v[48:49], v84 offset:64
	ds_read_b64 v[34:35], v84 offset:96
	ds_read_b64 v[30:31], v84 offset:128
	ds_read_b64 v[20:21], v84 offset:160
	ds_read_b64 v[16:17], v84 offset:192
	ds_read_b64 v[12:13], v84 offset:224
	s_waitcnt vmcnt(58)
	ds_write_b32 v83, v26
	s_waitcnt vmcnt(57)
	ds_write_b32 v83, v27 offset:264
	s_waitcnt vmcnt(56)
	ds_write_b32 v83, v28 offset:528
	s_waitcnt vmcnt(55)
	ds_write_b32 v83, v29 offset:792
	s_waitcnt vmcnt(54)
	ds_write_b32 v83, v22 offset:1056
	s_waitcnt vmcnt(53)
	ds_write_b32 v83, v23 offset:1320
	s_waitcnt vmcnt(52)
	ds_write_b32 v83, v14 offset:1584
	s_waitcnt vmcnt(51)
	ds_write_b32 v83, v15 offset:1848
	s_waitcnt vmcnt(50)
	ds_write_b32 v83, v18 offset:2112
	s_waitcnt vmcnt(49)
	ds_write_b32 v83, v19 offset:2376
	s_waitcnt vmcnt(48)
	ds_write_b32 v83, v32 offset:2640
	s_waitcnt vmcnt(47)
	ds_write_b32 v83, v33 offset:2904
	s_waitcnt vmcnt(46)
	ds_write_b32 v83, v38 offset:3168
	s_waitcnt vmcnt(45)
	ds_write_b32 v83, v39 offset:3432
	s_waitcnt vmcnt(44)
	ds_write_b32 v83, v42 offset:3696
	s_waitcnt vmcnt(43)
	ds_write_b32 v83, v43 offset:3960
	ds_read_b64 v[70:71], v84
	ds_read_b64 v[58:59], v84 offset:32
	ds_read_b64 v[56:57], v84 offset:64
	ds_read_b64 v[42:43], v84 offset:96
	ds_read_b64 v[38:39], v84 offset:128
	ds_read_b64 v[26:27], v84 offset:160
	ds_read_b64 v[24:25], v84 offset:192
	ds_read_b64 v[14:15], v84 offset:224
	s_waitcnt vmcnt(42)
	ds_write_b32 v83, v46
	s_waitcnt vmcnt(41)
	ds_write_b32 v83, v47 offset:264
	s_waitcnt vmcnt(40)
	ds_write_b32 v83, v50 offset:528
	s_waitcnt vmcnt(39)
	ds_write_b32 v83, v51 offset:792
	s_waitcnt vmcnt(38)
	ds_write_b32 v83, v72 offset:1056
	s_waitcnt vmcnt(37)
	ds_write_b32 v83, v73 offset:1320
	s_waitcnt vmcnt(36)
	ds_write_b32 v83, v74 offset:1584
	s_waitcnt vmcnt(35)
	ds_write_b32 v83, v75 offset:1848
	s_waitcnt vmcnt(34)
	ds_write_b32 v83, v76 offset:2112
	s_waitcnt vmcnt(33)
	ds_write_b32 v83, v77 offset:2376
	s_waitcnt vmcnt(32)
	ds_write_b32 v83, v89 offset:2640
	s_waitcnt vmcnt(31)
	ds_write_b32 v83, v90 offset:2904
	s_waitcnt vmcnt(30)
	ds_write_b32 v83, v91 offset:3168
	;; [unrolled: 40-line block ×3, first 2 shown]
	s_waitcnt vmcnt(13)
	ds_write_b32 v83, v102 offset:3432
	s_waitcnt vmcnt(12)
	ds_write_b32 v83, v103 offset:3696
	;; [unrolled: 2-line block ×3, first 2 shown]
	ds_read_b64 v[74:75], v84
	ds_read_b64 v[68:69], v84 offset:32
	ds_read_b64 v[64:65], v84 offset:64
	;; [unrolled: 1-line block ×7, first 2 shown]
	ds_write_b32 v83, v85
	ds_write_b32 v83, v86 offset:264
	s_waitcnt vmcnt(10)
	ds_write_b32 v83, v105 offset:528
	s_waitcnt vmcnt(9)
	ds_write_b32 v83, v106 offset:792
	s_waitcnt vmcnt(8)
	ds_write_b32 v83, v107 offset:1056
	s_waitcnt vmcnt(7)
	ds_write_b32 v83, v108 offset:1320
	s_waitcnt vmcnt(6)
	ds_write_b32 v83, v109 offset:1584
	s_waitcnt vmcnt(5)
	ds_write_b32 v83, v110 offset:1848
	s_waitcnt vmcnt(4)
	ds_write_b32 v83, v111 offset:2112
	s_waitcnt vmcnt(3)
	ds_write_b32 v83, v112 offset:2376
	s_waitcnt vmcnt(2)
	ds_write_b32 v83, v113 offset:2640
	s_waitcnt vmcnt(1)
	ds_write_b32 v83, v114 offset:2904
	s_waitcnt vmcnt(0)
	ds_write_b32 v83, v115 offset:3168
	ds_write_b32 v83, v1 offset:3432
	;; [unrolled: 1-line block ×4, first 2 shown]
	ds_read_b64 v[76:77], v84
	s_waitcnt lgkmcnt(0)
	v_mfma_f32_16x16x4_f32 a[12:15], v66, v76, a[12:15]
	v_add_u32_e32 v81, 64, v81
	v_cmp_le_i32_e32 vcc, s5, v81
	v_lshl_add_u64 v[8:9], v[8:9], 0, s[12:13]
	v_lshl_add_u64 v[10:11], v[10:11], 0, s[12:13]
	;; [unrolled: 1-line block ×3, first 2 shown]
	s_or_b64 s[8:9], vcc, s[8:9]
	v_lshl_add_u64 v[6:7], v[6:7], 0, s[12:13]
	v_mfma_f32_16x16x4_f32 a[8:11], v70, v76, a[8:11]
	v_mfma_f32_16x16x4_f32 a[4:7], v72, v76, a[4:7]
	v_mfma_f32_16x16x4_f32 a[0:3], v74, v76, a[0:3]
	v_mfma_f32_16x16x4_f32 a[12:15], v67, v77, a[12:15]
	ds_read_b64 v[66:67], v84 offset:32
	v_mfma_f32_16x16x4_f32 a[8:11], v71, v77, a[8:11]
	v_mfma_f32_16x16x4_f32 a[4:7], v73, v77, a[4:7]
	v_mfma_f32_16x16x4_f32 a[0:3], v75, v77, a[0:3]
	s_waitcnt lgkmcnt(0)
	v_mfma_f32_16x16x4_f32 a[12:15], v54, v66, a[12:15]
	v_mfma_f32_16x16x4_f32 a[8:11], v58, v66, a[8:11]
	v_mfma_f32_16x16x4_f32 a[4:7], v62, v66, a[4:7]
	v_mfma_f32_16x16x4_f32 a[0:3], v68, v66, a[0:3]
	v_mfma_f32_16x16x4_f32 a[12:15], v55, v67, a[12:15]
	ds_read_b64 v[54:55], v84 offset:64
	v_mfma_f32_16x16x4_f32 a[8:11], v59, v67, a[8:11]
	v_mfma_f32_16x16x4_f32 a[4:7], v63, v67, a[4:7]
	v_mfma_f32_16x16x4_f32 a[0:3], v69, v67, a[0:3]
	s_waitcnt lgkmcnt(0)
	v_mfma_f32_16x16x4_f32 a[12:15], v48, v54, a[12:15]
	;; [unrolled: 10-line block ×7, first 2 shown]
	v_mfma_f32_16x16x4_f32 a[8:11], v14, v16, a[8:11]
	v_mfma_f32_16x16x4_f32 a[4:7], v18, v16, a[4:7]
	;; [unrolled: 1-line block ×7, first 2 shown]
	s_andn2_b64 exec, exec, s[8:9]
	s_cbranch_execnz .LBB77_4
; %bb.5:
	s_or_b64 exec, exec, s[8:9]
.LBB77_6:
	s_or_b64 exec, exec, s[24:25]
	v_lshl_add_u32 v1, v80, 2, 0
	v_and_b32_e32 v2, 0x3f0, v79
	v_add3_u32 v1, v1, v82, v2
	v_accvgpr_read_b32 v2, a13
	v_accvgpr_read_b32 v3, a12
	ds_write2_b32 v1, v3, v2 offset1:1
	v_accvgpr_read_b32 v2, a15
	v_accvgpr_read_b32 v3, a14
	ds_write2_b32 v1, v3, v2 offset0:2 offset1:3
	v_accvgpr_read_b32 v2, a9
	v_accvgpr_read_b32 v3, a8
	ds_write2_b32 v1, v3, v2 offset0:16 offset1:17
	;; [unrolled: 3-line block ×6, first 2 shown]
	v_accvgpr_read_b32 v2, a3
	v_accvgpr_read_b32 v3, a2
	s_waitcnt lgkmcnt(0)
	s_mul_hi_i32 s1, s15, s4
	s_mul_i32 s0, s15, s4
	ds_write2_b32 v1, v3, v2 offset0:50 offset1:51
	v_mul_u32_u24_e32 v1, 0x108, v78
	s_lshl_b64 s[0:1], s[0:1], 2
	v_add3_u32 v6, 0, v0, v1
	s_add_u32 s4, s6, s0
	s_mul_i32 s0, s11, s3
	ds_read2_b32 v[0:1], v6 offset1:66
	s_addc_u32 s5, s7, s1
	s_ashr_i32 s1, s0, 31
	s_lshl_b64 s[0:1], s[0:1], 2
	s_add_u32 s0, s4, s0
	v_mul_lo_u32 v2, v78, s18
	s_addc_u32 s1, s5, s1
	v_add3_u32 v2, s2, v79, v2
	v_mov_b32_e32 v3, 0
	s_waitcnt lgkmcnt(0)
	v_add_f32_e32 v0, 0, v0
	v_lshl_add_u64 v[4:5], v[2:3], 2, s[0:1]
	global_store_dword v[4:5], v0, off
	ds_read2_b32 v[4:5], v6 offset0:132 offset1:198
	v_add_u32_e32 v2, s18, v2
	v_add_f32_e32 v7, 0, v1
	v_lshl_add_u64 v[0:1], v[2:3], 2, s[0:1]
	v_add_u32_e32 v2, s18, v2
	global_store_dword v[0:1], v7, off
	s_waitcnt lgkmcnt(0)
	v_add_f32_e32 v4, 0, v4
	v_lshl_add_u64 v[0:1], v[2:3], 2, s[0:1]
	v_add_u32_e32 v7, 0x400, v6
	global_store_dword v[0:1], v4, off
	ds_read2_b32 v[0:1], v7 offset0:8 offset1:74
	v_add_u32_e32 v2, s18, v2
	v_add_f32_e32 v8, 0, v5
	v_lshl_add_u64 v[4:5], v[2:3], 2, s[0:1]
	v_add_u32_e32 v2, s18, v2
	global_store_dword v[4:5], v8, off
	s_waitcnt lgkmcnt(0)
	v_add_f32_e32 v0, 0, v0
	v_lshl_add_u64 v[4:5], v[2:3], 2, s[0:1]
	global_store_dword v[4:5], v0, off
	ds_read2_b32 v[4:5], v7 offset0:140 offset1:206
	v_add_u32_e32 v2, s18, v2
	v_add_f32_e32 v7, 0, v1
	v_lshl_add_u64 v[0:1], v[2:3], 2, s[0:1]
	v_add_u32_e32 v2, s18, v2
	global_store_dword v[0:1], v7, off
	s_waitcnt lgkmcnt(0)
	v_add_f32_e32 v4, 0, v4
	v_lshl_add_u64 v[0:1], v[2:3], 2, s[0:1]
	v_add_u32_e32 v7, 0x800, v6
	global_store_dword v[0:1], v4, off
	ds_read2_b32 v[0:1], v7 offset0:16 offset1:82
	v_add_u32_e32 v2, s18, v2
	v_add_f32_e32 v8, 0, v5
	v_lshl_add_u64 v[4:5], v[2:3], 2, s[0:1]
	v_add_u32_e32 v2, s18, v2
	global_store_dword v[4:5], v8, off
	s_waitcnt lgkmcnt(0)
	v_add_f32_e32 v0, 0, v0
	v_lshl_add_u64 v[4:5], v[2:3], 2, s[0:1]
	global_store_dword v[4:5], v0, off
	ds_read2_b32 v[4:5], v7 offset0:148 offset1:214
	v_add_u32_e32 v2, s18, v2
	v_add_f32_e32 v7, 0, v1
	v_lshl_add_u64 v[0:1], v[2:3], 2, s[0:1]
	v_add_u32_e32 v2, s18, v2
	global_store_dword v[0:1], v7, off
	s_waitcnt lgkmcnt(0)
	v_add_f32_e32 v4, 0, v4
	v_lshl_add_u64 v[0:1], v[2:3], 2, s[0:1]
	global_store_dword v[0:1], v4, off
	ds_read_b32 v4, v6 offset:3168
	v_add_u32_e32 v2, s18, v2
	v_add_f32_e32 v5, 0, v5
	v_lshl_add_u64 v[0:1], v[2:3], 2, s[0:1]
	v_add_u32_e32 v2, s18, v2
	global_store_dword v[0:1], v5, off
	s_waitcnt lgkmcnt(0)
	v_add_f32_e32 v4, 0, v4
	v_lshl_add_u64 v[0:1], v[2:3], 2, s[0:1]
	global_store_dword v[0:1], v4, off
	s_endpgm
	.section	.rodata,"a",@progbits
	.p2align	6, 0x0
	.amdhsa_kernel _ZL9mul_mat_fIfLi64ELi13ELi1ELb0EEvPKT_PKfPKiPfiiiiiiiiiiiiiiii
		.amdhsa_group_segment_fixed_size 0
		.amdhsa_private_segment_fixed_size 0
		.amdhsa_kernarg_size 96
		.amdhsa_user_sgpr_count 2
		.amdhsa_user_sgpr_dispatch_ptr 0
		.amdhsa_user_sgpr_queue_ptr 0
		.amdhsa_user_sgpr_kernarg_segment_ptr 1
		.amdhsa_user_sgpr_dispatch_id 0
		.amdhsa_user_sgpr_kernarg_preload_length 0
		.amdhsa_user_sgpr_kernarg_preload_offset 0
		.amdhsa_user_sgpr_private_segment_size 0
		.amdhsa_uses_dynamic_stack 0
		.amdhsa_enable_private_segment 0
		.amdhsa_system_sgpr_workgroup_id_x 1
		.amdhsa_system_sgpr_workgroup_id_y 1
		.amdhsa_system_sgpr_workgroup_id_z 1
		.amdhsa_system_sgpr_workgroup_info 0
		.amdhsa_system_vgpr_workitem_id 1
		.amdhsa_next_free_vgpr 132
		.amdhsa_next_free_sgpr 91
		.amdhsa_accum_offset 116
		.amdhsa_reserve_vcc 1
		.amdhsa_float_round_mode_32 0
		.amdhsa_float_round_mode_16_64 0
		.amdhsa_float_denorm_mode_32 3
		.amdhsa_float_denorm_mode_16_64 3
		.amdhsa_dx10_clamp 1
		.amdhsa_ieee_mode 1
		.amdhsa_fp16_overflow 0
		.amdhsa_tg_split 0
		.amdhsa_exception_fp_ieee_invalid_op 0
		.amdhsa_exception_fp_denorm_src 0
		.amdhsa_exception_fp_ieee_div_zero 0
		.amdhsa_exception_fp_ieee_overflow 0
		.amdhsa_exception_fp_ieee_underflow 0
		.amdhsa_exception_fp_ieee_inexact 0
		.amdhsa_exception_int_div_zero 0
	.end_amdhsa_kernel
	.section	.text._ZL9mul_mat_fIfLi64ELi13ELi1ELb0EEvPKT_PKfPKiPfiiiiiiiiiiiiiiii,"axG",@progbits,_ZL9mul_mat_fIfLi64ELi13ELi1ELb0EEvPKT_PKfPKiPfiiiiiiiiiiiiiiii,comdat
.Lfunc_end77:
	.size	_ZL9mul_mat_fIfLi64ELi13ELi1ELb0EEvPKT_PKfPKiPfiiiiiiiiiiiiiiii, .Lfunc_end77-_ZL9mul_mat_fIfLi64ELi13ELi1ELb0EEvPKT_PKfPKiPfiiiiiiiiiiiiiiii
                                        ; -- End function
	.set _ZL9mul_mat_fIfLi64ELi13ELi1ELb0EEvPKT_PKfPKiPfiiiiiiiiiiiiiiii.num_vgpr, 116
	.set _ZL9mul_mat_fIfLi64ELi13ELi1ELb0EEvPKT_PKfPKiPfiiiiiiiiiiiiiiii.num_agpr, 16
	.set _ZL9mul_mat_fIfLi64ELi13ELi1ELb0EEvPKT_PKfPKiPfiiiiiiiiiiiiiiii.numbered_sgpr, 91
	.set _ZL9mul_mat_fIfLi64ELi13ELi1ELb0EEvPKT_PKfPKiPfiiiiiiiiiiiiiiii.num_named_barrier, 0
	.set _ZL9mul_mat_fIfLi64ELi13ELi1ELb0EEvPKT_PKfPKiPfiiiiiiiiiiiiiiii.private_seg_size, 0
	.set _ZL9mul_mat_fIfLi64ELi13ELi1ELb0EEvPKT_PKfPKiPfiiiiiiiiiiiiiiii.uses_vcc, 1
	.set _ZL9mul_mat_fIfLi64ELi13ELi1ELb0EEvPKT_PKfPKiPfiiiiiiiiiiiiiiii.uses_flat_scratch, 0
	.set _ZL9mul_mat_fIfLi64ELi13ELi1ELb0EEvPKT_PKfPKiPfiiiiiiiiiiiiiiii.has_dyn_sized_stack, 0
	.set _ZL9mul_mat_fIfLi64ELi13ELi1ELb0EEvPKT_PKfPKiPfiiiiiiiiiiiiiiii.has_recursion, 0
	.set _ZL9mul_mat_fIfLi64ELi13ELi1ELb0EEvPKT_PKfPKiPfiiiiiiiiiiiiiiii.has_indirect_call, 0
	.section	.AMDGPU.csdata,"",@progbits
; Kernel info:
; codeLenInByte = 5616
; TotalNumSgprs: 97
; NumVgprs: 116
; NumAgprs: 16
; TotalNumVgprs: 132
; ScratchSize: 0
; MemoryBound: 0
; FloatMode: 240
; IeeeMode: 1
; LDSByteSize: 0 bytes/workgroup (compile time only)
; SGPRBlocks: 12
; VGPRBlocks: 16
; NumSGPRsForWavesPerEU: 97
; NumVGPRsForWavesPerEU: 132
; AccumOffset: 116
; Occupancy: 3
; WaveLimiterHint : 0
; COMPUTE_PGM_RSRC2:SCRATCH_EN: 0
; COMPUTE_PGM_RSRC2:USER_SGPR: 2
; COMPUTE_PGM_RSRC2:TRAP_HANDLER: 0
; COMPUTE_PGM_RSRC2:TGID_X_EN: 1
; COMPUTE_PGM_RSRC2:TGID_Y_EN: 1
; COMPUTE_PGM_RSRC2:TGID_Z_EN: 1
; COMPUTE_PGM_RSRC2:TIDIG_COMP_CNT: 1
; COMPUTE_PGM_RSRC3_GFX90A:ACCUM_OFFSET: 28
; COMPUTE_PGM_RSRC3_GFX90A:TG_SPLIT: 0
	.section	.text._ZL13mul_mat_f_idsIfLi64ELi13ELi2EEvPKT_PKfPKiS6_S6_Pfiiiiiiiiiiiiii15HIP_vector_typeIjLj3EES9_,"axG",@progbits,_ZL13mul_mat_f_idsIfLi64ELi13ELi2EEvPKT_PKfPKiS6_S6_Pfiiiiiiiiiiiiii15HIP_vector_typeIjLj3EES9_,comdat
	.globl	_ZL13mul_mat_f_idsIfLi64ELi13ELi2EEvPKT_PKfPKiS6_S6_Pfiiiiiiiiiiiiii15HIP_vector_typeIjLj3EES9_ ; -- Begin function _ZL13mul_mat_f_idsIfLi64ELi13ELi2EEvPKT_PKfPKiS6_S6_Pfiiiiiiiiiiiiii15HIP_vector_typeIjLj3EES9_
	.p2align	8
	.type	_ZL13mul_mat_f_idsIfLi64ELi13ELi2EEvPKT_PKfPKiS6_S6_Pfiiiiiiiiiiiiii15HIP_vector_typeIjLj3EES9_,@function
_ZL13mul_mat_f_idsIfLi64ELi13ELi2EEvPKT_PKfPKiS6_S6_Pfiiiiiiiiiiiiii15HIP_vector_typeIjLj3EES9_: ; @_ZL13mul_mat_f_idsIfLi64ELi13ELi2EEvPKT_PKfPKiS6_S6_Pfiiiiiiiiiiiiii15HIP_vector_typeIjLj3EES9_
; %bb.0:
	s_load_dwordx2 s[6:7], s[0:1], 0x20
	s_mov_b32 s34, s3
	s_ashr_i32 s35, s3, 31
	s_lshl_b64 s[8:9], s[34:35], 2
	s_waitcnt lgkmcnt(0)
	s_add_u32 s6, s6, s8
	s_addc_u32 s7, s7, s9
	s_load_dwordx2 s[30:31], s[6:7], 0x0
	s_waitcnt lgkmcnt(0)
	s_sub_i32 s26, s31, s30
	s_add_i32 s3, s26, 12
	s_mul_hi_i32 s3, s3, 0x4ec4ec4f
	s_lshr_b32 s5, s3, 31
	s_ashr_i32 s3, s3, 2
	s_add_i32 s3, s3, s5
	s_cmp_ge_i32 s4, s3
	s_cbranch_scc1 .LBB78_68
; %bb.1:
	v_bfe_u32 v2, v0, 10, 10
	v_lshlrev_b32_e32 v70, 6, v2
	v_and_b32_e32 v3, 0x3ff, v0
	s_load_dwordx4 s[12:15], s[0:1], 0x30
	s_load_dwordx2 s[20:21], s[0:1], 0x40
	s_load_dwordx4 s[8:11], s[0:1], 0x4c
	s_load_dwordx4 s[16:19], s[0:1], 0x68
	s_load_dwordx2 s[24:25], s[0:1], 0x78
	v_add_u32_e32 v72, v70, v3
	s_ashr_i32 s31, s30, 31
	s_waitcnt lgkmcnt(0)
	v_cmp_le_i32_e32 vcc, s12, v72
	v_and_b32_e32 v71, 15, v3
	s_and_saveexec_b64 s[6:7], vcc
	s_xor_b64 s[6:7], exec, s[6:7]
; %bb.2:
	v_and_b32_e32 v71, 15, v3
                                        ; implicit-def: $vgpr72
; %bb.3:
	s_or_saveexec_b64 s[36:37], s[6:7]
	s_load_dwordx2 s[22:23], s[0:1], 0x18
	s_load_dwordx2 s[6:7], s[0:1], 0x28
                                        ; implicit-def: $vgpr90 : SGPR spill to VGPR lane
	s_lshl_b32 s11, s2, 6
	s_mul_i32 s28, s4, 13
	v_mov_b32_e32 v1, 0
	v_accvgpr_write_b32 a0, 0
	s_waitcnt lgkmcnt(0)
	v_writelane_b32 v90, s6, 0
	v_accvgpr_write_b32 a1, 0
	v_accvgpr_write_b32 a2, 0
	v_accvgpr_write_b32 a3, 0
	v_accvgpr_write_b32 a4, 0
	v_accvgpr_write_b32 a5, 0
	v_accvgpr_write_b32 a6, 0
	v_accvgpr_write_b32 a7, 0
	v_accvgpr_write_b32 a8, 0
	v_accvgpr_write_b32 a9, 0
	v_accvgpr_write_b32 a10, 0
	v_accvgpr_write_b32 a11, 0
	v_accvgpr_write_b32 a12, 0
	v_accvgpr_write_b32 a13, 0
	v_accvgpr_write_b32 a14, 0
	v_accvgpr_write_b32 a15, 0
	v_writelane_b32 v90, s7, 1
	s_xor_b64 exec, exec, s[36:37]
	s_cbranch_execz .LBB78_46
; %bb.4:
	s_load_dwordx4 s[4:7], s[0:1], 0x0
	s_load_dwordx2 s[2:3], s[0:1], 0x10
	v_writelane_b32 v90, s36, 2
	s_mul_i32 s0, s8, s34
	s_ashr_i32 s1, s0, 31
	v_writelane_b32 v90, s37, 3
	v_writelane_b32 v90, s22, 4
	s_lshl_b64 s[64:65], s[0:1], 2
	s_waitcnt lgkmcnt(0)
	s_add_u32 s0, s4, s64
	v_writelane_b32 v90, s23, 5
	s_mul_i32 s22, s15, s11
	v_writelane_b32 v90, s24, 6
	s_addc_u32 s1, s5, s65
	s_ashr_i32 s23, s22, 31
	v_writelane_b32 v90, s25, 7
	s_lshl_b64 s[66:67], s[22:23], 2
	v_writelane_b32 v90, s11, 8
	s_add_u32 s0, s0, s66
	s_addc_u32 s1, s1, s67
	v_writelane_b32 v90, s30, 9
	s_lshl_b64 s[22:23], s[30:31], 2
	s_add_u32 s8, s2, s22
	s_addc_u32 s11, s3, s23
	s_movk_i32 s2, 0x1080
	s_cmp_lt_i32 s28, s26
	v_writelane_b32 v90, s31, 10
	v_mad_u32_u24 v0, v2, s2, 0
	s_cselect_b64 s[2:3], -1, 0
	v_writelane_b32 v90, s2, 11
	s_ashr_i32 s29, s28, 31
	s_mov_b32 s22, s15
	v_writelane_b32 v90, s3, 12
	s_lshl_b64 s[2:3], s[28:29], 2
	s_add_u32 s36, s8, s2
	s_addc_u32 s37, s11, s3
	s_add_i32 s2, s28, 1
	s_cmp_lt_i32 s2, s26
	s_cselect_b64 s[2:3], -1, 0
	v_writelane_b32 v90, s2, 13
	v_lshrrev_b32_e32 v6, 1, v3
	v_lshlrev_b32_e32 v4, 2, v3
	v_writelane_b32 v90, s3, 14
	s_add_i32 s2, s28, 2
	s_cmp_lt_i32 s2, s26
	s_cselect_b64 s[2:3], -1, 0
	v_writelane_b32 v90, s2, 15
	v_mul_u32_u24_e32 v5, 0x108, v71
	v_and_b32_e32 v6, 0x1f8, v6
	v_writelane_b32 v90, s3, 16
	s_add_i32 s2, s28, 3
	s_cmp_lt_i32 s2, s26
	s_cselect_b64 s[2:3], -1, 0
	v_writelane_b32 v90, s2, 17
	v_add_u32_e32 v73, v0, v4
	v_add3_u32 v74, v0, v5, v6
	v_writelane_b32 v90, s3, 18
	s_add_i32 s2, s28, 4
	s_cmp_lt_i32 s2, s26
	s_cselect_b64 s[2:3], -1, 0
	v_writelane_b32 v90, s2, 19
	v_lshlrev_b32_e32 v0, 8, v2
	v_mov_b32_e32 v5, v1
	v_writelane_b32 v90, s3, 20
	s_add_i32 s2, s28, 5
	s_cmp_lt_i32 s2, s26
	s_cselect_b64 s[2:3], -1, 0
	v_writelane_b32 v90, s2, 21
	s_mul_i32 s8, s15, 3
	s_mul_i32 s69, s15, 5
	v_writelane_b32 v90, s3, 22
	s_add_i32 s2, s28, 6
	s_cmp_lt_i32 s2, s26
	s_cselect_b64 s[48:49], -1, 0
	s_add_i32 s2, s28, 7
	s_cmp_lt_i32 s2, s26
	s_cselect_b64 s[50:51], -1, 0
	s_add_i32 s2, s28, 8
	s_cmp_lt_i32 s2, s26
	s_cselect_b64 s[52:53], -1, 0
	s_add_i32 s2, s28, 9
	s_cmp_lt_i32 s2, s26
	s_cselect_b64 s[54:55], -1, 0
	s_add_i32 s2, s28, 10
	s_cmp_lt_i32 s2, s26
	s_cselect_b64 s[56:57], -1, 0
	s_add_i32 s2, s28, 11
	s_cmp_lt_i32 s2, s26
	s_mov_b32 s2, s28
	v_writelane_b32 v90, s2, 23
	s_cselect_b64 s[58:59], -1, 0
	s_mul_i32 s70, s15, 6
	v_writelane_b32 v90, s3, 24
	s_add_i32 s2, s28, 12
	s_cmp_lt_i32 s2, s26
	s_cselect_b64 s[60:61], -1, 0
	s_ashr_i32 s23, s15, 31
	s_add_i32 s3, s15, s15
	s_lshl_b32 s68, s15, 2
	s_lshl_b32 s72, s15, 3
	;; [unrolled: 1-line block ×4, first 2 shown]
	s_lshl_b64 s[62:63], s[22:23], 2
	s_add_u32 s22, s64, s66
	s_addc_u32 s23, s65, s67
	v_lshl_add_u64 v[6:7], s[22:23], 0, v[0:1]
	v_lshl_add_u64 v[4:5], v[6:7], 0, v[4:5]
	v_writelane_b32 v90, s26, 25
	s_mul_i32 s71, s15, 7
	s_mul_i32 s73, s15, 9
	;; [unrolled: 1-line block ×20, first 2 shown]
	v_accvgpr_write_b32 a15, 0
	v_accvgpr_write_b32 a14, 0
	;; [unrolled: 1-line block ×16, first 2 shown]
	v_lshl_add_u64 v[4:5], s[4:5], 0, v[4:5]
	s_mul_i32 s90, s15, 29
	s_mul_i32 s91, s15, 30
	;; [unrolled: 1-line block ×34, first 2 shown]
	s_mov_b64 s[4:5], 0
	s_branch .LBB78_6
.LBB78_5:                               ;   in Loop: Header=BB78_6 Depth=1
	s_waitcnt vmcnt(0)
	ds_write2_b32 v73, v0, v76 offset1:66
	ds_write2_b32 v73, v75, v78 offset0:132 offset1:198
	v_add_u32_e32 v0, 0x400, v73
	ds_write2_b32 v0, v77, v80 offset0:8 offset1:74
	ds_write2_b32 v0, v79, v82 offset0:140 offset1:206
	v_add_u32_e32 v0, 0x800, v73
	ds_write2_b32 v0, v81, v84 offset0:16 offset1:82
	;; [unrolled: 3-line block ×3, first 2 shown]
	ds_write2_b32 v0, v1, v1 offset0:156 offset1:222
	ds_read2_b64 v[76:79], v74 offset1:4
	v_add_u32_e32 v72, 0x80, v72
	s_waitcnt lgkmcnt(0)
	v_mfma_f32_16x16x4_f32 a[12:15], v12, v76, a[12:15]
	s_mov_b64 vcc, 0x200
	v_lshl_add_u64 v[4:5], v[4:5], 0, vcc
	v_cmp_le_i32_e32 vcc, s12, v72
	s_or_b64 s[4:5], vcc, s[4:5]
	v_mfma_f32_16x16x4_f32 a[8:11], v46, v76, a[8:11]
	v_mfma_f32_16x16x4_f32 a[4:7], v56, v76, a[4:7]
	;; [unrolled: 1-line block ×12, first 2 shown]
	ds_read2_b64 v[10:13], v74 offset0:8 offset1:12
	v_mfma_f32_16x16x4_f32 a[8:11], v43, v79, a[8:11]
	v_mfma_f32_16x16x4_f32 a[4:7], v53, v79, a[4:7]
	;; [unrolled: 1-line block ×3, first 2 shown]
	s_waitcnt lgkmcnt(0)
	v_mfma_f32_16x16x4_f32 a[12:15], v8, v10, a[12:15]
	v_mfma_f32_16x16x4_f32 a[8:11], v38, v10, a[8:11]
	;; [unrolled: 1-line block ×13, first 2 shown]
	ds_read2_b64 v[6:9], v74 offset0:16 offset1:20
	v_mfma_f32_16x16x4_f32 a[8:11], v35, v13, a[8:11]
	v_mfma_f32_16x16x4_f32 a[4:7], v45, v13, a[4:7]
	;; [unrolled: 1-line block ×3, first 2 shown]
	s_waitcnt lgkmcnt(0)
	v_mfma_f32_16x16x4_f32 a[12:15], v22, v6, a[12:15]
	v_mfma_f32_16x16x4_f32 a[8:11], v30, v6, a[8:11]
	v_mfma_f32_16x16x4_f32 a[4:7], v40, v6, a[4:7]
	v_mfma_f32_16x16x4_f32 a[0:3], v60, v6, a[0:3]
	v_mfma_f32_16x16x4_f32 a[12:15], v23, v7, a[12:15]
	v_mfma_f32_16x16x4_f32 a[8:11], v31, v7, a[8:11]
	v_mfma_f32_16x16x4_f32 a[4:7], v41, v7, a[4:7]
	v_mfma_f32_16x16x4_f32 a[0:3], v61, v7, a[0:3]
	v_mfma_f32_16x16x4_f32 a[12:15], v18, v8, a[12:15]
	v_mfma_f32_16x16x4_f32 a[8:11], v26, v8, a[8:11]
	v_mfma_f32_16x16x4_f32 a[4:7], v36, v8, a[4:7]
	v_mfma_f32_16x16x4_f32 a[0:3], v58, v8, a[0:3]
	v_mfma_f32_16x16x4_f32 a[12:15], v19, v9, a[12:15]
	v_mfma_f32_16x16x4_f32 a[8:11], v27, v9, a[8:11]
	v_mfma_f32_16x16x4_f32 a[4:7], v37, v9, a[4:7]
	v_mfma_f32_16x16x4_f32 a[0:3], v59, v9, a[0:3]
	ds_read2_b64 v[6:9], v74 offset0:24 offset1:28
	s_waitcnt lgkmcnt(0)
	v_mfma_f32_16x16x4_f32 a[12:15], v16, v6, a[12:15]
	v_mfma_f32_16x16x4_f32 a[8:11], v24, v6, a[8:11]
	;; [unrolled: 1-line block ×16, first 2 shown]
	s_andn2_b64 exec, exec, s[4:5]
	s_cbranch_execz .LBB78_45
.LBB78_6:                               ; =>This Inner Loop Header: Depth=1
	v_lshl_add_u64 v[6:7], v[4:5], 0, s[62:63]
	global_load_dword v0, v[4:5], off
	global_load_dword v22, v[6:7], off
	v_add_u32_e32 v6, s3, v72
	v_add_u32_e32 v10, s68, v72
	;; [unrolled: 1-line block ×4, first 2 shown]
	v_ashrrev_i32_e32 v7, 31, v6
	v_add_u32_e32 v8, s8, v72
	v_ashrrev_i32_e32 v11, 31, v10
	v_ashrrev_i32_e32 v13, 31, v12
	v_add_u32_e32 v14, s70, v72
	v_add_u32_e32 v16, s71, v72
	v_ashrrev_i32_e32 v19, 31, v18
	v_add_u32_e32 v20, s73, v72
	v_lshl_add_u64 v[6:7], v[6:7], 2, s[0:1]
	v_ashrrev_i32_e32 v9, 31, v8
	v_lshl_add_u64 v[10:11], v[10:11], 2, s[0:1]
	v_lshl_add_u64 v[12:13], v[12:13], 2, s[0:1]
	v_ashrrev_i32_e32 v15, 31, v14
	v_ashrrev_i32_e32 v17, 31, v16
	v_lshl_add_u64 v[18:19], v[18:19], 2, s[0:1]
	v_ashrrev_i32_e32 v21, 31, v20
	v_lshl_add_u64 v[8:9], v[8:9], 2, s[0:1]
	v_lshl_add_u64 v[14:15], v[14:15], 2, s[0:1]
	;; [unrolled: 1-line block ×4, first 2 shown]
	global_load_dword v23, v[6:7], off
	global_load_dword v24, v[8:9], off
	;; [unrolled: 1-line block ×6, first 2 shown]
	s_nop 0
	global_load_dword v18, v[18:19], off
	s_nop 0
	global_load_dword v19, v[20:21], off
	v_add_u32_e32 v6, s74, v72
	v_add_u32_e32 v10, s76, v72
	;; [unrolled: 1-line block ×3, first 2 shown]
	v_ashrrev_i32_e32 v7, 31, v6
	v_add_u32_e32 v8, s75, v72
	v_ashrrev_i32_e32 v11, 31, v10
	v_ashrrev_i32_e32 v13, 31, v12
	v_add_u32_e32 v14, s78, v72
	v_add_u32_e32 v16, s79, v72
	v_lshl_add_u64 v[6:7], v[6:7], 2, s[0:1]
	v_ashrrev_i32_e32 v9, 31, v8
	v_lshl_add_u64 v[10:11], v[10:11], 2, s[0:1]
	v_lshl_add_u64 v[12:13], v[12:13], 2, s[0:1]
	v_ashrrev_i32_e32 v15, 31, v14
	v_ashrrev_i32_e32 v17, 31, v16
	v_lshl_add_u64 v[8:9], v[8:9], 2, s[0:1]
	v_lshl_add_u64 v[14:15], v[14:15], 2, s[0:1]
	;; [unrolled: 1-line block ×3, first 2 shown]
	global_load_dword v20, v[6:7], off
	global_load_dword v21, v[8:9], off
	s_nop 0
	global_load_dword v10, v[10:11], off
	s_nop 0
	;; [unrolled: 2-line block ×3, first 2 shown]
	global_load_dword v12, v[14:15], off
	global_load_dword v13, v[16:17], off
	v_add_u32_e32 v6, s80, v72
	v_add_u32_e32 v8, s81, v72
	v_ashrrev_i32_e32 v7, 31, v6
	v_ashrrev_i32_e32 v9, 31, v8
	v_lshl_add_u64 v[6:7], v[6:7], 2, s[0:1]
	v_add_u32_e32 v14, s82, v72
	v_lshl_add_u64 v[8:9], v[8:9], 2, s[0:1]
	global_load_dword v30, v[6:7], off
	global_load_dword v31, v[8:9], off
	v_ashrrev_i32_e32 v15, 31, v14
	v_add_u32_e32 v16, s83, v72
	v_lshl_add_u64 v[14:15], v[14:15], 2, s[0:1]
	v_ashrrev_i32_e32 v17, 31, v16
	v_lshl_add_u64 v[16:17], v[16:17], 2, s[0:1]
	v_readlane_b32 s46, v90, 11
	v_readlane_b32 s47, v90, 12
	s_andn2_b64 vcc, exec, s[46:47]
	s_waitcnt vmcnt(17)
	ds_write_b32 v73, v0
	s_waitcnt vmcnt(16)
	ds_write_b32 v73, v22 offset:264
	s_waitcnt vmcnt(15)
	ds_write_b32 v73, v23 offset:528
	;; [unrolled: 2-line block ×15, first 2 shown]
	v_add_u32_e32 v18, s84, v72
	v_add_u32_e32 v20, s64, v72
	v_add_u32_e32 v22, s65, v72
	v_add_u32_e32 v24, s66, v72
	v_add_u32_e32 v26, s67, v72
	v_add_u32_e32 v28, s86, v72
	v_ashrrev_i32_e32 v19, 31, v18
	v_ashrrev_i32_e32 v21, 31, v20
	;; [unrolled: 1-line block ×6, first 2 shown]
	ds_read_b64 v[12:13], v74
	ds_read_b64 v[10:11], v74 offset:32
	ds_read_b64 v[8:9], v74 offset:64
	;; [unrolled: 1-line block ×3, first 2 shown]
	v_lshl_add_u64 v[18:19], v[18:19], 2, s[0:1]
	v_lshl_add_u64 v[20:21], v[20:21], 2, s[0:1]
	v_lshl_add_u64 v[22:23], v[22:23], 2, s[0:1]
	v_lshl_add_u64 v[24:25], v[24:25], 2, s[0:1]
	v_lshl_add_u64 v[26:27], v[26:27], 2, s[0:1]
	v_lshl_add_u64 v[28:29], v[28:29], 2, s[0:1]
	global_load_dword v0, v[14:15], off
	global_load_dword v32, v[16:17], off
	global_load_dword v33, v[18:19], off
	global_load_dword v34, v[20:21], off
	global_load_dword v35, v[22:23], off
	global_load_dword v36, v[24:25], off
	global_load_dword v37, v[26:27], off
	global_load_dword v38, v[28:29], off
	v_add_u32_e32 v14, s87, v72
	v_ashrrev_i32_e32 v15, 31, v14
	v_add_u32_e32 v16, s88, v72
	v_add_u32_e32 v18, s89, v72
	v_add_u32_e32 v20, s90, v72
	v_add_u32_e32 v22, s91, v72
	v_add_u32_e32 v24, s92, v72
	v_add_u32_e32 v26, s85, v72
	v_add_u32_e32 v28, s93, v72
	v_lshl_add_u64 v[14:15], v[14:15], 2, s[0:1]
	v_ashrrev_i32_e32 v17, 31, v16
	v_ashrrev_i32_e32 v19, 31, v18
	v_ashrrev_i32_e32 v21, 31, v20
	v_ashrrev_i32_e32 v23, 31, v22
	v_ashrrev_i32_e32 v25, 31, v24
	v_ashrrev_i32_e32 v27, 31, v26
	v_ashrrev_i32_e32 v29, 31, v28
	v_lshl_add_u64 v[16:17], v[16:17], 2, s[0:1]
	v_lshl_add_u64 v[18:19], v[18:19], 2, s[0:1]
	v_lshl_add_u64 v[20:21], v[20:21], 2, s[0:1]
	v_lshl_add_u64 v[22:23], v[22:23], 2, s[0:1]
	v_lshl_add_u64 v[24:25], v[24:25], 2, s[0:1]
	v_lshl_add_u64 v[26:27], v[26:27], 2, s[0:1]
	v_lshl_add_u64 v[28:29], v[28:29], 2, s[0:1]
	global_load_dword v39, v[14:15], off
	global_load_dword v40, v[16:17], off
	global_load_dword v41, v[18:19], off
	global_load_dword v42, v[20:21], off
	global_load_dword v43, v[22:23], off
	global_load_dword v44, v[24:25], off
	global_load_dword v45, v[26:27], off
	global_load_dword v48, v[28:29], off
	v_add_u32_e32 v14, s94, v72
	v_ashrrev_i32_e32 v15, 31, v14
	v_add_u32_e32 v16, s95, v72
	v_add_u32_e32 v18, s96, v72
	v_add_u32_e32 v20, s97, v72
	v_add_u32_e32 v22, s98, v72
	v_add_u32_e32 v24, s99, v72
	v_add_u32_e32 v26, s24, v72
	v_add_u32_e32 v28, s25, v72
	v_lshl_add_u64 v[14:15], v[14:15], 2, s[0:1]
	v_ashrrev_i32_e32 v17, 31, v16
	v_ashrrev_i32_e32 v19, 31, v18
	v_ashrrev_i32_e32 v21, 31, v20
	v_ashrrev_i32_e32 v23, 31, v22
	v_ashrrev_i32_e32 v25, 31, v24
	v_ashrrev_i32_e32 v27, 31, v26
	v_ashrrev_i32_e32 v29, 31, v28
	v_lshl_add_u64 v[16:17], v[16:17], 2, s[0:1]
	;; [unrolled: 32-line block ×4, first 2 shown]
	v_lshl_add_u64 v[18:19], v[18:19], 2, s[0:1]
	v_lshl_add_u64 v[20:21], v[20:21], 2, s[0:1]
	;; [unrolled: 1-line block ×6, first 2 shown]
	global_load_dword v65, v[14:15], off
	global_load_dword v66, v[16:17], off
	global_load_dword v67, v[18:19], off
	global_load_dword v68, v[20:21], off
	global_load_dword v69, v[22:23], off
	global_load_dword v75, v[24:25], off
	global_load_dword v76, v[26:27], off
	global_load_dword v77, v[28:29], off
	v_add_u32_e32 v14, s41, v72
	v_ashrrev_i32_e32 v15, 31, v14
	v_add_u32_e32 v16, s42, v72
	v_add_u32_e32 v18, s43, v72
	;; [unrolled: 1-line block ×5, first 2 shown]
	v_lshl_add_u64 v[14:15], v[14:15], 2, s[0:1]
	v_ashrrev_i32_e32 v17, 31, v16
	v_ashrrev_i32_e32 v19, 31, v18
	;; [unrolled: 1-line block ×5, first 2 shown]
	v_lshl_add_u64 v[16:17], v[16:17], 2, s[0:1]
	v_lshl_add_u64 v[18:19], v[18:19], 2, s[0:1]
	;; [unrolled: 1-line block ×5, first 2 shown]
	global_load_dword v78, v[14:15], off
	global_load_dword v79, v[16:17], off
	;; [unrolled: 1-line block ×6, first 2 shown]
	ds_read_b64 v[22:23], v74 offset:128
	ds_read_b64 v[18:19], v74 offset:160
	ds_read_b64 v[16:17], v74 offset:192
	ds_read_b64 v[14:15], v74 offset:224
	s_waitcnt vmcnt(47)
	ds_write_b32 v73, v30
	s_waitcnt vmcnt(46)
	ds_write_b32 v73, v31 offset:264
	s_waitcnt vmcnt(45)
	ds_write_b32 v73, v0 offset:528
	s_waitcnt vmcnt(44)
	ds_write_b32 v73, v32 offset:792
	s_waitcnt vmcnt(43)
	ds_write_b32 v73, v33 offset:1056
	s_waitcnt vmcnt(42)
	ds_write_b32 v73, v34 offset:1320
	s_waitcnt vmcnt(41)
	ds_write_b32 v73, v35 offset:1584
	s_waitcnt vmcnt(40)
	ds_write_b32 v73, v36 offset:1848
	s_waitcnt vmcnt(39)
	ds_write_b32 v73, v37 offset:2112
	s_waitcnt vmcnt(38)
	ds_write_b32 v73, v38 offset:2376
	s_waitcnt vmcnt(37)
	ds_write_b32 v73, v39 offset:2640
	s_waitcnt vmcnt(36)
	ds_write_b32 v73, v40 offset:2904
	s_waitcnt vmcnt(35)
	ds_write_b32 v73, v41 offset:3168
	s_waitcnt vmcnt(34)
	ds_write_b32 v73, v42 offset:3432
	s_waitcnt vmcnt(33)
	ds_write_b32 v73, v43 offset:3696
	s_waitcnt vmcnt(32)
	ds_write_b32 v73, v44 offset:3960
	ds_read_b64 v[46:47], v74
	ds_read_b64 v[42:43], v74 offset:32
	ds_read_b64 v[38:39], v74 offset:64
	ds_read_b64 v[34:35], v74 offset:96
	ds_read_b64 v[30:31], v74 offset:128
	ds_read_b64 v[26:27], v74 offset:160
	ds_read_b64 v[24:25], v74 offset:192
	ds_read_b64 v[20:21], v74 offset:224
	s_waitcnt vmcnt(31)
	ds_write_b32 v73, v45
	s_waitcnt vmcnt(30)
	ds_write_b32 v73, v48 offset:264
	s_waitcnt vmcnt(29)
	ds_write_b32 v73, v49 offset:528
	s_waitcnt vmcnt(28)
	ds_write_b32 v73, v50 offset:792
	s_waitcnt vmcnt(27)
	ds_write_b32 v73, v51 offset:1056
	s_waitcnt vmcnt(26)
	ds_write_b32 v73, v52 offset:1320
	s_waitcnt vmcnt(25)
	ds_write_b32 v73, v53 offset:1584
	s_waitcnt vmcnt(24)
	ds_write_b32 v73, v54 offset:1848
	s_waitcnt vmcnt(23)
	ds_write_b32 v73, v55 offset:2112
	s_waitcnt vmcnt(22)
	ds_write_b32 v73, v56 offset:2376
	s_waitcnt vmcnt(21)
	ds_write_b32 v73, v57 offset:2640
	s_waitcnt vmcnt(20)
	ds_write_b32 v73, v58 offset:2904
	s_waitcnt vmcnt(19)
	ds_write_b32 v73, v59 offset:3168
	s_waitcnt vmcnt(18)
	ds_write_b32 v73, v60 offset:3432
	s_waitcnt vmcnt(17)
	ds_write_b32 v73, v61 offset:3696
	s_waitcnt vmcnt(16)
	ds_write_b32 v73, v62 offset:3960
	ds_read_b64 v[56:57], v74
	ds_read_b64 v[52:53], v74 offset:32
	ds_read_b64 v[50:51], v74 offset:64
	ds_read_b64 v[44:45], v74 offset:96
	;; [unrolled: 40-line block ×3, first 2 shown]
	ds_read_b64 v[60:61], v74 offset:128
	ds_read_b64 v[58:59], v74 offset:160
	;; [unrolled: 1-line block ×4, first 2 shown]
	v_mov_b32_e32 v0, 0
	s_cbranch_vccnz .LBB78_9
; %bb.7:                                ;   in Loop: Header=BB78_6 Depth=1
	s_load_dword vcc_lo, s[36:37], 0x0
	v_mov_b32_e32 v0, 0
	s_waitcnt lgkmcnt(0)
	s_mul_hi_u32 vcc_hi, vcc_lo, s16
	s_add_i32 vcc_hi, vcc_lo, vcc_hi
	s_lshr_b32 s46, vcc_hi, s17
	s_cmp_ge_i32 s46, s13
	s_cbranch_scc1 .LBB78_9
; %bb.8:                                ;   in Loop: Header=BB78_6 Depth=1
	s_mul_i32 vcc_hi, s46, s18
	s_sub_i32 s47, vcc_lo, vcc_hi
	s_mul_i32 s47, s47, s9
	s_mul_i32 s46, s46, s20
	s_add_i32 s46, s46, s47
	v_add_u32_e32 v76, s46, v72
	v_ashrrev_i32_e32 v77, 31, v76
	v_lshl_add_u64 v[76:77], v[76:77], 2, s[6:7]
	global_load_dword v0, v[76:77], off
.LBB78_9:                               ;   in Loop: Header=BB78_6 Depth=1
	v_readlane_b32 s46, v90, 13
	v_readlane_b32 s47, v90, 14
	v_mov_b32_e32 v75, 0
	s_andn2_b64 vcc, exec, s[46:47]
	v_mov_b32_e32 v76, 0
	s_cbranch_vccnz .LBB78_12
; %bb.10:                               ;   in Loop: Header=BB78_6 Depth=1
	s_load_dword vcc_lo, s[36:37], 0x4
	v_mov_b32_e32 v76, 0
	s_waitcnt lgkmcnt(0)
	s_mul_hi_u32 s46, vcc_lo, s16
	s_add_i32 s46, vcc_lo, s46
	s_lshr_b32 vcc_hi, s46, s17
	s_cmp_ge_i32 vcc_hi, s13
	s_cbranch_scc1 .LBB78_12
; %bb.11:                               ;   in Loop: Header=BB78_6 Depth=1
	s_mul_i32 s46, vcc_hi, s18
	s_sub_i32 s46, vcc_lo, s46
	s_mul_i32 s46, s46, s9
	s_mul_i32 s47, vcc_hi, s20
	s_add_i32 s47, s47, s46
	v_add_u32_e32 v76, s47, v72
	v_ashrrev_i32_e32 v77, 31, v76
	v_lshl_add_u64 v[76:77], v[76:77], 2, s[6:7]
	global_load_dword v76, v[76:77], off
.LBB78_12:                              ;   in Loop: Header=BB78_6 Depth=1
	v_readlane_b32 s46, v90, 15
	v_readlane_b32 s47, v90, 16
	s_andn2_b64 vcc, exec, s[46:47]
	s_cbranch_vccnz .LBB78_15
; %bb.13:                               ;   in Loop: Header=BB78_6 Depth=1
	s_load_dword vcc_lo, s[36:37], 0x8
	v_mov_b32_e32 v75, 0
	s_waitcnt lgkmcnt(0)
	s_mul_hi_u32 s46, vcc_lo, s16
	s_add_i32 s46, vcc_lo, s46
	s_lshr_b32 vcc_hi, s46, s17
	s_cmp_ge_i32 vcc_hi, s13
	s_cbranch_scc1 .LBB78_15
; %bb.14:                               ;   in Loop: Header=BB78_6 Depth=1
	s_mul_i32 s46, vcc_hi, s18
	s_sub_i32 s46, vcc_lo, s46
	s_mul_i32 s46, s46, s9
	s_mul_i32 s47, vcc_hi, s20
	s_add_i32 s47, s47, s46
	v_add_u32_e32 v78, s47, v72
	v_ashrrev_i32_e32 v79, 31, v78
	v_lshl_add_u64 v[78:79], v[78:79], 2, s[6:7]
	global_load_dword v75, v[78:79], off
.LBB78_15:                              ;   in Loop: Header=BB78_6 Depth=1
	v_readlane_b32 s46, v90, 17
	v_readlane_b32 s47, v90, 18
	v_mov_b32_e32 v77, 0
	s_andn2_b64 vcc, exec, s[46:47]
	v_mov_b32_e32 v78, 0
	s_cbranch_vccnz .LBB78_18
; %bb.16:                               ;   in Loop: Header=BB78_6 Depth=1
	s_load_dword vcc_lo, s[36:37], 0xc
	v_mov_b32_e32 v78, 0
	s_waitcnt lgkmcnt(0)
	s_mul_hi_u32 s46, vcc_lo, s16
	s_add_i32 s46, vcc_lo, s46
	s_lshr_b32 vcc_hi, s46, s17
	s_cmp_ge_i32 vcc_hi, s13
	s_cbranch_scc1 .LBB78_18
; %bb.17:                               ;   in Loop: Header=BB78_6 Depth=1
	s_mul_i32 s46, vcc_hi, s18
	s_sub_i32 s46, vcc_lo, s46
	s_mul_i32 s46, s46, s9
	s_mul_i32 s47, vcc_hi, s20
	s_add_i32 s47, s47, s46
	v_add_u32_e32 v78, s47, v72
	v_ashrrev_i32_e32 v79, 31, v78
	v_lshl_add_u64 v[78:79], v[78:79], 2, s[6:7]
	global_load_dword v78, v[78:79], off
.LBB78_18:                              ;   in Loop: Header=BB78_6 Depth=1
	v_readlane_b32 s46, v90, 19
	v_readlane_b32 s47, v90, 20
	s_andn2_b64 vcc, exec, s[46:47]
	s_cbranch_vccnz .LBB78_21
; %bb.19:                               ;   in Loop: Header=BB78_6 Depth=1
	s_load_dword vcc_lo, s[36:37], 0x10
	v_mov_b32_e32 v77, 0
	s_waitcnt lgkmcnt(0)
	s_mul_hi_u32 s46, vcc_lo, s16
	s_add_i32 s46, vcc_lo, s46
	s_lshr_b32 vcc_hi, s46, s17
	s_cmp_ge_i32 vcc_hi, s13
	s_cbranch_scc1 .LBB78_21
; %bb.20:                               ;   in Loop: Header=BB78_6 Depth=1
	s_mul_i32 s46, vcc_hi, s18
	s_sub_i32 s46, vcc_lo, s46
	s_mul_i32 s46, s46, s9
	s_mul_i32 s47, vcc_hi, s20
	s_add_i32 s47, s47, s46
	v_add_u32_e32 v80, s47, v72
	v_ashrrev_i32_e32 v81, 31, v80
	v_lshl_add_u64 v[80:81], v[80:81], 2, s[6:7]
	global_load_dword v77, v[80:81], off
.LBB78_21:                              ;   in Loop: Header=BB78_6 Depth=1
	v_readlane_b32 s46, v90, 21
	v_readlane_b32 s47, v90, 22
	v_mov_b32_e32 v79, 0
	s_andn2_b64 vcc, exec, s[46:47]
	v_mov_b32_e32 v80, 0
	s_cbranch_vccnz .LBB78_24
; %bb.22:                               ;   in Loop: Header=BB78_6 Depth=1
	s_load_dword vcc_lo, s[36:37], 0x14
	v_mov_b32_e32 v80, 0
	s_waitcnt lgkmcnt(0)
	s_mul_hi_u32 s46, vcc_lo, s16
	s_add_i32 s46, vcc_lo, s46
	s_lshr_b32 vcc_hi, s46, s17
	s_cmp_ge_i32 vcc_hi, s13
	s_cbranch_scc1 .LBB78_24
; %bb.23:                               ;   in Loop: Header=BB78_6 Depth=1
	s_mul_i32 s46, vcc_hi, s18
	s_sub_i32 s46, vcc_lo, s46
	s_mul_i32 s46, s46, s9
	s_mul_i32 s47, vcc_hi, s20
	s_add_i32 s47, s47, s46
	v_add_u32_e32 v80, s47, v72
	v_ashrrev_i32_e32 v81, 31, v80
	v_lshl_add_u64 v[80:81], v[80:81], 2, s[6:7]
	global_load_dword v80, v[80:81], off
.LBB78_24:                              ;   in Loop: Header=BB78_6 Depth=1
	s_andn2_b64 vcc, exec, s[48:49]
	s_cbranch_vccnz .LBB78_27
; %bb.25:                               ;   in Loop: Header=BB78_6 Depth=1
	s_load_dword vcc_lo, s[36:37], 0x18
	v_mov_b32_e32 v79, 0
	s_waitcnt lgkmcnt(0)
	s_mul_hi_u32 s46, vcc_lo, s16
	s_add_i32 s46, vcc_lo, s46
	s_lshr_b32 vcc_hi, s46, s17
	s_cmp_ge_i32 vcc_hi, s13
	s_cbranch_scc1 .LBB78_27
; %bb.26:                               ;   in Loop: Header=BB78_6 Depth=1
	s_mul_i32 s46, vcc_hi, s18
	s_sub_i32 s46, vcc_lo, s46
	s_mul_i32 s46, s46, s9
	s_mul_i32 s47, vcc_hi, s20
	s_add_i32 s47, s47, s46
	v_add_u32_e32 v82, s47, v72
	v_ashrrev_i32_e32 v83, 31, v82
	v_lshl_add_u64 v[82:83], v[82:83], 2, s[6:7]
	global_load_dword v79, v[82:83], off
.LBB78_27:                              ;   in Loop: Header=BB78_6 Depth=1
	v_mov_b32_e32 v81, 0
	s_andn2_b64 vcc, exec, s[50:51]
	v_mov_b32_e32 v82, 0
	s_cbranch_vccnz .LBB78_30
; %bb.28:                               ;   in Loop: Header=BB78_6 Depth=1
	s_load_dword vcc_lo, s[36:37], 0x1c
	v_mov_b32_e32 v82, 0
	s_waitcnt lgkmcnt(0)
	s_mul_hi_u32 s46, vcc_lo, s16
	s_add_i32 s46, vcc_lo, s46
	s_lshr_b32 vcc_hi, s46, s17
	s_cmp_ge_i32 vcc_hi, s13
	s_cbranch_scc1 .LBB78_30
; %bb.29:                               ;   in Loop: Header=BB78_6 Depth=1
	s_mul_i32 s46, vcc_hi, s18
	s_sub_i32 s46, vcc_lo, s46
	s_mul_i32 s46, s46, s9
	s_mul_i32 s47, vcc_hi, s20
	s_add_i32 s47, s47, s46
	v_add_u32_e32 v82, s47, v72
	v_ashrrev_i32_e32 v83, 31, v82
	v_lshl_add_u64 v[82:83], v[82:83], 2, s[6:7]
	global_load_dword v82, v[82:83], off
.LBB78_30:                              ;   in Loop: Header=BB78_6 Depth=1
	s_andn2_b64 vcc, exec, s[52:53]
	s_cbranch_vccnz .LBB78_33
; %bb.31:                               ;   in Loop: Header=BB78_6 Depth=1
	s_load_dword vcc_lo, s[36:37], 0x20
	v_mov_b32_e32 v81, 0
	s_waitcnt lgkmcnt(0)
	s_mul_hi_u32 s46, vcc_lo, s16
	s_add_i32 s46, vcc_lo, s46
	s_lshr_b32 vcc_hi, s46, s17
	s_cmp_ge_i32 vcc_hi, s13
	s_cbranch_scc1 .LBB78_33
; %bb.32:                               ;   in Loop: Header=BB78_6 Depth=1
	s_mul_i32 s46, vcc_hi, s18
	s_sub_i32 s46, vcc_lo, s46
	s_mul_i32 s46, s46, s9
	s_mul_i32 s47, vcc_hi, s20
	s_add_i32 s47, s47, s46
	v_add_u32_e32 v84, s47, v72
	v_ashrrev_i32_e32 v85, 31, v84
	v_lshl_add_u64 v[84:85], v[84:85], 2, s[6:7]
	global_load_dword v81, v[84:85], off
.LBB78_33:                              ;   in Loop: Header=BB78_6 Depth=1
	;; [unrolled: 46-line block ×3, first 2 shown]
	v_mov_b32_e32 v85, 0
	s_andn2_b64 vcc, exec, s[58:59]
	v_mov_b32_e32 v86, 0
	s_cbranch_vccnz .LBB78_42
; %bb.40:                               ;   in Loop: Header=BB78_6 Depth=1
	s_load_dword vcc_lo, s[36:37], 0x2c
	v_mov_b32_e32 v86, 0
	s_waitcnt lgkmcnt(0)
	s_mul_hi_u32 s46, vcc_lo, s16
	s_add_i32 s46, vcc_lo, s46
	s_lshr_b32 vcc_hi, s46, s17
	s_cmp_ge_i32 vcc_hi, s13
	s_cbranch_scc1 .LBB78_42
; %bb.41:                               ;   in Loop: Header=BB78_6 Depth=1
	s_mul_i32 s46, vcc_hi, s18
	s_sub_i32 s46, vcc_lo, s46
	s_mul_i32 s46, s46, s9
	s_mul_i32 s47, vcc_hi, s20
	s_add_i32 s47, s47, s46
	v_add_u32_e32 v86, s47, v72
	v_ashrrev_i32_e32 v87, 31, v86
	v_lshl_add_u64 v[86:87], v[86:87], 2, s[6:7]
	global_load_dword v86, v[86:87], off
.LBB78_42:                              ;   in Loop: Header=BB78_6 Depth=1
	s_andn2_b64 vcc, exec, s[60:61]
	s_cbranch_vccnz .LBB78_5
; %bb.43:                               ;   in Loop: Header=BB78_6 Depth=1
	s_load_dword vcc_lo, s[36:37], 0x30
	v_mov_b32_e32 v85, 0
	s_waitcnt lgkmcnt(0)
	s_mul_hi_u32 s46, vcc_lo, s16
	s_add_i32 s46, vcc_lo, s46
	s_lshr_b32 vcc_hi, s46, s17
	s_cmp_ge_i32 vcc_hi, s13
	s_cbranch_scc1 .LBB78_5
; %bb.44:                               ;   in Loop: Header=BB78_6 Depth=1
	s_mul_i32 s46, vcc_hi, s18
	s_sub_i32 s46, vcc_lo, s46
	s_mul_i32 s46, s46, s9
	s_mul_i32 s47, vcc_hi, s20
	s_add_i32 s47, s47, s46
	v_add_u32_e32 v88, s47, v72
	v_ashrrev_i32_e32 v89, 31, v88
	v_lshl_add_u64 v[88:89], v[88:89], 2, s[6:7]
	global_load_dword v85, v[88:89], off
	s_branch .LBB78_5
.LBB78_45:
	s_or_b64 exec, exec, s[4:5]
	v_readlane_b32 s24, v90, 6
	v_readlane_b32 s30, v90, 9
	;; [unrolled: 1-line block ×12, first 2 shown]
.LBB78_46:
	s_or_b64 exec, exec, s[36:37]
	v_lshl_add_u32 v0, v70, 2, 0
	v_mul_u32_u24_e32 v1, 0x208, v71
	v_and_b32_e32 v4, 0x3f0, v3
	v_add3_u32 v0, v0, v1, v4
	v_accvgpr_read_b32 v1, a13
	v_accvgpr_read_b32 v4, a12
	s_barrier
	ds_write2_b32 v0, v4, v1 offset1:1
	v_accvgpr_read_b32 v1, a15
	v_accvgpr_read_b32 v4, a14
	ds_write2_b32 v0, v4, v1 offset0:2 offset1:3
	v_accvgpr_read_b32 v1, a9
	v_accvgpr_read_b32 v4, a8
	ds_write2_b32 v0, v4, v1 offset0:16 offset1:17
	;; [unrolled: 3-line block ×3, first 2 shown]
	v_accvgpr_read_b32 v1, a5
	v_accvgpr_read_b32 v4, a4
	s_lshl_b64 s[0:1], s[30:31], 2
	ds_write2_b32 v0, v4, v1 offset0:32 offset1:33
	v_accvgpr_read_b32 v1, a7
	v_accvgpr_read_b32 v4, a6
	s_add_u32 s4, s22, s0
	ds_write2_b32 v0, v4, v1 offset0:34 offset1:35
	v_accvgpr_read_b32 v1, a1
	v_accvgpr_read_b32 v4, a0
	s_addc_u32 s5, s23, s1
	ds_write2_b32 v0, v4, v1 offset0:48 offset1:49
	v_accvgpr_read_b32 v1, a3
	v_accvgpr_read_b32 v4, a2
	ds_write2_b32 v0, v4, v1 offset0:50 offset1:51
	s_cmp_gt_i32 s14, 0
	v_add_u32_e32 v0, s28, v2
	s_cselect_b64 s[6:7], -1, 0
	v_cmp_gt_i32_e64 s[0:1], s26, v0
	v_cmp_gt_u32_e32 vcc, 13, v2
	s_and_b64 s[0:1], s[6:7], s[0:1]
	v_lshl_add_u32 v5, v3, 2, 0
	v_add_u32_e32 v4, s11, v3
	v_mul_u32_u24_e32 v6, 0x208, v2
	s_and_b64 s[2:3], vcc, s[0:1]
	s_waitcnt lgkmcnt(0)
	s_barrier
	s_and_saveexec_b64 s[0:1], s[2:3]
	v_readlane_b32 s8, v90, 0
	v_readlane_b32 s9, v90, 1
	s_cbranch_execz .LBB78_49
; %bb.47:
	v_ashrrev_i32_e32 v1, 31, v0
	v_lshl_add_u64 v[8:9], v[0:1], 2, s[4:5]
	global_load_dword v1, v[8:9], off
	s_waitcnt vmcnt(0)
	v_mul_hi_u32 v3, v1, s19
	v_add_u32_e32 v3, v1, v3
	v_lshrrev_b32_e32 v3, s24, v3
	v_cmp_gt_i32_e32 vcc, s13, v3
	s_and_b64 exec, exec, vcc
	s_cbranch_execz .LBB78_49
; %bb.48:
	v_add_u32_e32 v7, v5, v6
	ds_read2st64_b32 v[8:9], v7 offset1:1
	v_mul_lo_u32 v7, v3, s25
	v_sub_u32_e32 v1, v1, v7
	v_mul_lo_u32 v3, v3, s21
	v_mul_lo_u32 v1, v1, s10
	s_waitcnt lgkmcnt(0)
	v_add_f32_e32 v7, 0, v8
	v_add_f32_e32 v7, v7, v9
	v_add3_u32 v8, v4, v3, v1
	v_mov_b32_e32 v9, 0
	v_lshl_add_u64 v[8:9], v[8:9], 2, s[8:9]
	global_store_dword v[8:9], v7, off
.LBB78_49:
	s_or_b64 exec, exec, s[0:1]
	v_add_u32_e32 v1, 2, v0
	v_cmp_gt_i32_e64 s[0:1], s26, v1
	v_cmp_gt_u32_e32 vcc, 11, v2
	s_and_b64 s[0:1], s[6:7], s[0:1]
	s_and_b64 s[2:3], vcc, s[0:1]
	s_and_saveexec_b64 s[0:1], s[2:3]
	s_cbranch_execz .LBB78_52
; %bb.50:
	s_ashr_i32 s29, s28, 31
	v_mov_b32_e32 v3, 0
	v_lshl_add_u64 v[8:9], v[2:3], 0, s[28:29]
	v_lshl_add_u64 v[8:9], v[8:9], 2, s[4:5]
	global_load_dword v1, v[8:9], off offset:8
	s_waitcnt vmcnt(0)
	v_mul_hi_u32 v7, v1, s19
	v_add_u32_e32 v7, v1, v7
	v_lshrrev_b32_e32 v7, s24, v7
	v_cmp_gt_i32_e32 vcc, s13, v7
	s_and_b64 exec, exec, vcc
	s_cbranch_execz .LBB78_52
; %bb.51:
	v_add_u32_e32 v8, v6, v5
	v_add_u32_e32 v8, 16, v8
	ds_read2st64_b32 v[8:9], v8 offset0:4 offset1:5
	v_mul_lo_u32 v10, v7, s25
	v_sub_u32_e32 v1, v1, v10
	v_mul_lo_u32 v7, v7, s21
	v_mul_lo_u32 v1, v1, s10
	s_waitcnt lgkmcnt(0)
	v_add_f32_e32 v8, 0, v8
	v_add_f32_e32 v10, v8, v9
	v_add3_u32 v8, v4, v7, v1
	v_mov_b32_e32 v9, v3
	v_lshl_add_u64 v[8:9], v[8:9], 2, s[8:9]
	global_store_dword v[8:9], v10, off
.LBB78_52:
	s_or_b64 exec, exec, s[0:1]
	v_add_u32_e32 v1, 4, v0
	v_cmp_gt_i32_e64 s[0:1], s26, v1
	v_cmp_gt_u32_e32 vcc, 9, v2
	s_and_b64 s[0:1], s[6:7], s[0:1]
	s_and_b64 s[2:3], vcc, s[0:1]
	s_and_saveexec_b64 s[0:1], s[2:3]
	s_cbranch_execz .LBB78_55
; %bb.53:
	s_ashr_i32 s29, s28, 31
	v_mov_b32_e32 v3, 0
	v_lshl_add_u64 v[8:9], v[2:3], 0, s[28:29]
	v_lshl_add_u64 v[8:9], v[8:9], 2, s[4:5]
	global_load_dword v1, v[8:9], off offset:16
	s_waitcnt vmcnt(0)
	v_mul_hi_u32 v7, v1, s19
	v_add_u32_e32 v7, v1, v7
	v_lshrrev_b32_e32 v7, s24, v7
	v_cmp_gt_i32_e32 vcc, s13, v7
	s_and_b64 exec, exec, vcc
	s_cbranch_execz .LBB78_55
; %bb.54:
	v_add_u32_e32 v8, v5, v6
	v_add_u32_e32 v8, 32, v8
	ds_read2st64_b32 v[8:9], v8 offset0:8 offset1:9
	v_mul_lo_u32 v10, v7, s25
	v_sub_u32_e32 v1, v1, v10
	v_mul_lo_u32 v7, v7, s21
	v_mul_lo_u32 v1, v1, s10
	s_waitcnt lgkmcnt(0)
	v_add_f32_e32 v8, 0, v8
	v_add_f32_e32 v10, v8, v9
	v_add3_u32 v8, v4, v7, v1
	v_mov_b32_e32 v9, v3
	v_lshl_add_u64 v[8:9], v[8:9], 2, s[8:9]
	global_store_dword v[8:9], v10, off
.LBB78_55:
	;; [unrolled: 37-line block ×4, first 2 shown]
	s_or_b64 exec, exec, s[0:1]
	v_add_u32_e32 v0, 10, v0
	v_cmp_gt_i32_e64 s[0:1], s26, v0
	v_cmp_gt_u32_e32 vcc, 3, v2
	s_and_b64 s[0:1], s[6:7], s[0:1]
	s_and_b64 s[2:3], vcc, s[0:1]
	s_and_saveexec_b64 s[0:1], s[2:3]
	s_cbranch_execz .LBB78_64
; %bb.62:
	s_ashr_i32 s29, s28, 31
	v_mov_b32_e32 v3, 0
	v_lshl_add_u64 v[0:1], v[2:3], 0, s[28:29]
	v_lshl_add_u64 v[0:1], v[0:1], 2, s[4:5]
	global_load_dword v0, v[0:1], off offset:40
	s_waitcnt vmcnt(0)
	v_mul_hi_u32 v1, v0, s19
	v_add_u32_e32 v1, v0, v1
	v_lshrrev_b32_e32 v1, s24, v1
	v_cmp_gt_i32_e32 vcc, s13, v1
	s_and_b64 exec, exec, vcc
	s_cbranch_execz .LBB78_64
; %bb.63:
	v_add_u32_e32 v6, v5, v6
	v_add_u32_e32 v6, 0x50, v6
	ds_read2st64_b32 v[6:7], v6 offset0:20 offset1:21
	v_mul_lo_u32 v8, v1, s25
	v_sub_u32_e32 v0, v0, v8
	v_mul_lo_u32 v1, v1, s21
	v_mul_lo_u32 v0, v0, s10
	s_waitcnt lgkmcnt(0)
	v_add_f32_e32 v6, 0, v6
	v_add3_u32 v0, v4, v1, v0
	v_mov_b32_e32 v1, v3
	v_add_f32_e32 v6, v6, v7
	v_lshl_add_u64 v[0:1], v[0:1], 2, s[8:9]
	global_store_dword v[0:1], v6, off
.LBB78_64:
	s_or_b64 exec, exec, s[0:1]
	v_cmp_eq_u32_e32 vcc, 0, v2
	s_and_saveexec_b64 s[0:1], vcc
	s_cbranch_execz .LBB78_68
; %bb.65:
	s_add_i32 s0, s28, 12
	s_cmp_ge_i32 s0, s26
	s_cselect_b64 s[0:1], -1, 0
	s_xor_b64 s[2:3], s[6:7], -1
	s_or_b64 s[0:1], s[2:3], s[0:1]
	s_and_b64 vcc, exec, s[0:1]
	s_cbranch_vccnz .LBB78_68
; %bb.66:
	s_ashr_i32 s29, s28, 31
	s_lshl_b64 s[0:1], s[28:29], 2
	s_add_u32 s0, s4, s0
	s_addc_u32 s1, s5, s1
	s_load_dword s0, s[0:1], 0x30
	s_waitcnt lgkmcnt(0)
	s_mul_hi_u32 s1, s0, s19
	s_add_i32 s1, s0, s1
	s_lshr_b32 s1, s1, s24
	s_cmp_ge_i32 s1, s13
	s_cbranch_scc1 .LBB78_68
; %bb.67:
	v_add_u32_e32 v0, 0x60, v5
	ds_read2st64_b32 v[0:1], v0 offset0:24 offset1:25
	s_mul_i32 s2, s1, s25
	s_sub_i32 s0, s0, s2
	s_mul_i32 s1, s1, s21
	s_mul_i32 s0, s0, s10
	s_waitcnt lgkmcnt(0)
	v_add_f32_e32 v0, 0, v0
	s_add_i32 s0, s0, s1
	v_add_f32_e32 v2, v0, v1
	v_add_u32_e32 v0, s0, v4
	v_mov_b32_e32 v1, 0
	v_lshl_add_u64 v[0:1], v[0:1], 2, s[8:9]
	global_store_dword v[0:1], v2, off
.LBB78_68:
	s_endpgm
	.section	.rodata,"a",@progbits
	.p2align	6, 0x0
	.amdhsa_kernel _ZL13mul_mat_f_idsIfLi64ELi13ELi2EEvPKT_PKfPKiS6_S6_Pfiiiiiiiiiiiiii15HIP_vector_typeIjLj3EES9_
		.amdhsa_group_segment_fixed_size 0
		.amdhsa_private_segment_fixed_size 0
		.amdhsa_kernarg_size 128
		.amdhsa_user_sgpr_count 2
		.amdhsa_user_sgpr_dispatch_ptr 0
		.amdhsa_user_sgpr_queue_ptr 0
		.amdhsa_user_sgpr_kernarg_segment_ptr 1
		.amdhsa_user_sgpr_dispatch_id 0
		.amdhsa_user_sgpr_kernarg_preload_length 0
		.amdhsa_user_sgpr_kernarg_preload_offset 0
		.amdhsa_user_sgpr_private_segment_size 0
		.amdhsa_uses_dynamic_stack 0
		.amdhsa_enable_private_segment 0
		.amdhsa_system_sgpr_workgroup_id_x 1
		.amdhsa_system_sgpr_workgroup_id_y 1
		.amdhsa_system_sgpr_workgroup_id_z 1
		.amdhsa_system_sgpr_workgroup_info 0
		.amdhsa_system_vgpr_workitem_id 1
		.amdhsa_next_free_vgpr 108
		.amdhsa_next_free_sgpr 100
		.amdhsa_accum_offset 92
		.amdhsa_reserve_vcc 1
		.amdhsa_float_round_mode_32 0
		.amdhsa_float_round_mode_16_64 0
		.amdhsa_float_denorm_mode_32 3
		.amdhsa_float_denorm_mode_16_64 3
		.amdhsa_dx10_clamp 1
		.amdhsa_ieee_mode 1
		.amdhsa_fp16_overflow 0
		.amdhsa_tg_split 0
		.amdhsa_exception_fp_ieee_invalid_op 0
		.amdhsa_exception_fp_denorm_src 0
		.amdhsa_exception_fp_ieee_div_zero 0
		.amdhsa_exception_fp_ieee_overflow 0
		.amdhsa_exception_fp_ieee_underflow 0
		.amdhsa_exception_fp_ieee_inexact 0
		.amdhsa_exception_int_div_zero 0
	.end_amdhsa_kernel
	.section	.text._ZL13mul_mat_f_idsIfLi64ELi13ELi2EEvPKT_PKfPKiS6_S6_Pfiiiiiiiiiiiiii15HIP_vector_typeIjLj3EES9_,"axG",@progbits,_ZL13mul_mat_f_idsIfLi64ELi13ELi2EEvPKT_PKfPKiS6_S6_Pfiiiiiiiiiiiiii15HIP_vector_typeIjLj3EES9_,comdat
.Lfunc_end78:
	.size	_ZL13mul_mat_f_idsIfLi64ELi13ELi2EEvPKT_PKfPKiS6_S6_Pfiiiiiiiiiiiiii15HIP_vector_typeIjLj3EES9_, .Lfunc_end78-_ZL13mul_mat_f_idsIfLi64ELi13ELi2EEvPKT_PKfPKiS6_S6_Pfiiiiiiiiiiiiii15HIP_vector_typeIjLj3EES9_
                                        ; -- End function
	.set _ZL13mul_mat_f_idsIfLi64ELi13ELi2EEvPKT_PKfPKiS6_S6_Pfiiiiiiiiiiiiii15HIP_vector_typeIjLj3EES9_.num_vgpr, 91
	.set _ZL13mul_mat_f_idsIfLi64ELi13ELi2EEvPKT_PKfPKiS6_S6_Pfiiiiiiiiiiiiii15HIP_vector_typeIjLj3EES9_.num_agpr, 16
	.set _ZL13mul_mat_f_idsIfLi64ELi13ELi2EEvPKT_PKfPKiS6_S6_Pfiiiiiiiiiiiiii15HIP_vector_typeIjLj3EES9_.numbered_sgpr, 100
	.set _ZL13mul_mat_f_idsIfLi64ELi13ELi2EEvPKT_PKfPKiS6_S6_Pfiiiiiiiiiiiiii15HIP_vector_typeIjLj3EES9_.num_named_barrier, 0
	.set _ZL13mul_mat_f_idsIfLi64ELi13ELi2EEvPKT_PKfPKiS6_S6_Pfiiiiiiiiiiiiii15HIP_vector_typeIjLj3EES9_.private_seg_size, 0
	.set _ZL13mul_mat_f_idsIfLi64ELi13ELi2EEvPKT_PKfPKiS6_S6_Pfiiiiiiiiiiiiii15HIP_vector_typeIjLj3EES9_.uses_vcc, 1
	.set _ZL13mul_mat_f_idsIfLi64ELi13ELi2EEvPKT_PKfPKiS6_S6_Pfiiiiiiiiiiiiii15HIP_vector_typeIjLj3EES9_.uses_flat_scratch, 0
	.set _ZL13mul_mat_f_idsIfLi64ELi13ELi2EEvPKT_PKfPKiS6_S6_Pfiiiiiiiiiiiiii15HIP_vector_typeIjLj3EES9_.has_dyn_sized_stack, 0
	.set _ZL13mul_mat_f_idsIfLi64ELi13ELi2EEvPKT_PKfPKiS6_S6_Pfiiiiiiiiiiiiii15HIP_vector_typeIjLj3EES9_.has_recursion, 0
	.set _ZL13mul_mat_f_idsIfLi64ELi13ELi2EEvPKT_PKfPKiS6_S6_Pfiiiiiiiiiiiiii15HIP_vector_typeIjLj3EES9_.has_indirect_call, 0
	.section	.AMDGPU.csdata,"",@progbits
; Kernel info:
; codeLenInByte = 7476
; TotalNumSgprs: 106
; NumVgprs: 91
; NumAgprs: 16
; TotalNumVgprs: 108
; ScratchSize: 0
; MemoryBound: 0
; FloatMode: 240
; IeeeMode: 1
; LDSByteSize: 0 bytes/workgroup (compile time only)
; SGPRBlocks: 13
; VGPRBlocks: 13
; NumSGPRsForWavesPerEU: 106
; NumVGPRsForWavesPerEU: 108
; AccumOffset: 92
; Occupancy: 4
; WaveLimiterHint : 1
; COMPUTE_PGM_RSRC2:SCRATCH_EN: 0
; COMPUTE_PGM_RSRC2:USER_SGPR: 2
; COMPUTE_PGM_RSRC2:TRAP_HANDLER: 0
; COMPUTE_PGM_RSRC2:TGID_X_EN: 1
; COMPUTE_PGM_RSRC2:TGID_Y_EN: 1
; COMPUTE_PGM_RSRC2:TGID_Z_EN: 1
; COMPUTE_PGM_RSRC2:TIDIG_COMP_CNT: 1
; COMPUTE_PGM_RSRC3_GFX90A:ACCUM_OFFSET: 22
; COMPUTE_PGM_RSRC3_GFX90A:TG_SPLIT: 0
	.section	.text._ZL9mul_mat_fIfLi64ELi13ELi2ELb1EEvPKT_PKfPKiPfiiiiiiiiiiiiiiii,"axG",@progbits,_ZL9mul_mat_fIfLi64ELi13ELi2ELb1EEvPKT_PKfPKiPfiiiiiiiiiiiiiiii,comdat
	.globl	_ZL9mul_mat_fIfLi64ELi13ELi2ELb1EEvPKT_PKfPKiPfiiiiiiiiiiiiiiii ; -- Begin function _ZL9mul_mat_fIfLi64ELi13ELi2ELb1EEvPKT_PKfPKiPfiiiiiiiiiiiiiiii
	.p2align	8
	.type	_ZL9mul_mat_fIfLi64ELi13ELi2ELb1EEvPKT_PKfPKiPfiiiiiiiiiiiiiiii,@function
_ZL9mul_mat_fIfLi64ELi13ELi2ELb1EEvPKT_PKfPKiPfiiiiiiiiiiiiiiii: ; @_ZL9mul_mat_fIfLi64ELi13ELi2ELb1EEvPKT_PKfPKiPfiiiiiiiiiiiiiiii
; %bb.0:
	s_load_dwordx8 s[48:55], s[0:1], 0x20
	s_mov_b32 s28, s4
	s_load_dwordx2 s[8:9], s[0:1], 0x10
	v_bfe_u32 v74, v0, 10, 10
	s_waitcnt lgkmcnt(0)
	s_add_i32 s4, s49, 12
	s_mul_hi_i32 s4, s4, 0x4ec4ec4f
	s_lshr_b32 s5, s4, 31
	s_ashr_i32 s4, s4, 2
	s_add_i32 s4, s4, s5
	v_cvt_f32_u32_e32 v1, s4
	s_load_dword s5, s[0:1], 0x64
	s_add_u32 s18, s0, 0x60
	s_addc_u32 s19, s1, 0
	v_rcp_iflag_f32_e32 v1, v1
	s_sub_i32 s6, 0, s4
	v_mul_f32_e32 v1, 0x4f7ffffe, v1
	v_cvt_u32_f32_e32 v1, v1
	v_mul_lo_u32 v2, s6, v1
	v_mul_hi_u32 v2, v1, v2
	v_add_u32_e32 v1, v1, v2
	s_waitcnt lgkmcnt(0)
	v_mul_hi_u32 v1, s5, v1
	v_mul_lo_u32 v2, v1, s4
	v_sub_u32_e32 v2, s5, v2
	v_add_u32_e32 v3, 1, v1
	v_subrev_u32_e32 v4, s4, v2
	v_cmp_le_u32_e32 vcc, s4, v2
	s_nop 1
	v_cndmask_b32_e32 v1, v1, v3, vcc
	v_cndmask_b32_e32 v2, v2, v4, vcc
	v_add_u32_e32 v3, 1, v1
	v_cmp_le_u32_e32 vcc, s4, v2
	s_nop 1
	v_cndmask_b32_e32 v1, v1, v3, vcc
	v_cvt_f32_u32_e32 v2, v1
	v_sub_u32_e32 v4, 0, v1
	v_rcp_iflag_f32_e32 v2, v2
	s_nop 0
	v_mul_f32_e32 v2, 0x4f7ffffe, v2
	v_cvt_u32_f32_e32 v3, v2
	v_and_b32_e32 v2, 0x3ff, v0
	v_cmp_eq_u32_e32 vcc, 0, v2
	v_mul_lo_u32 v4, v4, v3
	v_mul_hi_u32 v4, v3, v4
	v_add_u32_e32 v3, v3, v4
	v_mul_hi_u32 v3, s3, v3
	s_and_saveexec_b64 s[6:7], vcc
; %bb.1:
	v_mov_b32_e32 v4, 0x100
	v_lshl_add_u32 v4, v74, 2, v4
	v_mov_b32_e32 v5, -1
	ds_write_b32 v4, v5
; %bb.2:
	s_or_b64 exec, exec, s[6:7]
	v_mul_lo_u32 v4, v3, v1
	v_sub_u32_e32 v4, s3, v4
	v_add_u32_e32 v5, 1, v3
	v_sub_u32_e32 v6, v4, v1
	v_cmp_ge_u32_e64 s[6:7], v4, v1
	v_cmp_gt_i32_e64 s[14:15], s50, v2
	s_nop 0
	v_cndmask_b32_e64 v3, v3, v5, s[6:7]
	v_cndmask_b32_e64 v4, v4, v6, s[6:7]
	v_add_u32_e32 v5, 1, v3
	v_cmp_ge_u32_e64 s[6:7], v4, v1
	s_nop 1
	v_cndmask_b32_e64 v3, v3, v5, s[6:7]
	v_mul_lo_u32 v1, v3, v1
	v_mul_lo_u32 v3, v3, 13
	v_mul_hi_i32 v5, v3, s55
	v_mul_lo_u32 v4, v3, s55
	v_sub_u32_e32 v10, s3, v1
	v_lshlrev_b64 v[4:5], 2, v[4:5]
	v_add_u32_e32 v1, v74, v3
	v_lshl_add_u64 v[4:5], s[8:9], 0, v[4:5]
	v_cmp_gt_i32_e64 s[30:31], s49, v1
	v_mov_b32_e32 v1, 0
	s_and_saveexec_b64 s[10:11], s[30:31]
	s_cbranch_execz .LBB79_10
; %bb.3:
	v_mov_b32_e32 v1, 0
	s_and_saveexec_b64 s[12:13], s[14:15]
	s_cbranch_execz .LBB79_9
; %bb.4:
	v_mul_lo_u32 v6, v74, s55
	v_ashrrev_i32_e32 v7, 31, v6
	v_mov_b32_e32 v1, 0x100
	v_lshl_add_u64 v[6:7], v[6:7], 2, v[4:5]
	v_lshl_add_u32 v11, v74, 2, v1
	v_mul_lo_u32 v8, v2, s54
	s_lshl_b32 s3, s54, 6
	v_mov_b32_e32 v1, 0
	s_mov_b64 s[16:17], 0
	v_mov_b32_e32 v12, v2
	s_branch .LBB79_6
.LBB79_5:                               ;   in Loop: Header=BB79_6 Depth=1
	s_or_b64 exec, exec, s[20:21]
	v_add_u32_e32 v12, 64, v12
	v_cmp_le_i32_e64 s[8:9], s50, v12
	s_xor_b64 s[4:5], s[6:7], -1
	s_or_b64 s[4:5], s[4:5], s[8:9]
	s_and_b64 s[4:5], exec, s[4:5]
	s_or_b64 s[16:17], s[4:5], s[16:17]
	v_add_u32_e32 v8, s3, v8
	s_andn2_b64 exec, exec, s[16:17]
	s_cbranch_execz .LBB79_8
.LBB79_6:                               ; =>This Inner Loop Header: Depth=1
	v_ashrrev_i32_e32 v9, 31, v8
	v_lshl_add_u64 v[14:15], v[8:9], 2, v[6:7]
	global_load_dword v9, v[14:15], off
	s_waitcnt vmcnt(0)
	v_cmp_ne_u32_e64 s[6:7], v9, v10
	v_cmp_eq_u32_e64 s[8:9], v9, v10
	s_and_saveexec_b64 s[20:21], s[8:9]
	s_cbranch_execz .LBB79_5
; %bb.7:                                ;   in Loop: Header=BB79_6 Depth=1
	v_mov_b32_e32 v1, 1
	ds_write_b32 v11, v12
	s_branch .LBB79_5
.LBB79_8:
	s_or_b64 exec, exec, s[16:17]
.LBB79_9:
	s_or_b64 exec, exec, s[12:13]
.LBB79_10:
	s_or_b64 exec, exec, s[10:11]
	s_and_saveexec_b64 s[6:7], vcc
; %bb.11:
	v_mov_b32_e32 v6, 0x100
	v_lshl_add_u32 v6, v74, 2, v6
	v_mov_b32_e32 v7, -1
	ds_write_b32 v6, v7 offset:8
; %bb.12:
	s_or_b64 exec, exec, s[6:7]
	v_add_u32_e32 v75, 2, v74
	v_add_u32_e32 v6, v75, v3
	v_cmp_gt_i32_e64 s[4:5], s49, v6
	s_mov_b64 s[10:11], exec
                                        ; implicit-def: $vgpr95 : SGPR spill to VGPR lane
	s_nop 0
	v_writelane_b32 v95, s4, 0
	s_nop 1
	v_writelane_b32 v95, s5, 1
	s_and_b64 s[4:5], s[10:11], s[4:5]
	s_mov_b64 exec, s[4:5]
	s_cbranch_execz .LBB79_20
; %bb.13:
	s_and_saveexec_b64 s[12:13], s[14:15]
	s_cbranch_execz .LBB79_19
; %bb.14:
	v_mul_lo_u32 v6, v75, s55
	v_ashrrev_i32_e32 v7, 31, v6
	v_mov_b32_e32 v8, 0x100
	v_lshl_add_u64 v[6:7], v[6:7], 2, v[4:5]
	v_lshl_add_u32 v11, v74, 2, v8
	v_mul_lo_u32 v8, v2, s54
	s_lshl_b32 s3, s54, 6
	s_mov_b64 s[16:17], 0
	v_mov_b32_e32 v12, v2
	s_branch .LBB79_16
.LBB79_15:                              ;   in Loop: Header=BB79_16 Depth=1
	s_or_b64 exec, exec, s[20:21]
	v_add_u32_e32 v12, 64, v12
	v_cmp_le_i32_e64 s[8:9], s50, v12
	s_xor_b64 s[4:5], s[6:7], -1
	s_or_b64 s[4:5], s[4:5], s[8:9]
	s_and_b64 s[4:5], exec, s[4:5]
	s_or_b64 s[16:17], s[4:5], s[16:17]
	v_add_u32_e32 v8, s3, v8
	s_andn2_b64 exec, exec, s[16:17]
	s_cbranch_execz .LBB79_18
.LBB79_16:                              ; =>This Inner Loop Header: Depth=1
	v_ashrrev_i32_e32 v9, 31, v8
	v_lshl_add_u64 v[14:15], v[8:9], 2, v[6:7]
	global_load_dword v9, v[14:15], off
	s_waitcnt vmcnt(0)
	v_cmp_ne_u32_e64 s[6:7], v9, v10
	v_cmp_eq_u32_e64 s[8:9], v9, v10
	s_and_saveexec_b64 s[20:21], s[8:9]
	s_cbranch_execz .LBB79_15
; %bb.17:                               ;   in Loop: Header=BB79_16 Depth=1
	v_mov_b32_e32 v1, 1
	ds_write_b32 v11, v12 offset:8
	s_branch .LBB79_15
.LBB79_18:
	s_or_b64 exec, exec, s[16:17]
.LBB79_19:
	s_or_b64 exec, exec, s[12:13]
.LBB79_20:
	s_or_b64 exec, exec, s[10:11]
	s_load_dwordx4 s[56:59], s[0:1], 0x44
	s_and_saveexec_b64 s[6:7], vcc
; %bb.21:
	v_mov_b32_e32 v6, 0x100
	v_lshl_add_u32 v6, v74, 2, v6
	v_mov_b32_e32 v7, -1
	ds_write_b32 v6, v7 offset:16
; %bb.22:
	s_or_b64 exec, exec, s[6:7]
	v_add_u32_e32 v76, 4, v74
	v_add_u32_e32 v6, v76, v3
	v_cmp_gt_i32_e64 s[4:5], s49, v6
	s_mov_b64 s[10:11], exec
	s_nop 0
	v_writelane_b32 v95, s4, 2
	s_nop 1
	v_writelane_b32 v95, s5, 3
	s_and_b64 s[4:5], s[10:11], s[4:5]
	s_mov_b64 exec, s[4:5]
	s_cbranch_execz .LBB79_30
; %bb.23:
	s_and_saveexec_b64 s[12:13], s[14:15]
	s_cbranch_execz .LBB79_29
; %bb.24:
	v_mul_lo_u32 v6, v76, s55
	v_ashrrev_i32_e32 v7, 31, v6
	v_mov_b32_e32 v8, 0x100
	v_lshl_add_u64 v[6:7], v[6:7], 2, v[4:5]
	v_lshl_add_u32 v11, v74, 2, v8
	v_mul_lo_u32 v8, v2, s54
	s_lshl_b32 s3, s54, 6
	s_mov_b64 s[16:17], 0
	v_mov_b32_e32 v12, v2
	s_branch .LBB79_26
.LBB79_25:                              ;   in Loop: Header=BB79_26 Depth=1
	s_or_b64 exec, exec, s[20:21]
	v_add_u32_e32 v12, 64, v12
	v_cmp_le_i32_e64 s[8:9], s50, v12
	s_xor_b64 s[4:5], s[6:7], -1
	s_or_b64 s[4:5], s[4:5], s[8:9]
	s_and_b64 s[4:5], exec, s[4:5]
	s_or_b64 s[16:17], s[4:5], s[16:17]
	v_add_u32_e32 v8, s3, v8
	s_andn2_b64 exec, exec, s[16:17]
	s_cbranch_execz .LBB79_28
.LBB79_26:                              ; =>This Inner Loop Header: Depth=1
	v_ashrrev_i32_e32 v9, 31, v8
	v_lshl_add_u64 v[14:15], v[8:9], 2, v[6:7]
	global_load_dword v9, v[14:15], off
	s_waitcnt vmcnt(0)
	v_cmp_ne_u32_e64 s[6:7], v9, v10
	v_cmp_eq_u32_e64 s[8:9], v9, v10
	s_and_saveexec_b64 s[20:21], s[8:9]
	s_cbranch_execz .LBB79_25
; %bb.27:                               ;   in Loop: Header=BB79_26 Depth=1
	v_mov_b32_e32 v1, 1
	ds_write_b32 v11, v12 offset:16
	s_branch .LBB79_25
.LBB79_28:
	s_or_b64 exec, exec, s[16:17]
.LBB79_29:
	s_or_b64 exec, exec, s[12:13]
.LBB79_30:
	s_or_b64 exec, exec, s[10:11]
	s_waitcnt lgkmcnt(0)
	s_abs_i32 s3, s59
	s_and_saveexec_b64 s[6:7], vcc
; %bb.31:
	v_mov_b32_e32 v6, 0x100
	v_lshl_add_u32 v6, v74, 2, v6
	v_mov_b32_e32 v7, -1
	ds_write_b32 v6, v7 offset:24
; %bb.32:
	s_or_b64 exec, exec, s[6:7]
	v_cvt_f32_u32_e32 v11, s3
	v_add_u32_e32 v77, 6, v74
	v_add_u32_e32 v6, v77, v3
	v_cmp_gt_i32_e64 s[4:5], s49, v6
	s_mov_b64 s[12:13], exec
	s_nop 0
	v_writelane_b32 v95, s4, 4
	s_nop 1
	v_writelane_b32 v95, s5, 5
	s_and_b64 s[4:5], s[12:13], s[4:5]
	s_mov_b64 exec, s[4:5]
	s_cbranch_execz .LBB79_40
; %bb.33:
	s_and_saveexec_b64 s[16:17], s[14:15]
	s_cbranch_execz .LBB79_39
; %bb.34:
	v_mul_lo_u32 v6, v77, s55
	v_ashrrev_i32_e32 v7, 31, v6
	v_mov_b32_e32 v8, 0x100
	v_lshl_add_u64 v[6:7], v[6:7], 2, v[4:5]
	v_lshl_add_u32 v12, v74, 2, v8
	v_mul_lo_u32 v8, v2, s54
	s_lshl_b32 s4, s54, 6
	s_mov_b64 s[20:21], 0
	v_mov_b32_e32 v13, v2
	s_branch .LBB79_36
.LBB79_35:                              ;   in Loop: Header=BB79_36 Depth=1
	s_or_b64 exec, exec, s[22:23]
	v_add_u32_e32 v13, 64, v13
	v_cmp_le_i32_e64 s[10:11], s50, v13
	s_xor_b64 s[6:7], s[8:9], -1
	s_or_b64 s[6:7], s[6:7], s[10:11]
	s_and_b64 s[6:7], exec, s[6:7]
	s_or_b64 s[20:21], s[6:7], s[20:21]
	v_add_u32_e32 v8, s4, v8
	s_andn2_b64 exec, exec, s[20:21]
	s_cbranch_execz .LBB79_38
.LBB79_36:                              ; =>This Inner Loop Header: Depth=1
	v_ashrrev_i32_e32 v9, 31, v8
	v_lshl_add_u64 v[14:15], v[8:9], 2, v[6:7]
	global_load_dword v9, v[14:15], off
	s_waitcnt vmcnt(0)
	v_cmp_ne_u32_e64 s[8:9], v9, v10
	v_cmp_eq_u32_e64 s[10:11], v9, v10
	s_and_saveexec_b64 s[22:23], s[10:11]
	s_cbranch_execz .LBB79_35
; %bb.37:                               ;   in Loop: Header=BB79_36 Depth=1
	v_mov_b32_e32 v1, 1
	ds_write_b32 v12, v13 offset:24
	s_branch .LBB79_35
.LBB79_38:
	s_or_b64 exec, exec, s[20:21]
.LBB79_39:
	s_or_b64 exec, exec, s[16:17]
.LBB79_40:
	s_or_b64 exec, exec, s[12:13]
	v_rcp_iflag_f32_e32 v6, v11
	s_and_saveexec_b64 s[8:9], vcc
; %bb.41:
	v_mov_b32_e32 v7, 0x100
	v_lshl_add_u32 v7, v74, 2, v7
	v_mov_b32_e32 v8, -1
	ds_write_b32 v7, v8 offset:32
; %bb.42:
	s_or_b64 exec, exec, s[8:9]
	v_add_u32_e32 v78, 8, v74
	v_mul_f32_e32 v11, 0x4f7ffffe, v6
	v_add_u32_e32 v6, v78, v3
	v_cmp_gt_i32_e64 s[4:5], s49, v6
	s_mov_b64 s[16:17], exec
	s_nop 0
	v_writelane_b32 v95, s4, 6
	s_nop 1
	v_writelane_b32 v95, s5, 7
	s_and_b64 s[4:5], s[16:17], s[4:5]
	s_mov_b64 exec, s[4:5]
	s_cbranch_execz .LBB79_50
; %bb.43:
	s_and_saveexec_b64 s[20:21], s[14:15]
	s_cbranch_execz .LBB79_49
; %bb.44:
	v_mul_lo_u32 v6, v78, s55
	v_ashrrev_i32_e32 v7, 31, v6
	v_mov_b32_e32 v8, 0x100
	v_lshl_add_u64 v[6:7], v[6:7], 2, v[4:5]
	v_lshl_add_u32 v12, v74, 2, v8
	v_mul_lo_u32 v8, v2, s54
	s_lshl_b32 s4, s54, 6
	s_mov_b64 s[22:23], 0
	v_mov_b32_e32 v13, v2
	s_branch .LBB79_46
.LBB79_45:                              ;   in Loop: Header=BB79_46 Depth=1
	s_or_b64 exec, exec, s[24:25]
	v_add_u32_e32 v13, 64, v13
	v_cmp_le_i32_e64 s[12:13], s50, v13
	s_xor_b64 s[6:7], s[10:11], -1
	s_or_b64 s[6:7], s[6:7], s[12:13]
	s_and_b64 s[6:7], exec, s[6:7]
	s_or_b64 s[22:23], s[6:7], s[22:23]
	v_add_u32_e32 v8, s4, v8
	s_andn2_b64 exec, exec, s[22:23]
	s_cbranch_execz .LBB79_48
.LBB79_46:                              ; =>This Inner Loop Header: Depth=1
	v_ashrrev_i32_e32 v9, 31, v8
	v_lshl_add_u64 v[14:15], v[8:9], 2, v[6:7]
	global_load_dword v9, v[14:15], off
	s_waitcnt vmcnt(0)
	v_cmp_ne_u32_e64 s[10:11], v9, v10
	v_cmp_eq_u32_e64 s[12:13], v9, v10
	s_and_saveexec_b64 s[24:25], s[12:13]
	s_cbranch_execz .LBB79_45
; %bb.47:                               ;   in Loop: Header=BB79_46 Depth=1
	v_mov_b32_e32 v1, 1
	ds_write_b32 v12, v13 offset:32
	s_branch .LBB79_45
.LBB79_48:
	s_or_b64 exec, exec, s[22:23]
.LBB79_49:
	s_or_b64 exec, exec, s[20:21]
.LBB79_50:
	s_or_b64 exec, exec, s[16:17]
	v_cvt_u32_f32_e32 v11, v11
	s_sub_i32 s4, 0, s3
	s_and_saveexec_b64 s[10:11], vcc
; %bb.51:
	v_mov_b32_e32 v6, 0x100
	v_lshl_add_u32 v6, v74, 2, v6
	v_mov_b32_e32 v7, -1
	ds_write_b32 v6, v7 offset:40
; %bb.52:
	s_or_b64 exec, exec, s[10:11]
	v_add_u32_e32 v79, 10, v74
	v_mul_lo_u32 v12, s4, v11
	v_add_u32_e32 v6, v79, v3
	v_cmp_gt_i32_e64 s[4:5], s49, v6
	s_mov_b64 s[20:21], exec
	s_nop 0
	v_writelane_b32 v95, s4, 8
	s_nop 1
	v_writelane_b32 v95, s5, 9
	s_and_b64 s[4:5], s[20:21], s[4:5]
	s_mov_b64 exec, s[4:5]
	s_cbranch_execz .LBB79_60
; %bb.53:
	s_and_saveexec_b64 s[22:23], s[14:15]
	s_cbranch_execz .LBB79_59
; %bb.54:
	v_mul_lo_u32 v6, v79, s55
	v_ashrrev_i32_e32 v7, 31, v6
	v_mov_b32_e32 v8, 0x100
	v_lshl_add_u64 v[6:7], v[6:7], 2, v[4:5]
	v_lshl_add_u32 v13, v74, 2, v8
	v_mul_lo_u32 v8, v2, s54
	s_lshl_b32 s4, s54, 6
	s_mov_b64 s[24:25], 0
	v_mov_b32_e32 v14, v2
	s_branch .LBB79_56
.LBB79_55:                              ;   in Loop: Header=BB79_56 Depth=1
	s_or_b64 exec, exec, s[26:27]
	v_add_u32_e32 v14, 64, v14
	v_cmp_le_i32_e64 s[16:17], s50, v14
	s_xor_b64 s[6:7], s[12:13], -1
	s_or_b64 s[6:7], s[6:7], s[16:17]
	s_and_b64 s[6:7], exec, s[6:7]
	s_or_b64 s[24:25], s[6:7], s[24:25]
	v_add_u32_e32 v8, s4, v8
	s_andn2_b64 exec, exec, s[24:25]
	s_cbranch_execz .LBB79_58
.LBB79_56:                              ; =>This Inner Loop Header: Depth=1
	v_ashrrev_i32_e32 v9, 31, v8
	v_lshl_add_u64 v[16:17], v[8:9], 2, v[6:7]
	global_load_dword v9, v[16:17], off
	s_waitcnt vmcnt(0)
	v_cmp_ne_u32_e64 s[12:13], v9, v10
	v_cmp_eq_u32_e64 s[16:17], v9, v10
	s_and_saveexec_b64 s[26:27], s[16:17]
	s_cbranch_execz .LBB79_55
; %bb.57:                               ;   in Loop: Header=BB79_56 Depth=1
	v_mov_b32_e32 v1, 1
	ds_write_b32 v13, v14 offset:40
	s_branch .LBB79_55
.LBB79_58:
	s_or_b64 exec, exec, s[24:25]
.LBB79_59:
	s_or_b64 exec, exec, s[22:23]
.LBB79_60:
	s_or_b64 exec, exec, s[20:21]
	v_mul_hi_u32 v6, v11, v12
	s_and_saveexec_b64 s[12:13], vcc
; %bb.61:
	v_mov_b32_e32 v7, 0x100
	v_lshl_add_u32 v7, v74, 2, v7
	v_mov_b32_e32 v8, -1
	ds_write_b32 v7, v8 offset:48
; %bb.62:
	s_or_b64 exec, exec, s[12:13]
	s_load_dwordx4 s[36:39], s[0:1], 0x54
	v_add_u32_e32 v8, v11, v6
	v_add_u32_e32 v6, 12, v74
	s_abs_i32 s4, s28
	v_add_u32_e32 v7, v6, v3
	v_cmp_gt_i32_e64 s[6:7], s49, v7
	s_mov_b64 s[16:17], exec
	s_nop 0
	v_writelane_b32 v95, s6, 10
	s_nop 1
	v_writelane_b32 v95, s7, 11
	s_and_b64 s[6:7], s[16:17], s[6:7]
	s_mov_b64 exec, s[6:7]
	s_cbranch_execz .LBB79_70
; %bb.63:
	s_and_saveexec_b64 s[20:21], s[14:15]
	s_cbranch_execz .LBB79_69
; %bb.64:
	v_mul_lo_u32 v6, v6, s55
	v_ashrrev_i32_e32 v7, 31, v6
	v_lshl_add_u64 v[4:5], v[6:7], 2, v[4:5]
	v_mov_b32_e32 v6, 0x100
	v_lshl_add_u32 v9, v74, 2, v6
	v_mul_lo_u32 v6, v2, s54
	s_lshl_b32 s5, s54, 6
	s_mov_b64 s[22:23], 0
	v_mov_b32_e32 v11, v2
	s_branch .LBB79_66
.LBB79_65:                              ;   in Loop: Header=BB79_66 Depth=1
	s_or_b64 exec, exec, s[24:25]
	v_add_u32_e32 v11, 64, v11
	v_cmp_le_i32_e64 s[14:15], s50, v11
	s_xor_b64 s[6:7], vcc, -1
	s_or_b64 s[6:7], s[6:7], s[14:15]
	s_and_b64 s[6:7], exec, s[6:7]
	s_or_b64 s[22:23], s[6:7], s[22:23]
	v_add_u32_e32 v6, s5, v6
	s_andn2_b64 exec, exec, s[22:23]
	s_cbranch_execz .LBB79_68
.LBB79_66:                              ; =>This Inner Loop Header: Depth=1
	v_ashrrev_i32_e32 v7, 31, v6
	v_lshl_add_u64 v[12:13], v[6:7], 2, v[4:5]
	global_load_dword v7, v[12:13], off
	s_waitcnt vmcnt(0)
	v_cmp_ne_u32_e32 vcc, v7, v10
	v_cmp_eq_u32_e64 s[14:15], v7, v10
	s_and_saveexec_b64 s[24:25], s[14:15]
	s_cbranch_execz .LBB79_65
; %bb.67:                               ;   in Loop: Header=BB79_66 Depth=1
	v_mov_b32_e32 v1, 1
	ds_write_b32 v9, v11 offset:48
	s_branch .LBB79_65
.LBB79_68:
	s_or_b64 exec, exec, s[22:23]
.LBB79_69:
	s_or_b64 exec, exec, s[20:21]
.LBB79_70:
	s_or_b64 exec, exec, s[16:17]
	s_load_dwordx2 s[6:7], s[18:19], 0xc
	s_load_dwordx2 s[16:17], s[0:1], 0x8
	;; [unrolled: 1-line block ×3, first 2 shown]
	v_or_b32_dpp v1, v1, v1 row_shl:1 row_mask:0xf bank_mask:0xf bound_ctrl:1
	v_mul_hi_u32 v4, s4, v8
	s_waitcnt lgkmcnt(0)
	s_and_b32 s5, s7, 0xffff
	s_lshr_b32 s7, s6, 16
	v_writelane_b32 v95, s8, 12
	s_and_b32 s6, s6, 0xffff
	v_or_b32_dpp v1, v1, v1 row_shl:2 row_mask:0xf bank_mask:0xf bound_ctrl:1
	v_writelane_b32 v95, s9, 13
	s_mul_i32 s8, s7, s6
	v_or_b32_dpp v1, v1, v1 row_shl:4 row_mask:0xf bank_mask:0xf bound_ctrl:1
	s_bfe_i32 s8, s8, 0x180000
	s_mul_i32 s5, s8, s5
	v_or_b32_dpp v1, v1, v1 row_shl:8 row_mask:0xf bank_mask:0xf bound_ctrl:1
	s_add_i32 s8, s5, 63
	s_bitcmp1_b32 exec_hi, 0
	v_mov_b32_dpp v5, v1 wave_shl:1 row_mask:0xf bank_mask:0xf bound_ctrl:1
                                        ; kill: killed $sgpr18 killed $sgpr19
	s_nop 1
	v_or_b32_dpp v1, v5, v1 row_mirror row_mask:0xf bank_mask:0xf bound_ctrl:1
	s_nop 0
	v_readlane_b32 s5, v1, 32
	s_cselect_b32 s5, s5, 0
	v_readlane_b32 s9, v1, 0
	s_or_b32 s5, s5, s9
	s_andn2_b32 s8, s8, 63
	s_cmp_lg_u32 s8, 64
	v_mov_b32_e32 v1, s5
	s_cbranch_scc0 .LBB79_77
; %bb.71:
	v_bfe_u32 v0, v0, 20, 10
	v_mbcnt_lo_u32_b32 v1, -1, 0
	v_mad_u32_u24 v0, v0, s7, v74
	v_mbcnt_hi_u32_b32 v5, -1, v1
	v_mad_u64_u32 v[0:1], s[6:7], v0, s6, v[2:3]
	v_lshrrev_b32_e32 v1, 6, v0
	v_or_b32_e32 v1, v5, v1
	v_cmp_eq_u32_e32 vcc, 0, v1
	s_and_saveexec_b64 s[14:15], vcc
; %bb.72:
	v_mov_b32_e32 v1, 0
	v_mov_b32_e32 v6, s5
	ds_write_b32 v1, v6
; %bb.73:
	s_or_b64 exec, exec, s[14:15]
	v_cmp_eq_u32_e32 vcc, 0, v5
	v_cmp_lt_u32_e64 s[14:15], 63, v0
	s_and_b64 s[6:7], s[14:15], vcc
	s_waitcnt lgkmcnt(0)
	s_barrier
	s_and_saveexec_b64 s[14:15], s[6:7]
	s_cbranch_execz .LBB79_76
; %bb.74:
	v_mbcnt_lo_u32_b32 v0, exec_lo, 0
	v_mbcnt_hi_u32_b32 v0, exec_hi, v0
	v_cmp_eq_u32_e32 vcc, 0, v0
	s_and_b64 exec, exec, vcc
; %bb.75:
	v_mov_b32_e32 v0, 0
	v_mov_b32_e32 v1, s5
	ds_or_b32 v0, v1
.LBB79_76:
	s_or_b64 exec, exec, s[14:15]
	v_mov_b32_e32 v0, 0
	s_waitcnt lgkmcnt(0)
	s_barrier
	ds_read_b32 v1, v0
	s_waitcnt lgkmcnt(0)
	s_barrier
.LBB79_77:
	s_load_dwordx2 s[14:15], s[0:1], 0x0
	v_cmp_ne_u32_e32 vcc, 0, v1
	s_ashr_i32 s5, s28, 31
	s_ashr_i32 s6, s59, 31
	s_cbranch_vccz .LBB79_163
; %bb.78:
	v_lshlrev_b32_e32 v80, 6, v74
	v_add_u32_e32 v82, v80, v2
	v_cmp_le_i32_e32 vcc, s48, v82
	v_and_b32_e32 v81, 15, v2
	s_and_saveexec_b64 s[0:1], vcc
	s_xor_b64 s[0:1], exec, s[0:1]
; %bb.79:
	v_and_b32_e32 v81, 15, v2
                                        ; implicit-def: $vgpr82
                                        ; implicit-def: $vgpr4
                                        ; implicit-def: $vgpr10
; %bb.80:
	s_or_saveexec_b64 s[0:1], s[0:1]
	s_lshl_b32 s7, s2, 6
	v_mov_b32_e32 v1, 0
	v_accvgpr_write_b32 a0, 0
	v_accvgpr_write_b32 a1, 0
	v_accvgpr_write_b32 a2, 0
	v_accvgpr_write_b32 a3, 0
	v_accvgpr_write_b32 a4, 0
	v_accvgpr_write_b32 a5, 0
	v_accvgpr_write_b32 a6, 0
	v_accvgpr_write_b32 a7, 0
	v_accvgpr_write_b32 a8, 0
	v_accvgpr_write_b32 a9, 0
	v_accvgpr_write_b32 a10, 0
	v_accvgpr_write_b32 a11, 0
	v_accvgpr_write_b32 a12, 0
	v_accvgpr_write_b32 a13, 0
	v_accvgpr_write_b32 a14, 0
	v_accvgpr_write_b32 a15, 0
	v_writelane_b32 v95, s0, 14
	s_nop 1
	v_writelane_b32 v95, s1, 15
	s_xor_b64 exec, exec, s[0:1]
	s_cbranch_execz .LBB79_136
; %bb.81:
	v_mul_lo_u32 v0, v4, s3
	v_sub_u32_e32 v0, s4, v0
	v_add_u32_e32 v5, 1, v4
	v_subrev_u32_e32 v6, s3, v0
	v_cmp_le_u32_e32 vcc, s3, v0
	s_xor_b32 s0, s5, s6
	v_writelane_b32 v95, s30, 16
	v_cndmask_b32_e32 v4, v4, v5, vcc
	v_cndmask_b32_e32 v0, v0, v6, vcc
	v_add_u32_e32 v5, 1, v4
	v_cmp_le_u32_e32 vcc, s3, v0
	v_writelane_b32 v95, s31, 17
	v_writelane_b32 v95, s7, 18
	v_cndmask_b32_e32 v0, v4, v5, vcc
	v_xor_b32_e32 v0, s0, v0
	v_subrev_u32_e32 v0, s0, v0
	s_mul_i32 s0, s51, s7
	s_ashr_i32 s1, s0, 31
	s_lshl_b64 s[2:3], s[0:1], 2
	s_movk_i32 s0, 0x1080
	v_mov_b32_e32 v83, 0x100
	v_writelane_b32 v95, s28, 19
	v_mul_hi_i32 v5, v0, s36
	v_mul_lo_u32 v4, v0, s36
	v_mul_lo_u32 v6, v10, s56
	v_mad_u32_u24 v0, v74, s0, v83
	s_mul_hi_i32 s1, s37, s28
	v_writelane_b32 v95, s36, 20
	s_mul_i32 s0, s37, s28
	v_ashrrev_i32_e32 v7, 31, v6
	s_lshl_b64 s[0:1], s[0:1], 2
	v_lshlrev_b64 v[10:11], 2, v[6:7]
	v_writelane_b32 v95, s37, 21
	v_mul_hi_i32 v7, v3, s52
	v_mul_lo_u32 v6, v3, s52
	s_add_u32 s0, s16, s0
	v_lshlrev_b64 v[8:9], 2, v[4:5]
	v_writelane_b32 v95, s38, 22
	s_addc_u32 s1, s17, s1
	v_lshlrev_b64 v[6:7], 2, v[6:7]
	s_waitcnt lgkmcnt(0)
	v_lshl_add_u64 v[4:5], s[14:15], 0, v[8:9]
	v_writelane_b32 v95, s39, 23
	v_lshl_add_u64 v[6:7], s[0:1], 0, v[6:7]
	v_lshrrev_b32_e32 v13, 1, v2
	s_lshl_b32 s0, s52, 1
	v_lshl_add_u64 v[8:9], v[8:9], 0, s[2:3]
	v_mul_u32_u24_e32 v12, 0x108, v81
	v_and_b32_e32 v13, 0x1f8, v13
	v_writelane_b32 v95, s0, 24
	s_lshl_b32 s0, s52, 2
	v_lshl_add_u64 v[8:9], v[8:9], 0, v[10:11]
	v_lshl_add_u64 v[4:5], v[4:5], 0, v[10:11]
	v_lshl_add_u32 v84, v2, 2, v0
	v_add3_u32 v85, v0, v12, v13
	v_add_u32_e32 v12, 1, v3
	v_add_u32_e32 v13, 2, v3
	;; [unrolled: 1-line block ×4, first 2 shown]
	v_writelane_b32 v95, s0, 25
	v_add_u32_e32 v16, 5, v3
	v_add_u32_e32 v17, 6, v3
	;; [unrolled: 1-line block ×8, first 2 shown]
	s_ashr_i32 s1, s51, 31
	s_mov_b32 s0, s51
	v_lshl_add_u64 v[8:9], s[14:15], 0, v[8:9]
	v_lshlrev_b32_e32 v0, 2, v82
	v_lshl_add_u64 v[4:5], v[4:5], 0, s[2:3]
	s_lshl_b32 s59, s52, 3
	s_add_i32 s60, s51, s51
	s_mul_i32 s61, s51, 3
	s_lshl_b32 s63, s51, 2
	s_mul_i32 s64, s51, 5
	s_mul_i32 s65, s51, 6
	;; [unrolled: 1-line block ×3, first 2 shown]
	s_lshl_b32 s67, s51, 3
	s_mul_i32 s68, s51, 9
	s_mul_i32 s69, s51, 10
	;; [unrolled: 1-line block ×7, first 2 shown]
	s_lshl_b32 s75, s51, 4
	s_mul_i32 s76, s51, 17
	s_mul_i32 s77, s51, 18
	;; [unrolled: 1-line block ×15, first 2 shown]
	s_lshl_b32 s91, s51, 5
	s_mul_i32 s92, s51, 33
	s_mul_i32 s93, s51, 34
	s_mul_i32 s94, s51, 35
	s_mul_i32 s95, s51, 36
	s_mul_i32 s96, s51, 37
	s_mul_i32 s97, s51, 38
	s_mul_i32 s98, s51, 39
	s_mul_i32 s99, s51, 40
	s_mul_i32 s5, s51, 41
	s_mul_i32 s42, s51, 42
	s_mul_i32 s43, s51, 43
	s_mul_i32 s46, s51, 44
	v_cmp_gt_i32_e64 s[14:15], s49, v3
	s_mul_i32 s47, s51, 45
	s_mul_i32 s12, s51, 46
	s_lshl_b64 s[2:3], s[0:1], 2
	v_accvgpr_write_b32 a15, 0
	v_accvgpr_write_b32 a14, 0
	;; [unrolled: 1-line block ×16, first 2 shown]
	v_lshl_add_u64 v[8:9], v[8:9], 0, v[0:1]
	s_mul_i32 s13, s51, 47
	s_mul_i32 s44, s51, 48
	;; [unrolled: 1-line block ×17, first 2 shown]
	v_cmp_gt_i32_e64 s[16:17], s49, v12
	v_cmp_gt_i32_e64 s[18:19], s49, v13
	v_cmp_gt_i32_e64 s[20:21], s49, v14
	v_cmp_gt_i32_e64 s[22:23], s49, v15
	v_cmp_gt_i32_e64 s[24:25], s49, v16
	v_cmp_gt_i32_e64 s[26:27], s49, v17
	v_cmp_gt_i32_e64 s[28:29], s49, v18
	v_cmp_gt_i32_e64 s[30:31], s49, v19
	v_cmp_gt_i32_e64 s[34:35], s49, v20
	v_cmp_gt_i32_e64 s[36:37], s49, v21
	v_cmp_gt_i32_e64 s[38:39], s49, v22
	v_cmp_gt_i32_e64 s[40:41], s49, v23
	s_mov_b64 s[50:51], 0
	s_branch .LBB79_84
.LBB79_82:                              ;   in Loop: Header=BB79_84 Depth=1
	v_mul_lo_u32 v0, v0, s57
	s_mul_i32 s49, s52, 12
	v_add_u32_e32 v0, s49, v0
	v_add_u32_e32 v86, v0, v82
	v_ashrrev_i32_e32 v87, 31, v86
	v_lshl_add_u64 v[86:87], v[86:87], 2, v[6:7]
	global_load_dword v0, v[86:87], off
.LBB79_83:                              ;   in Loop: Header=BB79_84 Depth=1
	v_add_u32_e32 v86, 0xc00, v84
	s_waitcnt vmcnt(0)
	ds_write2_b32 v86, v0, v1 offset0:40 offset1:106
	ds_write2_b32 v86, v1, v1 offset0:172 offset1:238
	ds_read2_b64 v[86:89], v85 offset0:8 offset1:12
	v_add_u32_e32 v82, 0x80, v82
	s_mov_b64 vcc, 0x200
	v_lshl_add_u64 v[8:9], v[8:9], 0, vcc
	v_cmp_le_i32_e32 vcc, s48, v82
	s_waitcnt lgkmcnt(0)
	v_mfma_f32_16x16x4_f32 a[12:15], v16, v86, a[12:15]
	s_or_b64 s[50:51], vcc, s[50:51]
	v_mfma_f32_16x16x4_f32 a[8:11], v50, v86, a[8:11]
	v_mfma_f32_16x16x4_f32 a[4:7], v60, v86, a[4:7]
	;; [unrolled: 1-line block ×12, first 2 shown]
	ds_read2_b64 v[14:17], v85 offset0:16 offset1:20
	v_mfma_f32_16x16x4_f32 a[8:11], v47, v89, a[8:11]
	v_mfma_f32_16x16x4_f32 a[4:7], v57, v89, a[4:7]
	;; [unrolled: 1-line block ×3, first 2 shown]
	s_waitcnt lgkmcnt(0)
	v_mfma_f32_16x16x4_f32 a[12:15], v12, v14, a[12:15]
	v_mfma_f32_16x16x4_f32 a[8:11], v42, v14, a[8:11]
	;; [unrolled: 1-line block ×13, first 2 shown]
	ds_read2_b64 v[10:13], v85 offset0:24 offset1:28
	v_mfma_f32_16x16x4_f32 a[8:11], v39, v17, a[8:11]
	v_mfma_f32_16x16x4_f32 a[4:7], v49, v17, a[4:7]
	;; [unrolled: 1-line block ×3, first 2 shown]
	s_waitcnt lgkmcnt(0)
	v_mfma_f32_16x16x4_f32 a[12:15], v26, v10, a[12:15]
	v_mfma_f32_16x16x4_f32 a[8:11], v34, v10, a[8:11]
	;; [unrolled: 1-line block ×16, first 2 shown]
	ds_read2_b64 v[10:13], v85 offset0:32 offset1:36
	s_waitcnt lgkmcnt(0)
	v_mfma_f32_16x16x4_f32 a[12:15], v20, v10, a[12:15]
	v_mfma_f32_16x16x4_f32 a[8:11], v28, v10, a[8:11]
	;; [unrolled: 1-line block ×16, first 2 shown]
	s_andn2_b64 exec, exec, s[50:51]
	s_cbranch_execz .LBB79_135
.LBB79_84:                              ; =>This Inner Loop Header: Depth=1
	v_lshl_add_u64 v[10:11], v[8:9], 0, s[2:3]
	global_load_dword v0, v[8:9], off
	global_load_dword v26, v[10:11], off
	v_add_u32_e32 v10, s60, v82
	v_add_u32_e32 v14, s63, v82
	;; [unrolled: 1-line block ×4, first 2 shown]
	v_ashrrev_i32_e32 v11, 31, v10
	v_add_u32_e32 v12, s61, v82
	v_ashrrev_i32_e32 v15, 31, v14
	v_ashrrev_i32_e32 v17, 31, v16
	v_add_u32_e32 v18, s65, v82
	v_add_u32_e32 v20, s66, v82
	v_ashrrev_i32_e32 v23, 31, v22
	v_add_u32_e32 v24, s68, v82
	v_lshl_add_u64 v[10:11], v[10:11], 2, v[4:5]
	v_ashrrev_i32_e32 v13, 31, v12
	v_lshl_add_u64 v[14:15], v[14:15], 2, v[4:5]
	v_lshl_add_u64 v[16:17], v[16:17], 2, v[4:5]
	v_ashrrev_i32_e32 v19, 31, v18
	v_ashrrev_i32_e32 v21, 31, v20
	v_lshl_add_u64 v[22:23], v[22:23], 2, v[4:5]
	v_ashrrev_i32_e32 v25, 31, v24
	v_lshl_add_u64 v[12:13], v[12:13], 2, v[4:5]
	v_lshl_add_u64 v[18:19], v[18:19], 2, v[4:5]
	;; [unrolled: 1-line block ×4, first 2 shown]
	global_load_dword v27, v[10:11], off
	global_load_dword v28, v[12:13], off
	global_load_dword v29, v[14:15], off
	global_load_dword v30, v[16:17], off
	global_load_dword v31, v[18:19], off
	global_load_dword v32, v[20:21], off
	s_nop 0
	global_load_dword v22, v[22:23], off
	s_nop 0
	global_load_dword v23, v[24:25], off
	v_add_u32_e32 v10, s69, v82
	v_add_u32_e32 v14, s71, v82
	;; [unrolled: 1-line block ×3, first 2 shown]
	v_ashrrev_i32_e32 v11, 31, v10
	v_add_u32_e32 v12, s70, v82
	v_ashrrev_i32_e32 v15, 31, v14
	v_ashrrev_i32_e32 v17, 31, v16
	v_add_u32_e32 v18, s73, v82
	v_add_u32_e32 v20, s74, v82
	v_lshl_add_u64 v[10:11], v[10:11], 2, v[4:5]
	v_ashrrev_i32_e32 v13, 31, v12
	v_lshl_add_u64 v[14:15], v[14:15], 2, v[4:5]
	v_lshl_add_u64 v[16:17], v[16:17], 2, v[4:5]
	v_ashrrev_i32_e32 v19, 31, v18
	v_ashrrev_i32_e32 v21, 31, v20
	v_lshl_add_u64 v[12:13], v[12:13], 2, v[4:5]
	v_lshl_add_u64 v[18:19], v[18:19], 2, v[4:5]
	;; [unrolled: 1-line block ×3, first 2 shown]
	global_load_dword v24, v[10:11], off
	global_load_dword v25, v[12:13], off
	s_nop 0
	global_load_dword v14, v[14:15], off
	s_nop 0
	;; [unrolled: 2-line block ×3, first 2 shown]
	global_load_dword v16, v[18:19], off
	global_load_dword v17, v[20:21], off
	v_add_u32_e32 v10, s75, v82
	v_add_u32_e32 v12, s76, v82
	v_ashrrev_i32_e32 v11, 31, v10
	v_ashrrev_i32_e32 v13, 31, v12
	v_lshl_add_u64 v[10:11], v[10:11], 2, v[4:5]
	v_add_u32_e32 v18, s77, v82
	v_lshl_add_u64 v[12:13], v[12:13], 2, v[4:5]
	global_load_dword v34, v[10:11], off
	global_load_dword v35, v[12:13], off
	v_ashrrev_i32_e32 v19, 31, v18
	v_add_u32_e32 v20, s78, v82
	v_lshl_add_u64 v[18:19], v[18:19], 2, v[4:5]
	v_ashrrev_i32_e32 v21, 31, v20
	v_lshl_add_u64 v[20:21], v[20:21], 2, v[4:5]
	s_andn2_b64 vcc, exec, s[14:15]
	s_waitcnt vmcnt(17)
	ds_write_b32 v84, v0 offset:64
	s_waitcnt vmcnt(16)
	ds_write_b32 v84, v26 offset:328
	;; [unrolled: 2-line block ×16, first 2 shown]
	v_add_u32_e32 v22, s79, v82
	v_add_u32_e32 v24, s80, v82
	;; [unrolled: 1-line block ×6, first 2 shown]
	v_ashrrev_i32_e32 v23, 31, v22
	v_ashrrev_i32_e32 v25, 31, v24
	;; [unrolled: 1-line block ×6, first 2 shown]
	ds_read_b64 v[16:17], v85 offset:64
	ds_read_b64 v[14:15], v85 offset:96
	;; [unrolled: 1-line block ×4, first 2 shown]
	v_lshl_add_u64 v[22:23], v[22:23], 2, v[4:5]
	v_lshl_add_u64 v[24:25], v[24:25], 2, v[4:5]
	v_lshl_add_u64 v[26:27], v[26:27], 2, v[4:5]
	v_lshl_add_u64 v[28:29], v[28:29], 2, v[4:5]
	v_lshl_add_u64 v[30:31], v[30:31], 2, v[4:5]
	v_lshl_add_u64 v[32:33], v[32:33], 2, v[4:5]
	global_load_dword v0, v[18:19], off
	global_load_dword v36, v[20:21], off
	global_load_dword v37, v[22:23], off
	global_load_dword v38, v[24:25], off
	global_load_dword v39, v[26:27], off
	global_load_dword v40, v[28:29], off
	global_load_dword v41, v[30:31], off
	global_load_dword v42, v[32:33], off
	v_add_u32_e32 v18, s85, v82
	v_ashrrev_i32_e32 v19, 31, v18
	v_add_u32_e32 v20, s86, v82
	v_add_u32_e32 v22, s87, v82
	v_add_u32_e32 v24, s88, v82
	v_add_u32_e32 v26, s89, v82
	v_add_u32_e32 v28, s90, v82
	v_add_u32_e32 v30, s91, v82
	v_add_u32_e32 v32, s92, v82
	v_lshl_add_u64 v[18:19], v[18:19], 2, v[4:5]
	v_ashrrev_i32_e32 v21, 31, v20
	v_ashrrev_i32_e32 v23, 31, v22
	v_ashrrev_i32_e32 v25, 31, v24
	v_ashrrev_i32_e32 v27, 31, v26
	v_ashrrev_i32_e32 v29, 31, v28
	v_ashrrev_i32_e32 v31, 31, v30
	v_ashrrev_i32_e32 v33, 31, v32
	v_lshl_add_u64 v[20:21], v[20:21], 2, v[4:5]
	v_lshl_add_u64 v[22:23], v[22:23], 2, v[4:5]
	v_lshl_add_u64 v[24:25], v[24:25], 2, v[4:5]
	v_lshl_add_u64 v[26:27], v[26:27], 2, v[4:5]
	v_lshl_add_u64 v[28:29], v[28:29], 2, v[4:5]
	v_lshl_add_u64 v[30:31], v[30:31], 2, v[4:5]
	v_lshl_add_u64 v[32:33], v[32:33], 2, v[4:5]
	global_load_dword v43, v[18:19], off
	global_load_dword v44, v[20:21], off
	global_load_dword v45, v[22:23], off
	global_load_dword v46, v[24:25], off
	global_load_dword v47, v[26:27], off
	global_load_dword v48, v[28:29], off
	global_load_dword v49, v[30:31], off
	global_load_dword v52, v[32:33], off
	v_add_u32_e32 v18, s93, v82
	v_ashrrev_i32_e32 v19, 31, v18
	v_add_u32_e32 v20, s94, v82
	v_add_u32_e32 v22, s95, v82
	v_add_u32_e32 v24, s96, v82
	v_add_u32_e32 v26, s97, v82
	v_add_u32_e32 v28, s98, v82
	v_add_u32_e32 v30, s99, v82
	v_add_u32_e32 v32, s5, v82
	v_lshl_add_u64 v[18:19], v[18:19], 2, v[4:5]
	v_ashrrev_i32_e32 v21, 31, v20
	v_ashrrev_i32_e32 v23, 31, v22
	v_ashrrev_i32_e32 v25, 31, v24
	v_ashrrev_i32_e32 v27, 31, v26
	v_ashrrev_i32_e32 v29, 31, v28
	v_ashrrev_i32_e32 v31, 31, v30
	v_ashrrev_i32_e32 v33, 31, v32
	v_lshl_add_u64 v[20:21], v[20:21], 2, v[4:5]
	;; [unrolled: 32-line block ×4, first 2 shown]
	v_lshl_add_u64 v[22:23], v[22:23], 2, v[4:5]
	v_lshl_add_u64 v[24:25], v[24:25], 2, v[4:5]
	;; [unrolled: 1-line block ×6, first 2 shown]
	global_load_dword v69, v[18:19], off
	global_load_dword v70, v[20:21], off
	;; [unrolled: 1-line block ×8, first 2 shown]
	v_add_u32_e32 v18, s54, v82
	v_ashrrev_i32_e32 v19, 31, v18
	v_add_u32_e32 v20, s55, v82
	v_add_u32_e32 v22, s62, v82
	;; [unrolled: 1-line block ×5, first 2 shown]
	v_lshl_add_u64 v[18:19], v[18:19], 2, v[4:5]
	v_ashrrev_i32_e32 v21, 31, v20
	v_ashrrev_i32_e32 v23, 31, v22
	;; [unrolled: 1-line block ×5, first 2 shown]
	v_lshl_add_u64 v[20:21], v[20:21], 2, v[4:5]
	v_lshl_add_u64 v[22:23], v[22:23], 2, v[4:5]
	v_lshl_add_u64 v[24:25], v[24:25], 2, v[4:5]
	v_lshl_add_u64 v[26:27], v[26:27], 2, v[4:5]
	v_lshl_add_u64 v[28:29], v[28:29], 2, v[4:5]
	global_load_dword v89, v[18:19], off
	global_load_dword v90, v[20:21], off
	;; [unrolled: 1-line block ×6, first 2 shown]
	ds_read_b64 v[26:27], v85 offset:192
	ds_read_b64 v[22:23], v85 offset:224
	ds_read_b64 v[20:21], v85 offset:256
	ds_read_b64 v[18:19], v85 offset:288
	s_waitcnt vmcnt(47)
	ds_write_b32 v84, v34 offset:64
	s_waitcnt vmcnt(46)
	ds_write_b32 v84, v35 offset:328
	s_waitcnt vmcnt(45)
	ds_write_b32 v84, v0 offset:592
	s_waitcnt vmcnt(44)
	ds_write_b32 v84, v36 offset:856
	s_waitcnt vmcnt(43)
	ds_write_b32 v84, v37 offset:1120
	s_waitcnt vmcnt(42)
	ds_write_b32 v84, v38 offset:1384
	s_waitcnt vmcnt(41)
	ds_write_b32 v84, v39 offset:1648
	s_waitcnt vmcnt(40)
	ds_write_b32 v84, v40 offset:1912
	s_waitcnt vmcnt(39)
	ds_write_b32 v84, v41 offset:2176
	s_waitcnt vmcnt(38)
	ds_write_b32 v84, v42 offset:2440
	s_waitcnt vmcnt(37)
	ds_write_b32 v84, v43 offset:2704
	s_waitcnt vmcnt(36)
	ds_write_b32 v84, v44 offset:2968
	s_waitcnt vmcnt(35)
	ds_write_b32 v84, v45 offset:3232
	s_waitcnt vmcnt(34)
	ds_write_b32 v84, v46 offset:3496
	s_waitcnt vmcnt(33)
	ds_write_b32 v84, v47 offset:3760
	s_waitcnt vmcnt(32)
	ds_write_b32 v84, v48 offset:4024
	ds_read_b64 v[50:51], v85 offset:64
	ds_read_b64 v[46:47], v85 offset:96
	ds_read_b64 v[42:43], v85 offset:128
	ds_read_b64 v[38:39], v85 offset:160
	ds_read_b64 v[34:35], v85 offset:192
	ds_read_b64 v[30:31], v85 offset:224
	ds_read_b64 v[28:29], v85 offset:256
	ds_read_b64 v[24:25], v85 offset:288
	s_waitcnt vmcnt(31)
	ds_write_b32 v84, v49 offset:64
	s_waitcnt vmcnt(30)
	ds_write_b32 v84, v52 offset:328
	s_waitcnt vmcnt(29)
	ds_write_b32 v84, v53 offset:592
	s_waitcnt vmcnt(28)
	ds_write_b32 v84, v54 offset:856
	s_waitcnt vmcnt(27)
	ds_write_b32 v84, v55 offset:1120
	s_waitcnt vmcnt(26)
	ds_write_b32 v84, v56 offset:1384
	s_waitcnt vmcnt(25)
	ds_write_b32 v84, v57 offset:1648
	s_waitcnt vmcnt(24)
	ds_write_b32 v84, v58 offset:1912
	s_waitcnt vmcnt(23)
	ds_write_b32 v84, v59 offset:2176
	s_waitcnt vmcnt(22)
	ds_write_b32 v84, v60 offset:2440
	s_waitcnt vmcnt(21)
	ds_write_b32 v84, v61 offset:2704
	s_waitcnt vmcnt(20)
	ds_write_b32 v84, v62 offset:2968
	s_waitcnt vmcnt(19)
	ds_write_b32 v84, v63 offset:3232
	s_waitcnt vmcnt(18)
	ds_write_b32 v84, v64 offset:3496
	s_waitcnt vmcnt(17)
	ds_write_b32 v84, v65 offset:3760
	s_waitcnt vmcnt(16)
	ds_write_b32 v84, v66 offset:4024
	ds_read_b64 v[60:61], v85 offset:64
	ds_read_b64 v[56:57], v85 offset:96
	ds_read_b64 v[54:55], v85 offset:128
	ds_read_b64 v[48:49], v85 offset:160
	;; [unrolled: 40-line block ×3, first 2 shown]
	ds_read_b64 v[64:65], v85 offset:192
	ds_read_b64 v[62:63], v85 offset:224
	;; [unrolled: 1-line block ×4, first 2 shown]
	v_mov_b32_e32 v0, 0
	s_cbranch_vccnz .LBB79_88
; %bb.85:                               ;   in Loop: Header=BB79_84 Depth=1
	ds_read_b32 v0, v83
	s_waitcnt lgkmcnt(0)
	v_cmp_gt_i32_e32 vcc, 0, v0
	s_cbranch_vccnz .LBB79_87
; %bb.86:                               ;   in Loop: Header=BB79_84 Depth=1
	v_mul_lo_u32 v0, v0, s57
	v_add_u32_e32 v86, v82, v0
	v_ashrrev_i32_e32 v87, 31, v86
	v_lshl_add_u64 v[86:87], v[86:87], 2, v[6:7]
	global_load_dword v0, v[86:87], off
	s_branch .LBB79_88
.LBB79_87:                              ;   in Loop: Header=BB79_84 Depth=1
	v_mov_b32_e32 v0, 0
.LBB79_88:                              ;   in Loop: Header=BB79_84 Depth=1
	s_waitcnt vmcnt(0)
	ds_write_b32 v84, v0 offset:64
	v_mov_b32_e32 v86, 0
	s_andn2_b64 vcc, exec, s[16:17]
	v_mov_b32_e32 v0, 0
	s_cbranch_vccnz .LBB79_91
; %bb.89:                               ;   in Loop: Header=BB79_84 Depth=1
	ds_read_b32 v0, v83 offset:4
	s_waitcnt lgkmcnt(0)
	v_cmp_gt_i32_e32 vcc, 0, v0
	s_cbranch_vccnz .LBB79_94
; %bb.90:                               ;   in Loop: Header=BB79_84 Depth=1
	v_mul_lo_u32 v0, v0, s57
	v_add_u32_e32 v0, s52, v0
	v_add_u32_e32 v88, v0, v82
	v_ashrrev_i32_e32 v89, 31, v88
	v_lshl_add_u64 v[88:89], v[88:89], 2, v[6:7]
	global_load_dword v0, v[88:89], off
.LBB79_91:                              ;   in Loop: Header=BB79_84 Depth=1
	s_andn2_b64 vcc, exec, s[18:19]
	s_waitcnt vmcnt(0)
	ds_write_b32 v84, v0 offset:328
	s_cbranch_vccnz .LBB79_96
.LBB79_92:                              ;   in Loop: Header=BB79_84 Depth=1
	ds_read_b32 v0, v83 offset:8
	s_waitcnt lgkmcnt(0)
	v_cmp_gt_i32_e32 vcc, 0, v0
	s_cbranch_vccnz .LBB79_95
; %bb.93:                               ;   in Loop: Header=BB79_84 Depth=1
	v_mul_lo_u32 v0, v0, s57
	v_readlane_b32 s49, v95, 24
	s_nop 1
	v_add_u32_e32 v0, s49, v0
	v_add_u32_e32 v86, v0, v82
	v_ashrrev_i32_e32 v87, 31, v86
	v_lshl_add_u64 v[86:87], v[86:87], 2, v[6:7]
	global_load_dword v86, v[86:87], off
	s_branch .LBB79_96
.LBB79_94:                              ;   in Loop: Header=BB79_84 Depth=1
	v_mov_b32_e32 v0, 0
	s_andn2_b64 vcc, exec, s[18:19]
	ds_write_b32 v84, v0 offset:328
	s_cbranch_vccz .LBB79_92
	s_branch .LBB79_96
.LBB79_95:                              ;   in Loop: Header=BB79_84 Depth=1
	v_mov_b32_e32 v86, 0
.LBB79_96:                              ;   in Loop: Header=BB79_84 Depth=1
	s_waitcnt vmcnt(0)
	ds_write_b32 v84, v86 offset:592
	v_mov_b32_e32 v86, 0
	s_andn2_b64 vcc, exec, s[20:21]
	v_mov_b32_e32 v0, 0
	s_cbranch_vccnz .LBB79_99
; %bb.97:                               ;   in Loop: Header=BB79_84 Depth=1
	ds_read_b32 v0, v83 offset:12
	s_waitcnt lgkmcnt(0)
	v_cmp_gt_i32_e32 vcc, 0, v0
	s_cbranch_vccnz .LBB79_102
; %bb.98:                               ;   in Loop: Header=BB79_84 Depth=1
	v_mul_lo_u32 v0, v0, s57
	s_mul_i32 s49, s52, 3
	v_add_u32_e32 v0, s49, v0
	v_add_u32_e32 v88, v0, v82
	v_ashrrev_i32_e32 v89, 31, v88
	v_lshl_add_u64 v[88:89], v[88:89], 2, v[6:7]
	global_load_dword v0, v[88:89], off
.LBB79_99:                              ;   in Loop: Header=BB79_84 Depth=1
	s_andn2_b64 vcc, exec, s[22:23]
	s_waitcnt vmcnt(0)
	ds_write_b32 v84, v0 offset:856
	s_cbranch_vccnz .LBB79_104
.LBB79_100:                             ;   in Loop: Header=BB79_84 Depth=1
	ds_read_b32 v0, v83 offset:16
	s_waitcnt lgkmcnt(0)
	v_cmp_gt_i32_e32 vcc, 0, v0
	s_cbranch_vccnz .LBB79_103
; %bb.101:                              ;   in Loop: Header=BB79_84 Depth=1
	v_mul_lo_u32 v0, v0, s57
	v_readlane_b32 s49, v95, 25
	s_nop 1
	v_add_u32_e32 v0, s49, v0
	v_add_u32_e32 v86, v0, v82
	v_ashrrev_i32_e32 v87, 31, v86
	v_lshl_add_u64 v[86:87], v[86:87], 2, v[6:7]
	global_load_dword v86, v[86:87], off
	s_branch .LBB79_104
.LBB79_102:                             ;   in Loop: Header=BB79_84 Depth=1
	v_mov_b32_e32 v0, 0
	s_andn2_b64 vcc, exec, s[22:23]
	ds_write_b32 v84, v0 offset:856
	s_cbranch_vccz .LBB79_100
	s_branch .LBB79_104
.LBB79_103:                             ;   in Loop: Header=BB79_84 Depth=1
	v_mov_b32_e32 v86, 0
.LBB79_104:                             ;   in Loop: Header=BB79_84 Depth=1
	s_waitcnt vmcnt(0)
	ds_write_b32 v84, v86 offset:1120
	v_mov_b32_e32 v86, 0
	s_andn2_b64 vcc, exec, s[24:25]
	v_mov_b32_e32 v0, 0
	s_cbranch_vccnz .LBB79_107
; %bb.105:                              ;   in Loop: Header=BB79_84 Depth=1
	ds_read_b32 v0, v83 offset:20
	s_waitcnt lgkmcnt(0)
	v_cmp_gt_i32_e32 vcc, 0, v0
	s_cbranch_vccnz .LBB79_110
; %bb.106:                              ;   in Loop: Header=BB79_84 Depth=1
	v_mul_lo_u32 v0, v0, s57
	s_mul_i32 s49, s52, 5
	v_add_u32_e32 v0, s49, v0
	v_add_u32_e32 v88, v0, v82
	v_ashrrev_i32_e32 v89, 31, v88
	v_lshl_add_u64 v[88:89], v[88:89], 2, v[6:7]
	global_load_dword v0, v[88:89], off
.LBB79_107:                             ;   in Loop: Header=BB79_84 Depth=1
	s_andn2_b64 vcc, exec, s[26:27]
	s_waitcnt vmcnt(0)
	ds_write_b32 v84, v0 offset:1384
	s_cbranch_vccnz .LBB79_112
.LBB79_108:                             ;   in Loop: Header=BB79_84 Depth=1
	ds_read_b32 v0, v83 offset:24
	s_waitcnt lgkmcnt(0)
	v_cmp_gt_i32_e32 vcc, 0, v0
	s_cbranch_vccnz .LBB79_111
; %bb.109:                              ;   in Loop: Header=BB79_84 Depth=1
	v_mul_lo_u32 v0, v0, s57
	s_mul_i32 s49, s52, 6
	v_add_u32_e32 v0, s49, v0
	v_add_u32_e32 v86, v0, v82
	v_ashrrev_i32_e32 v87, 31, v86
	v_lshl_add_u64 v[86:87], v[86:87], 2, v[6:7]
	global_load_dword v86, v[86:87], off
	s_branch .LBB79_112
.LBB79_110:                             ;   in Loop: Header=BB79_84 Depth=1
	v_mov_b32_e32 v0, 0
	s_andn2_b64 vcc, exec, s[26:27]
	ds_write_b32 v84, v0 offset:1384
	s_cbranch_vccz .LBB79_108
	s_branch .LBB79_112
.LBB79_111:                             ;   in Loop: Header=BB79_84 Depth=1
	v_mov_b32_e32 v86, 0
.LBB79_112:                             ;   in Loop: Header=BB79_84 Depth=1
	s_waitcnt vmcnt(0)
	ds_write_b32 v84, v86 offset:1648
	v_mov_b32_e32 v86, 0
	s_andn2_b64 vcc, exec, s[28:29]
	v_mov_b32_e32 v0, 0
	s_cbranch_vccnz .LBB79_115
; %bb.113:                              ;   in Loop: Header=BB79_84 Depth=1
	ds_read_b32 v0, v83 offset:28
	s_waitcnt lgkmcnt(0)
	v_cmp_gt_i32_e32 vcc, 0, v0
	s_cbranch_vccnz .LBB79_118
; %bb.114:                              ;   in Loop: Header=BB79_84 Depth=1
	v_mul_lo_u32 v0, v0, s57
	s_mul_i32 s49, s52, 7
	v_add_u32_e32 v0, s49, v0
	v_add_u32_e32 v88, v0, v82
	v_ashrrev_i32_e32 v89, 31, v88
	v_lshl_add_u64 v[88:89], v[88:89], 2, v[6:7]
	global_load_dword v0, v[88:89], off
.LBB79_115:                             ;   in Loop: Header=BB79_84 Depth=1
	s_andn2_b64 vcc, exec, s[30:31]
	s_waitcnt vmcnt(0)
	ds_write_b32 v84, v0 offset:1912
	s_cbranch_vccnz .LBB79_120
.LBB79_116:                             ;   in Loop: Header=BB79_84 Depth=1
	ds_read_b32 v0, v83 offset:32
	s_waitcnt lgkmcnt(0)
	v_cmp_gt_i32_e32 vcc, 0, v0
	s_cbranch_vccnz .LBB79_119
; %bb.117:                              ;   in Loop: Header=BB79_84 Depth=1
	v_mul_lo_u32 v0, v0, s57
	v_add_u32_e32 v0, s59, v0
	v_add_u32_e32 v86, v0, v82
	v_ashrrev_i32_e32 v87, 31, v86
	v_lshl_add_u64 v[86:87], v[86:87], 2, v[6:7]
	global_load_dword v86, v[86:87], off
	s_branch .LBB79_120
.LBB79_118:                             ;   in Loop: Header=BB79_84 Depth=1
	v_mov_b32_e32 v0, 0
	s_andn2_b64 vcc, exec, s[30:31]
	ds_write_b32 v84, v0 offset:1912
	s_cbranch_vccz .LBB79_116
	s_branch .LBB79_120
.LBB79_119:                             ;   in Loop: Header=BB79_84 Depth=1
	v_mov_b32_e32 v86, 0
.LBB79_120:                             ;   in Loop: Header=BB79_84 Depth=1
	s_waitcnt vmcnt(0)
	ds_write_b32 v84, v86 offset:2176
	v_mov_b32_e32 v86, 0
	s_andn2_b64 vcc, exec, s[34:35]
	v_mov_b32_e32 v0, 0
	s_cbranch_vccnz .LBB79_123
; %bb.121:                              ;   in Loop: Header=BB79_84 Depth=1
	ds_read_b32 v0, v83 offset:36
	s_waitcnt lgkmcnt(0)
	v_cmp_gt_i32_e32 vcc, 0, v0
	s_cbranch_vccnz .LBB79_126
; %bb.122:                              ;   in Loop: Header=BB79_84 Depth=1
	v_mul_lo_u32 v0, v0, s57
	s_mul_i32 s49, s52, 9
	v_add_u32_e32 v0, s49, v0
	v_add_u32_e32 v88, v0, v82
	v_ashrrev_i32_e32 v89, 31, v88
	v_lshl_add_u64 v[88:89], v[88:89], 2, v[6:7]
	global_load_dword v0, v[88:89], off
.LBB79_123:                             ;   in Loop: Header=BB79_84 Depth=1
	s_andn2_b64 vcc, exec, s[36:37]
	s_waitcnt vmcnt(0)
	ds_write_b32 v84, v0 offset:2440
	s_cbranch_vccnz .LBB79_128
.LBB79_124:                             ;   in Loop: Header=BB79_84 Depth=1
	ds_read_b32 v0, v83 offset:40
	s_waitcnt lgkmcnt(0)
	v_cmp_gt_i32_e32 vcc, 0, v0
	s_cbranch_vccnz .LBB79_127
; %bb.125:                              ;   in Loop: Header=BB79_84 Depth=1
	v_mul_lo_u32 v0, v0, s57
	s_mul_i32 s49, s52, 10
	v_add_u32_e32 v0, s49, v0
	v_add_u32_e32 v86, v0, v82
	v_ashrrev_i32_e32 v87, 31, v86
	v_lshl_add_u64 v[86:87], v[86:87], 2, v[6:7]
	global_load_dword v86, v[86:87], off
	s_branch .LBB79_128
.LBB79_126:                             ;   in Loop: Header=BB79_84 Depth=1
	v_mov_b32_e32 v0, 0
	s_andn2_b64 vcc, exec, s[36:37]
	ds_write_b32 v84, v0 offset:2440
	s_cbranch_vccz .LBB79_124
	s_branch .LBB79_128
.LBB79_127:                             ;   in Loop: Header=BB79_84 Depth=1
	v_mov_b32_e32 v86, 0
.LBB79_128:                             ;   in Loop: Header=BB79_84 Depth=1
	s_waitcnt vmcnt(0)
	ds_write_b32 v84, v86 offset:2704
	v_mov_b32_e32 v0, 0
	s_andn2_b64 vcc, exec, s[38:39]
	v_mov_b32_e32 v86, 0
	s_cbranch_vccnz .LBB79_131
; %bb.129:                              ;   in Loop: Header=BB79_84 Depth=1
	ds_read_b32 v86, v83 offset:44
	s_waitcnt lgkmcnt(0)
	v_cmp_gt_i32_e32 vcc, 0, v86
	s_cbranch_vccnz .LBB79_134
; %bb.130:                              ;   in Loop: Header=BB79_84 Depth=1
	v_mul_lo_u32 v86, v86, s57
	s_mul_i32 s49, s52, 11
	v_add_u32_e32 v86, s49, v86
	v_add_u32_e32 v86, v86, v82
	v_ashrrev_i32_e32 v87, 31, v86
	v_lshl_add_u64 v[86:87], v[86:87], 2, v[6:7]
	global_load_dword v86, v[86:87], off
.LBB79_131:                             ;   in Loop: Header=BB79_84 Depth=1
	s_andn2_b64 vcc, exec, s[40:41]
	s_waitcnt vmcnt(0)
	ds_write_b32 v84, v86 offset:2968
	s_cbranch_vccnz .LBB79_83
.LBB79_132:                             ;   in Loop: Header=BB79_84 Depth=1
	ds_read_b32 v0, v83 offset:48
	s_waitcnt lgkmcnt(0)
	v_cmp_gt_i32_e32 vcc, 0, v0
	s_cbranch_vccz .LBB79_82
; %bb.133:                              ;   in Loop: Header=BB79_84 Depth=1
	v_mov_b32_e32 v0, 0
	s_branch .LBB79_83
.LBB79_134:                             ;   in Loop: Header=BB79_84 Depth=1
	v_mov_b32_e32 v86, 0
	s_andn2_b64 vcc, exec, s[40:41]
	ds_write_b32 v84, v86 offset:2968
	s_cbranch_vccnz .LBB79_83
	s_branch .LBB79_132
.LBB79_135:
	s_or_b64 exec, exec, s[50:51]
	v_readlane_b32 s30, v95, 16
	v_readlane_b32 s36, v95, 20
	;; [unrolled: 1-line block ×8, first 2 shown]
.LBB79_136:
	v_readlane_b32 s0, v95, 14
	v_readlane_b32 s1, v95, 15
	s_or_b64 exec, exec, s[0:1]
	v_mov_b32_e32 v0, 0x100
	v_lshl_add_u32 v8, v80, 2, v0
	v_mul_u32_u24_e32 v1, 0x208, v81
	v_and_b32_e32 v4, 0x3f0, v2
	v_add3_u32 v1, v8, v1, v4
	v_accvgpr_read_b32 v4, a13
	v_accvgpr_read_b32 v5, a12
	s_waitcnt lgkmcnt(0)
	s_barrier
	ds_write2_b32 v1, v5, v4 offset0:16 offset1:17
	v_accvgpr_read_b32 v4, a15
	v_accvgpr_read_b32 v5, a14
	ds_write2_b32 v1, v5, v4 offset0:18 offset1:19
	v_accvgpr_read_b32 v4, a9
	v_accvgpr_read_b32 v5, a8
	;; [unrolled: 3-line block ×5, first 2 shown]
	s_movk_i32 s0, 0x208
	ds_write2_b32 v1, v5, v4 offset0:50 offset1:51
	v_accvgpr_read_b32 v4, a1
	v_accvgpr_read_b32 v5, a0
	v_lshl_add_u32 v6, v2, 2, v0
	ds_write2_b32 v1, v5, v4 offset0:64 offset1:65
	v_accvgpr_read_b32 v4, a3
	v_accvgpr_read_b32 v5, a2
	v_mad_u32_u24 v0, v74, s0, v6
	ds_write2_b32 v1, v5, v4 offset0:66 offset1:67
	s_waitcnt lgkmcnt(0)
	s_barrier
	ds_read2_b32 v[4:5], v0 offset0:16 offset1:80
	v_cmp_gt_u32_e32 vcc, 13, v74
	v_mov_b32_e32 v9, -1
	s_and_saveexec_b64 s[0:1], vcc
; %bb.137:
	s_movk_i32 s2, 0xff04
	v_mad_i32_i24 v0, v74, s2, v8
	ds_read_b32 v9, v0
; %bb.138:
	s_or_b64 exec, exec, s[0:1]
	s_mul_hi_i32 s1, s38, s28
	s_mul_i32 s0, s38, s28
	s_lshl_b64 s[0:1], s[0:1], 2
	v_readlane_b32 s2, v95, 12
	v_mul_hi_i32 v1, v3, s53
	v_mul_lo_u32 v0, v3, s53
	v_readlane_b32 s3, v95, 13
	s_add_u32 s0, s2, s0
	s_addc_u32 s1, s3, s1
	v_lshlrev_b64 v[0:1], 2, v[0:1]
	s_waitcnt lgkmcnt(0)
	v_cmp_lt_i32_e32 vcc, -1, v9
	v_mul_u32_u24_e32 v10, 0x208, v74
	v_add_u32_e32 v7, s7, v2
	v_lshl_add_u64 v[0:1], s[0:1], 0, v[0:1]
	s_and_b64 s[2:3], vcc, s[30:31]
	s_and_saveexec_b64 s[0:1], s[2:3]
	s_cbranch_execz .LBB79_140
; %bb.139:
	v_add_f32_e32 v2, 0, v4
	v_add_f32_e32 v4, v2, v5
	v_mul_lo_u32 v2, v9, s58
	v_mul_lo_u32 v3, v74, s53
	v_add3_u32 v2, v7, v3, v2
	v_mov_b32_e32 v3, 0
	v_lshl_add_u64 v[2:3], v[2:3], 2, v[0:1]
	global_store_dword v[2:3], v4, off
.LBB79_140:
	s_or_b64 exec, exec, s[0:1]
	v_add_u32_e32 v4, v10, v6
	v_add_u32_e32 v2, 0x50, v4
	ds_read2st64_b32 v[2:3], v2 offset0:4 offset1:5
	v_cmp_gt_u32_e32 vcc, 11, v74
	v_mov_b32_e32 v5, -1
	s_and_saveexec_b64 s[0:1], vcc
; %bb.141:
	s_movk_i32 s2, 0xff04
	v_mad_i32_i24 v5, v74, s2, v8
	ds_read_b32 v5, v5 offset:8
; %bb.142:
	s_or_b64 exec, exec, s[0:1]
	v_readlane_b32 s0, v95, 0
	s_waitcnt lgkmcnt(0)
	v_cmp_lt_i32_e32 vcc, -1, v5
	v_readlane_b32 s1, v95, 1
	s_and_b64 s[2:3], vcc, s[0:1]
	s_and_saveexec_b64 s[0:1], s[2:3]
	s_cbranch_execz .LBB79_144
; %bb.143:
	v_add_f32_e32 v2, 0, v2
	v_add_f32_e32 v8, v2, v3
	v_mul_lo_u32 v2, v5, s58
	v_mul_lo_u32 v3, v75, s53
	v_add3_u32 v2, v7, v3, v2
	v_mov_b32_e32 v3, 0
	v_lshl_add_u64 v[2:3], v[2:3], 2, v[0:1]
	global_store_dword v[2:3], v8, off
.LBB79_144:
	s_or_b64 exec, exec, s[0:1]
	v_add_u32_e32 v2, 0x60, v4
	ds_read2st64_b32 v[2:3], v2 offset0:8 offset1:9
	v_cmp_gt_u32_e32 vcc, 9, v74
	v_mov_b32_e32 v5, -1
	s_and_saveexec_b64 s[0:1], vcc
; %bb.145:
	v_mov_b32_e32 v5, 0x100
	v_lshl_add_u32 v5, v74, 2, v5
	ds_read_b32 v5, v5 offset:16
; %bb.146:
	s_or_b64 exec, exec, s[0:1]
	v_readlane_b32 s0, v95, 2
	s_waitcnt lgkmcnt(0)
	v_cmp_lt_i32_e32 vcc, -1, v5
	v_readlane_b32 s1, v95, 3
	s_and_b64 s[2:3], vcc, s[0:1]
	s_and_saveexec_b64 s[0:1], s[2:3]
	s_cbranch_execz .LBB79_148
; %bb.147:
	v_add_f32_e32 v2, 0, v2
	v_add_f32_e32 v8, v2, v3
	v_mul_lo_u32 v2, v5, s58
	v_mul_lo_u32 v3, v76, s53
	v_add3_u32 v2, v7, v3, v2
	v_mov_b32_e32 v3, 0
	v_lshl_add_u64 v[2:3], v[2:3], 2, v[0:1]
	global_store_dword v[2:3], v8, off
.LBB79_148:
	s_or_b64 exec, exec, s[0:1]
	v_add_u32_e32 v2, 0x70, v4
	ds_read2st64_b32 v[2:3], v2 offset0:12 offset1:13
	v_cmp_gt_u32_e32 vcc, 7, v74
	v_mov_b32_e32 v5, -1
	s_and_saveexec_b64 s[0:1], vcc
; %bb.149:
	v_mov_b32_e32 v5, 0x100
	v_lshl_add_u32 v5, v74, 2, v5
	;; [unrolled: 29-line block ×4, first 2 shown]
	ds_read_b32 v4, v4 offset:40
; %bb.158:
	s_or_b64 exec, exec, s[0:1]
	v_readlane_b32 s0, v95, 8
	s_waitcnt lgkmcnt(0)
	v_cmp_lt_i32_e32 vcc, -1, v4
	v_readlane_b32 s1, v95, 9
	s_and_b64 s[2:3], vcc, s[0:1]
	s_and_saveexec_b64 s[0:1], s[2:3]
	s_cbranch_execz .LBB79_160
; %bb.159:
	v_add_f32_e32 v2, 0, v2
	v_add_f32_e32 v5, v2, v3
	v_mul_lo_u32 v2, v4, s58
	v_mul_lo_u32 v3, v79, s53
	v_add3_u32 v2, v7, v3, v2
	v_mov_b32_e32 v3, 0
	v_lshl_add_u64 v[2:3], v[2:3], 2, v[0:1]
	global_store_dword v[2:3], v5, off
.LBB79_160:
	s_or_b64 exec, exec, s[0:1]
	v_cmp_eq_u32_e32 vcc, 0, v74
	s_and_saveexec_b64 s[0:1], vcc
	s_cbranch_execz .LBB79_163
; %bb.161:
	v_mov_b32_e32 v2, 0x100
	ds_read_b32 v2, v2 offset:48
	v_readlane_b32 s2, v95, 10
	v_readlane_b32 s3, v95, 11
	s_waitcnt lgkmcnt(0)
	v_readfirstlane_b32 s0, v2
	s_cmp_gt_i32 s0, -1
	s_cselect_b64 s[0:1], -1, 0
	s_and_b64 s[0:1], s[0:1], s[2:3]
	s_and_b64 exec, exec, s[0:1]
	s_cbranch_execz .LBB79_163
; %bb.162:
	v_add_u32_e32 v3, 0xa0, v6
	ds_read2st64_b32 v[4:5], v3 offset0:24 offset1:25
	v_mul_lo_u32 v2, v2, s58
	s_mul_i32 s0, s53, 12
	v_add_u32_e32 v2, s0, v2
	v_add_u32_e32 v2, v2, v7
	s_waitcnt lgkmcnt(0)
	v_add_f32_e32 v3, 0, v4
	v_add_f32_e32 v4, v3, v5
	v_mov_b32_e32 v3, 0
	v_lshl_add_u64 v[0:1], v[2:3], 2, v[0:1]
	global_store_dword v[0:1], v4, off
.LBB79_163:
	s_endpgm
	.section	.rodata,"a",@progbits
	.p2align	6, 0x0
	.amdhsa_kernel _ZL9mul_mat_fIfLi64ELi13ELi2ELb1EEvPKT_PKfPKiPfiiiiiiiiiiiiiiii
		.amdhsa_group_segment_fixed_size 256
		.amdhsa_private_segment_fixed_size 0
		.amdhsa_kernarg_size 352
		.amdhsa_user_sgpr_count 2
		.amdhsa_user_sgpr_dispatch_ptr 0
		.amdhsa_user_sgpr_queue_ptr 0
		.amdhsa_user_sgpr_kernarg_segment_ptr 1
		.amdhsa_user_sgpr_dispatch_id 0
		.amdhsa_user_sgpr_kernarg_preload_length 0
		.amdhsa_user_sgpr_kernarg_preload_offset 0
		.amdhsa_user_sgpr_private_segment_size 0
		.amdhsa_uses_dynamic_stack 0
		.amdhsa_enable_private_segment 0
		.amdhsa_system_sgpr_workgroup_id_x 1
		.amdhsa_system_sgpr_workgroup_id_y 1
		.amdhsa_system_sgpr_workgroup_id_z 1
		.amdhsa_system_sgpr_workgroup_info 0
		.amdhsa_system_vgpr_workitem_id 2
		.amdhsa_next_free_vgpr 112
		.amdhsa_next_free_sgpr 100
		.amdhsa_accum_offset 96
		.amdhsa_reserve_vcc 1
		.amdhsa_float_round_mode_32 0
		.amdhsa_float_round_mode_16_64 0
		.amdhsa_float_denorm_mode_32 3
		.amdhsa_float_denorm_mode_16_64 3
		.amdhsa_dx10_clamp 1
		.amdhsa_ieee_mode 1
		.amdhsa_fp16_overflow 0
		.amdhsa_tg_split 0
		.amdhsa_exception_fp_ieee_invalid_op 0
		.amdhsa_exception_fp_denorm_src 0
		.amdhsa_exception_fp_ieee_div_zero 0
		.amdhsa_exception_fp_ieee_overflow 0
		.amdhsa_exception_fp_ieee_underflow 0
		.amdhsa_exception_fp_ieee_inexact 0
		.amdhsa_exception_int_div_zero 0
	.end_amdhsa_kernel
	.section	.text._ZL9mul_mat_fIfLi64ELi13ELi2ELb1EEvPKT_PKfPKiPfiiiiiiiiiiiiiiii,"axG",@progbits,_ZL9mul_mat_fIfLi64ELi13ELi2ELb1EEvPKT_PKfPKiPfiiiiiiiiiiiiiiii,comdat
.Lfunc_end79:
	.size	_ZL9mul_mat_fIfLi64ELi13ELi2ELb1EEvPKT_PKfPKiPfiiiiiiiiiiiiiiii, .Lfunc_end79-_ZL9mul_mat_fIfLi64ELi13ELi2ELb1EEvPKT_PKfPKiPfiiiiiiiiiiiiiiii
                                        ; -- End function
	.set _ZL9mul_mat_fIfLi64ELi13ELi2ELb1EEvPKT_PKfPKiPfiiiiiiiiiiiiiiii.num_vgpr, 96
	.set _ZL9mul_mat_fIfLi64ELi13ELi2ELb1EEvPKT_PKfPKiPfiiiiiiiiiiiiiiii.num_agpr, 16
	.set _ZL9mul_mat_fIfLi64ELi13ELi2ELb1EEvPKT_PKfPKiPfiiiiiiiiiiiiiiii.numbered_sgpr, 100
	.set _ZL9mul_mat_fIfLi64ELi13ELi2ELb1EEvPKT_PKfPKiPfiiiiiiiiiiiiiiii.num_named_barrier, 0
	.set _ZL9mul_mat_fIfLi64ELi13ELi2ELb1EEvPKT_PKfPKiPfiiiiiiiiiiiiiiii.private_seg_size, 0
	.set _ZL9mul_mat_fIfLi64ELi13ELi2ELb1EEvPKT_PKfPKiPfiiiiiiiiiiiiiiii.uses_vcc, 1
	.set _ZL9mul_mat_fIfLi64ELi13ELi2ELb1EEvPKT_PKfPKiPfiiiiiiiiiiiiiiii.uses_flat_scratch, 0
	.set _ZL9mul_mat_fIfLi64ELi13ELi2ELb1EEvPKT_PKfPKiPfiiiiiiiiiiiiiiii.has_dyn_sized_stack, 0
	.set _ZL9mul_mat_fIfLi64ELi13ELi2ELb1EEvPKT_PKfPKiPfiiiiiiiiiiiiiiii.has_recursion, 0
	.set _ZL9mul_mat_fIfLi64ELi13ELi2ELb1EEvPKT_PKfPKiPfiiiiiiiiiiiiiiii.has_indirect_call, 0
	.section	.AMDGPU.csdata,"",@progbits
; Kernel info:
; codeLenInByte = 9808
; TotalNumSgprs: 106
; NumVgprs: 96
; NumAgprs: 16
; TotalNumVgprs: 112
; ScratchSize: 0
; MemoryBound: 0
; FloatMode: 240
; IeeeMode: 1
; LDSByteSize: 256 bytes/workgroup (compile time only)
; SGPRBlocks: 13
; VGPRBlocks: 13
; NumSGPRsForWavesPerEU: 106
; NumVGPRsForWavesPerEU: 112
; AccumOffset: 96
; Occupancy: 4
; WaveLimiterHint : 0
; COMPUTE_PGM_RSRC2:SCRATCH_EN: 0
; COMPUTE_PGM_RSRC2:USER_SGPR: 2
; COMPUTE_PGM_RSRC2:TRAP_HANDLER: 0
; COMPUTE_PGM_RSRC2:TGID_X_EN: 1
; COMPUTE_PGM_RSRC2:TGID_Y_EN: 1
; COMPUTE_PGM_RSRC2:TGID_Z_EN: 1
; COMPUTE_PGM_RSRC2:TIDIG_COMP_CNT: 2
; COMPUTE_PGM_RSRC3_GFX90A:ACCUM_OFFSET: 23
; COMPUTE_PGM_RSRC3_GFX90A:TG_SPLIT: 0
	.section	.text._ZL9mul_mat_fIfLi64ELi13ELi2ELb0EEvPKT_PKfPKiPfiiiiiiiiiiiiiiii,"axG",@progbits,_ZL9mul_mat_fIfLi64ELi13ELi2ELb0EEvPKT_PKfPKiPfiiiiiiiiiiiiiiii,comdat
	.globl	_ZL9mul_mat_fIfLi64ELi13ELi2ELb0EEvPKT_PKfPKiPfiiiiiiiiiiiiiiii ; -- Begin function _ZL9mul_mat_fIfLi64ELi13ELi2ELb0EEvPKT_PKfPKiPfiiiiiiiiiiiiiiii
	.p2align	8
	.type	_ZL9mul_mat_fIfLi64ELi13ELi2ELb0EEvPKT_PKfPKiPfiiiiiiiiiiiiiiii,@function
_ZL9mul_mat_fIfLi64ELi13ELi2ELb0EEvPKT_PKfPKiPfiiiiiiiiiiiiiiii: ; @_ZL9mul_mat_fIfLi64ELi13ELi2ELb0EEvPKT_PKfPKiPfiiiiiiiiiiiiiiii
; %bb.0:
	s_load_dword s5, s[0:1], 0x20
	s_load_dwordx4 s[16:19], s[0:1], 0x2c
	v_bfe_u32 v78, v0, 10, 10
	v_lshlrev_b32_e32 v80, 6, v78
	v_and_b32_e32 v79, 0x3ff, v0
	v_add_u32_e32 v82, v80, v79
	s_waitcnt lgkmcnt(0)
	s_ashr_i32 s19, s4, 31
	v_cmp_le_i32_e32 vcc, s5, v82
	v_and_b32_e32 v81, 15, v79
	s_and_saveexec_b64 s[6:7], vcc
	s_xor_b64 s[6:7], exec, s[6:7]
; %bb.1:
	v_and_b32_e32 v81, 15, v79
                                        ; implicit-def: $vgpr82
; %bb.2:
	s_or_saveexec_b64 s[24:25], s[6:7]
	s_load_dwordx8 s[8:15], s[0:1], 0x40
	s_load_dwordx2 s[6:7], s[0:1], 0x18
	s_lshl_b32 s2, s2, 6
	v_mov_b32_e32 v1, 0
	v_accvgpr_write_b32 a0, 0
	v_accvgpr_write_b32 a1, 0
	;; [unrolled: 1-line block ×16, first 2 shown]
	s_xor_b64 exec, exec, s[24:25]
	s_cbranch_execz .LBB80_6
; %bb.3:
	s_waitcnt lgkmcnt(0)
	s_abs_i32 s26, s8
	v_cvt_f32_u32_e32 v0, s26
	s_abs_i32 s27, s12
	v_cvt_f32_u32_e32 v2, s27
	s_sub_i32 s20, 0, s26
	v_rcp_iflag_f32_e32 v0, v0
	s_abs_i32 s28, s3
	v_rcp_iflag_f32_e32 v2, v2
	s_sub_i32 s21, 0, s27
	v_mul_f32_e32 v0, 0x4f7ffffe, v0
	v_cvt_u32_f32_e32 v0, v0
	v_mul_f32_e32 v2, 0x4f7ffffe, v2
	v_cvt_u32_f32_e32 v2, v2
	s_abs_i32 s29, s4
	v_mul_lo_u32 v3, s20, v0
	v_mul_hi_u32 v3, v0, v3
	v_add_u32_e32 v0, v0, v3
	v_mul_hi_u32 v0, s28, v0
	v_mul_lo_u32 v4, s21, v2
	v_mul_lo_u32 v3, v0, s26
	v_mul_hi_u32 v4, v2, v4
	v_sub_u32_e32 v3, s28, v3
	v_add_u32_e32 v2, v2, v4
	v_subrev_u32_e32 v5, s26, v3
	v_cmp_le_u32_e32 vcc, s26, v3
	v_mul_hi_u32 v2, s29, v2
	v_add_u32_e32 v4, 1, v0
	v_cndmask_b32_e32 v3, v3, v5, vcc
	v_cndmask_b32_e32 v0, v0, v4, vcc
	v_cmp_le_u32_e32 vcc, s26, v3
	v_mul_lo_u32 v3, v2, s27
	s_load_dwordx4 s[20:23], s[0:1], 0x0
	s_ashr_i32 s0, s3, 31
	s_ashr_i32 s1, s8, 31
	v_add_u32_e32 v4, 1, v0
	v_sub_u32_e32 v3, s29, v3
	s_xor_b32 s0, s0, s1
	v_cndmask_b32_e32 v0, v0, v4, vcc
	v_add_u32_e32 v4, 1, v2
	v_subrev_u32_e32 v5, s27, v3
	v_cmp_le_u32_e32 vcc, s27, v3
	v_xor_b32_e32 v0, s0, v0
	s_ashr_i32 s8, s12, 31
	v_cndmask_b32_e32 v2, v2, v4, vcc
	v_cndmask_b32_e32 v3, v3, v5, vcc
	v_subrev_u32_e32 v0, s0, v0
	v_add_u32_e32 v4, 1, v2
	v_cmp_le_u32_e32 vcc, s27, v3
	s_xor_b32 s0, s19, s8
	s_mul_i32 s8, s14, s4
	v_cndmask_b32_e32 v2, v2, v4, vcc
	v_mul_lo_u32 v4, v0, s9
	s_mul_hi_i32 s9, s14, s4
	v_xor_b32_e32 v2, s0, v2
	s_lshl_b64 s[8:9], s[8:9], 2
	v_subrev_u32_e32 v2, s0, v2
	s_mul_i32 s0, s16, s2
	s_mul_i32 s26, s10, s3
	s_waitcnt lgkmcnt(0)
	s_add_u32 s10, s22, s8
	s_addc_u32 s14, s23, s9
	s_ashr_i32 s1, s0, 31
	s_ashr_i32 s27, s26, 31
	v_mul_hi_i32 v3, v2, s13
	v_mul_lo_u32 v2, v2, s13
	s_lshl_b64 s[12:13], s[0:1], 2
	s_lshl_b64 s[26:27], s[26:27], 2
	s_add_u32 s0, s10, s26
	s_addc_u32 s1, s14, s27
	s_movk_i32 s10, 0x1080
	s_ashr_i32 s31, s16, 31
	s_mov_b32 s30, s16
	s_ashr_i32 s29, s17, 31
	s_mov_b32 s28, s17
	v_ashrrev_i32_e32 v5, 31, v4
	v_lshlrev_b64 v[8:9], 2, v[2:3]
	v_mad_u32_u24 v6, v78, s10, 0
	s_add_i32 s10, s16, s16
	s_add_i32 s14, s17, s17
	s_lshl_b32 s33, s17, 2
	s_lshl_b32 s37, s17, 3
	;; [unrolled: 1-line block ×6, first 2 shown]
	s_lshl_b64 s[30:31], s[30:31], 2
	s_lshl_b64 s[72:73], s[28:29], 2
	v_lshl_add_u64 v[2:3], s[20:21], 0, v[8:9]
	v_lshlrev_b64 v[4:5], 2, v[4:5]
	v_lshrrev_b32_e32 v10, 1, v79
	s_add_u32 s76, s22, s26
	v_lshl_add_u64 v[2:3], v[2:3], 0, v[4:5]
	v_lshlrev_b32_e32 v0, 2, v79
	v_mul_u32_u24_e32 v7, 0x108, v81
	v_and_b32_e32 v10, 0x1f8, v10
	s_addc_u32 s77, s23, s27
	v_lshl_add_u64 v[4:5], s[20:21], 0, v[4:5]
	v_lshlrev_b32_e32 v14, 8, v78
	v_mov_b32_e32 v15, v1
	v_add_u32_e32 v83, v6, v0
	v_add3_u32 v84, v6, v7, v10
	v_lshl_add_u64 v[10:11], v[4:5], 0, s[12:13]
	v_lshl_add_u64 v[6:7], s[8:9], 0, v[14:15]
	s_add_u32 s8, s76, s72
	v_lshl_add_u64 v[12:13], v[10:11], 0, s[30:31]
	s_addc_u32 s9, s77, s73
	v_lshl_add_u64 v[14:15], v[8:9], 0, v[14:15]
	v_lshl_add_u64 v[2:3], v[2:3], 0, s[12:13]
	s_mul_i32 s19, s17, 3
	s_mul_i32 s34, s17, 5
	;; [unrolled: 1-line block ×47, first 2 shown]
	v_lshl_add_u64 v[4:5], s[8:9], 0, v[6:7]
	s_mul_i32 s74, s16, 46
	s_mul_i32 s75, s16, 47
	v_lshl_add_u64 v[6:7], s[76:77], 0, v[6:7]
	s_mul_i32 s76, s16, 48
	s_mul_i32 s77, s16, 49
	v_accvgpr_write_b32 a15, 0
	v_accvgpr_write_b32 a14, 0
	v_accvgpr_write_b32 a13, 0
	v_accvgpr_write_b32 a12, 0
	v_accvgpr_write_b32 a11, 0
	v_accvgpr_write_b32 a10, 0
	v_accvgpr_write_b32 a9, 0
	v_accvgpr_write_b32 a8, 0
	v_accvgpr_write_b32 a7, 0
	v_accvgpr_write_b32 a6, 0
	v_accvgpr_write_b32 a5, 0
	v_accvgpr_write_b32 a4, 0
	v_accvgpr_write_b32 a3, 0
	v_accvgpr_write_b32 a2, 0
	v_accvgpr_write_b32 a1, 0
	v_accvgpr_write_b32 a0, 0
	v_lshl_add_u64 v[8:9], v[12:13], 0, v[14:15]
	v_lshl_add_u64 v[10:11], v[10:11], 0, v[14:15]
	s_mul_i32 s78, s16, 50
	s_mul_i32 s79, s16, 51
	;; [unrolled: 1-line block ×14, first 2 shown]
	s_mov_b64 s[8:9], 0
	s_mov_b64 s[12:13], 0x200
.LBB80_4:                               ; =>This Inner Loop Header: Depth=1
	v_add_u32_e32 v52, s10, v82
	v_add_u32_e32 v56, s41, v82
	;; [unrolled: 1-line block ×9, first 2 shown]
	v_lshl_add_u64 v[58:59], v[10:11], 0, v[0:1]
	v_add_u32_e32 v54, s43, v82
	v_add_u32_e32 v50, s45, v82
	;; [unrolled: 1-line block ×7, first 2 shown]
	v_lshl_add_u64 v[90:91], v[6:7], 0, v[0:1]
	v_ashrrev_i32_e32 v53, 31, v52
	v_ashrrev_i32_e32 v57, 31, v56
	;; [unrolled: 1-line block ×9, first 2 shown]
	v_lshl_add_u64 v[60:61], v[8:9], 0, v[0:1]
	v_add_u32_e32 v20, s56, v82
	v_add_u32_e32 v28, s57, v82
	v_lshl_add_u64 v[92:93], v[4:5], 0, v[0:1]
	global_load_dword v87, v[58:59], off
	global_load_dword v88, v[60:61], off
	;; [unrolled: 1-line block ×4, first 2 shown]
	v_lshl_add_u64 v[52:53], v[52:53], 2, v[2:3]
	v_lshl_add_u64 v[90:91], v[56:57], 2, v[2:3]
	v_ashrrev_i32_e32 v55, 31, v54
	v_lshl_add_u64 v[48:49], v[48:49], 2, v[2:3]
	v_ashrrev_i32_e32 v51, 31, v50
	v_lshl_add_u64 v[44:45], v[44:45], 2, v[2:3]
	v_ashrrev_i32_e32 v47, 31, v46
	v_lshl_add_u64 v[40:41], v[40:41], 2, v[2:3]
	v_ashrrev_i32_e32 v43, 31, v42
	v_lshl_add_u64 v[36:37], v[36:37], 2, v[2:3]
	v_ashrrev_i32_e32 v39, 31, v38
	v_lshl_add_u64 v[30:31], v[30:31], 2, v[2:3]
	v_lshl_add_u64 v[24:25], v[24:25], 2, v[2:3]
	;; [unrolled: 1-line block ×3, first 2 shown]
	v_ashrrev_i32_e32 v27, 31, v26
	v_ashrrev_i32_e32 v35, 31, v34
	v_add_u32_e32 v16, s58, v82
	v_add_u32_e32 v22, s59, v82
	global_load_dword v56, v[52:53], off
	global_load_dword v57, v[90:91], off
	v_lshl_add_u64 v[90:91], v[54:55], 2, v[2:3]
	global_load_dword v54, v[48:49], off
	global_load_dword v55, v[90:91], off
	v_lshl_add_u64 v[50:51], v[50:51], 2, v[2:3]
	global_load_dword v44, v[44:45], off
	s_nop 0
	global_load_dword v45, v[50:51], off
	v_lshl_add_u64 v[46:47], v[46:47], 2, v[2:3]
	global_load_dword v40, v[40:41], off
	s_nop 0
	global_load_dword v41, v[46:47], off
	v_lshl_add_u64 v[42:43], v[42:43], 2, v[2:3]
	global_load_dword v36, v[36:37], off
	s_nop 0
	global_load_dword v37, v[42:43], off
	v_lshl_add_u64 v[38:39], v[38:39], 2, v[2:3]
	global_load_dword v30, v[30:31], off
	s_nop 0
	global_load_dword v31, v[38:39], off
	s_nop 0
	global_load_dword v24, v[24:25], off
	s_nop 0
	global_load_dword v25, v[32:33], off
	v_lshl_add_u64 v[26:27], v[26:27], 2, v[2:3]
	v_lshl_add_u64 v[32:33], v[34:35], 2, v[2:3]
	v_ashrrev_i32_e32 v21, 31, v20
	v_ashrrev_i32_e32 v29, 31, v28
	v_add_u32_e32 v14, s60, v82
	v_add_u32_e32 v18, s61, v82
	;; [unrolled: 1-line block ×4, first 2 shown]
	global_load_dword v26, v[26:27], off
	s_nop 0
	global_load_dword v27, v[32:33], off
	v_lshl_add_u64 v[20:21], v[20:21], 2, v[2:3]
	v_lshl_add_u64 v[32:33], v[28:29], 2, v[2:3]
	v_ashrrev_i32_e32 v17, 31, v16
	v_ashrrev_i32_e32 v23, 31, v22
	v_add_u32_e32 v68, s64, v82
	v_add_u32_e32 v74, s65, v82
	global_load_dword v28, v[20:21], off
	global_load_dword v29, v[32:33], off
	v_lshl_add_u64 v[16:17], v[16:17], 2, v[2:3]
	v_lshl_add_u64 v[32:33], v[22:23], 2, v[2:3]
	v_ashrrev_i32_e32 v15, 31, v14
	v_ashrrev_i32_e32 v19, 31, v18
	;; [unrolled: 1-line block ×4, first 2 shown]
	v_add_u32_e32 v66, s66, v82
	v_add_u32_e32 v72, s67, v82
	global_load_dword v22, v[16:17], off
	global_load_dword v23, v[32:33], off
	v_lshl_add_u64 v[14:15], v[14:15], 2, v[2:3]
	v_lshl_add_u64 v[18:19], v[18:19], 2, v[2:3]
	;; [unrolled: 1-line block ×4, first 2 shown]
	v_ashrrev_i32_e32 v69, 31, v68
	v_ashrrev_i32_e32 v75, 31, v74
	v_add_u32_e32 v64, s68, v82
	v_add_u32_e32 v70, s69, v82
	global_load_dword v14, v[14:15], off
	s_nop 0
	global_load_dword v15, v[18:19], off
	s_nop 0
	global_load_dword v18, v[12:13], off
	global_load_dword v19, v[32:33], off
	v_lshl_add_u64 v[32:33], v[68:69], 2, v[2:3]
	v_lshl_add_u64 v[38:39], v[74:75], 2, v[2:3]
	v_ashrrev_i32_e32 v67, 31, v66
	v_ashrrev_i32_e32 v73, 31, v72
	v_add_u32_e32 v62, s70, v82
	v_add_u32_e32 v60, s71, v82
	global_load_dword v32, v[32:33], off
	s_nop 0
	global_load_dword v33, v[38:39], off
	v_lshl_add_u64 v[38:39], v[66:67], 2, v[2:3]
	v_lshl_add_u64 v[42:43], v[72:73], 2, v[2:3]
	v_ashrrev_i32_e32 v65, 31, v64
	v_ashrrev_i32_e32 v71, 31, v70
	v_add_u32_e32 v58, s22, v82
	v_add_u32_e32 v48, s20, v82
	;; [unrolled: 1-line block ×3, first 2 shown]
	global_load_dword v38, v[38:39], off
	s_nop 0
	global_load_dword v39, v[42:43], off
	v_lshl_add_u64 v[42:43], v[64:65], 2, v[2:3]
	v_lshl_add_u64 v[46:47], v[70:71], 2, v[2:3]
	v_ashrrev_i32_e32 v63, 31, v62
	v_ashrrev_i32_e32 v61, 31, v60
	v_add_u32_e32 v52, s23, v82
	v_add_u32_e32 v92, s26, v82
	;; [unrolled: 1-line block ×3, first 2 shown]
	global_load_dword v42, v[42:43], off
	s_nop 0
	global_load_dword v43, v[46:47], off
	v_lshl_add_u64 v[46:47], v[62:63], 2, v[2:3]
	v_lshl_add_u64 v[50:51], v[60:61], 2, v[2:3]
	v_ashrrev_i32_e32 v59, 31, v58
	v_ashrrev_i32_e32 v49, 31, v48
	;; [unrolled: 1-line block ×3, first 2 shown]
	v_add_u32_e32 v96, s28, v82
	v_add_u32_e32 v34, s30, v82
	global_load_dword v46, v[46:47], off
	s_nop 0
	global_load_dword v47, v[50:51], off
	v_ashrrev_i32_e32 v53, 31, v52
	v_lshl_add_u64 v[50:51], v[58:59], 2, v[2:3]
	v_lshl_add_u64 v[48:49], v[48:49], 2, v[2:3]
	;; [unrolled: 1-line block ×3, first 2 shown]
	v_ashrrev_i32_e32 v93, 31, v92
	v_ashrrev_i32_e32 v95, 31, v94
	v_add_u32_e32 v98, s29, v82
	v_add_u32_e32 v20, s31, v82
	;; [unrolled: 1-line block ×4, first 2 shown]
	v_lshl_add_u64 v[52:53], v[52:53], 2, v[2:3]
	global_load_dword v50, v[50:51], off
	s_nop 0
	global_load_dword v51, v[52:53], off
	global_load_dword v72, v[48:49], off
	;; [unrolled: 1-line block ×3, first 2 shown]
	v_lshl_add_u64 v[58:59], v[92:93], 2, v[2:3]
	v_lshl_add_u64 v[62:63], v[94:95], 2, v[2:3]
	v_ashrrev_i32_e32 v97, 31, v96
	v_ashrrev_i32_e32 v35, 31, v34
	v_add_u32_e32 v12, s74, v82
	v_add_u32_e32 v68, s75, v82
	global_load_dword v74, v[58:59], off
	global_load_dword v75, v[62:63], off
	v_ashrrev_i32_e32 v99, 31, v98
	v_lshl_add_u64 v[62:63], v[96:97], 2, v[2:3]
	v_ashrrev_i32_e32 v21, 31, v20
	v_lshl_add_u64 v[34:35], v[34:35], 2, v[2:3]
	v_ashrrev_i32_e32 v17, 31, v16
	v_ashrrev_i32_e32 v101, 31, v100
	v_add_u32_e32 v66, s76, v82
	v_add_u32_e32 v64, s77, v82
	v_lshl_add_u64 v[70:71], v[98:99], 2, v[2:3]
	global_load_dword v76, v[62:63], off
	global_load_dword v77, v[70:71], off
	v_lshl_add_u64 v[20:21], v[20:21], 2, v[2:3]
	global_load_dword v89, v[34:35], off
	global_load_dword v90, v[20:21], off
	v_lshl_add_u64 v[16:17], v[16:17], 2, v[2:3]
	v_lshl_add_u64 v[34:35], v[100:101], 2, v[2:3]
	v_ashrrev_i32_e32 v13, 31, v12
	v_ashrrev_i32_e32 v69, 31, v68
	v_add_u32_e32 v60, s78, v82
	v_add_u32_e32 v52, s79, v82
	;; [unrolled: 1-line block ×4, first 2 shown]
	global_load_dword v91, v[16:17], off
	global_load_dword v92, v[34:35], off
	v_lshl_add_u64 v[12:13], v[12:13], 2, v[2:3]
	v_lshl_add_u64 v[34:35], v[68:69], 2, v[2:3]
	v_ashrrev_i32_e32 v67, 31, v66
	v_ashrrev_i32_e32 v65, 31, v64
	v_add_u32_e32 v62, s82, v82
	v_add_u32_e32 v20, s83, v82
	;; [unrolled: 1-line block ×3, first 2 shown]
	global_load_dword v68, v[12:13], off
	global_load_dword v69, v[34:35], off
	v_add_u32_e32 v12, s85, v82
	v_lshl_add_u64 v[34:35], v[66:67], 2, v[2:3]
	v_lshl_add_u64 v[64:65], v[64:65], 2, v[2:3]
	v_ashrrev_i32_e32 v61, 31, v60
	v_ashrrev_i32_e32 v53, 31, v52
	;; [unrolled: 1-line block ×4, first 2 shown]
	global_load_dword v93, v[34:35], off
	s_nop 0
	global_load_dword v64, v[64:65], off
	v_add_u32_e32 v34, s86, v82
	v_lshl_add_u64 v[60:61], v[60:61], 2, v[2:3]
	v_lshl_add_u64 v[52:53], v[52:53], 2, v[2:3]
	;; [unrolled: 1-line block ×4, first 2 shown]
	v_ashrrev_i32_e32 v63, 31, v62
	v_ashrrev_i32_e32 v21, 31, v20
	;; [unrolled: 1-line block ×4, first 2 shown]
	global_load_dword v65, v[60:61], off
	global_load_dword v94, v[52:53], off
	v_add_u32_e32 v52, s87, v82
	global_load_dword v95, v[48:49], off
	global_load_dword v96, v[58:59], off
	v_lshl_add_u64 v[58:59], v[62:63], 2, v[2:3]
	v_lshl_add_u64 v[20:21], v[20:21], 2, v[2:3]
	;; [unrolled: 1-line block ×4, first 2 shown]
	v_ashrrev_i32_e32 v35, 31, v34
	v_add_u32_e32 v48, s88, v82
	global_load_dword v97, v[58:59], off
	global_load_dword v98, v[20:21], off
	v_add_u32_e32 v20, s89, v82
	global_load_dword v99, v[16:17], off
	global_load_dword v100, v[12:13], off
	v_add_u32_e32 v12, s90, v82
	v_ashrrev_i32_e32 v53, 31, v52
	v_lshl_add_u64 v[16:17], v[34:35], 2, v[2:3]
	v_lshl_add_u64 v[34:35], v[52:53], 2, v[2:3]
	global_load_dword v52, v[16:17], off
	global_load_dword v53, v[34:35], off
	v_add_u32_e32 v16, s16, v82
	v_ashrrev_i32_e32 v49, 31, v48
	v_ashrrev_i32_e32 v21, 31, v20
	;; [unrolled: 1-line block ×3, first 2 shown]
	v_lshl_add_u64 v[34:35], v[48:49], 2, v[2:3]
	v_lshl_add_u64 v[20:21], v[20:21], 2, v[2:3]
	v_ashrrev_i32_e32 v17, 31, v16
	v_lshl_add_u64 v[12:13], v[12:13], 2, v[2:3]
	global_load_dword v101, v[34:35], off
	global_load_dword v102, v[20:21], off
	v_add_u32_e32 v20, s14, v82
	v_lshl_add_u64 v[16:17], v[16:17], 2, v[2:3]
	global_load_dword v103, v[12:13], off
	global_load_dword v104, v[16:17], off
	v_add_u32_e32 v12, s19, v82
	v_ashrrev_i32_e32 v21, 31, v20
	v_ashrrev_i32_e32 v13, 31, v12
	v_lshl_add_u64 v[16:17], v[20:21], 2, s[0:1]
	v_lshl_add_u64 v[12:13], v[12:13], 2, s[0:1]
	global_load_dword v105, v[16:17], off
	global_load_dword v106, v[12:13], off
	v_add_u32_e32 v12, s33, v82
	v_ashrrev_i32_e32 v13, 31, v12
	v_lshl_add_u64 v[12:13], v[12:13], 2, s[0:1]
	global_load_dword v107, v[12:13], off
	v_add_u32_e32 v12, s34, v82
	v_ashrrev_i32_e32 v13, 31, v12
	v_lshl_add_u64 v[12:13], v[12:13], 2, s[0:1]
	;; [unrolled: 4-line block ×9, first 2 shown]
	global_load_dword v115, v[12:13], off
	s_waitcnt vmcnt(62)
	ds_write_b32 v83, v87
	ds_write_b32 v83, v88 offset:264
	ds_write_b32 v83, v56 offset:528
	;; [unrolled: 1-line block ×12, first 2 shown]
	s_waitcnt vmcnt(61)
	ds_write_b32 v83, v31 offset:3432
	s_waitcnt vmcnt(60)
	ds_write_b32 v83, v24 offset:3696
	s_waitcnt vmcnt(59)
	ds_write_b32 v83, v25 offset:3960
	ds_read_b64 v[66:67], v84
	ds_read_b64 v[54:55], v84 offset:32
	ds_read_b64 v[48:49], v84 offset:64
	ds_read_b64 v[34:35], v84 offset:96
	ds_read_b64 v[30:31], v84 offset:128
	ds_read_b64 v[20:21], v84 offset:160
	ds_read_b64 v[16:17], v84 offset:192
	ds_read_b64 v[12:13], v84 offset:224
	s_waitcnt vmcnt(58)
	ds_write_b32 v83, v26
	s_waitcnt vmcnt(57)
	ds_write_b32 v83, v27 offset:264
	s_waitcnt vmcnt(56)
	ds_write_b32 v83, v28 offset:528
	s_waitcnt vmcnt(55)
	ds_write_b32 v83, v29 offset:792
	s_waitcnt vmcnt(54)
	ds_write_b32 v83, v22 offset:1056
	s_waitcnt vmcnt(53)
	ds_write_b32 v83, v23 offset:1320
	s_waitcnt vmcnt(52)
	ds_write_b32 v83, v14 offset:1584
	s_waitcnt vmcnt(51)
	ds_write_b32 v83, v15 offset:1848
	s_waitcnt vmcnt(50)
	ds_write_b32 v83, v18 offset:2112
	s_waitcnt vmcnt(49)
	ds_write_b32 v83, v19 offset:2376
	s_waitcnt vmcnt(48)
	ds_write_b32 v83, v32 offset:2640
	s_waitcnt vmcnt(47)
	ds_write_b32 v83, v33 offset:2904
	s_waitcnt vmcnt(46)
	ds_write_b32 v83, v38 offset:3168
	s_waitcnt vmcnt(45)
	ds_write_b32 v83, v39 offset:3432
	s_waitcnt vmcnt(44)
	ds_write_b32 v83, v42 offset:3696
	s_waitcnt vmcnt(43)
	ds_write_b32 v83, v43 offset:3960
	ds_read_b64 v[70:71], v84
	ds_read_b64 v[58:59], v84 offset:32
	ds_read_b64 v[56:57], v84 offset:64
	ds_read_b64 v[42:43], v84 offset:96
	ds_read_b64 v[38:39], v84 offset:128
	ds_read_b64 v[26:27], v84 offset:160
	ds_read_b64 v[24:25], v84 offset:192
	ds_read_b64 v[14:15], v84 offset:224
	s_waitcnt vmcnt(42)
	ds_write_b32 v83, v46
	s_waitcnt vmcnt(41)
	ds_write_b32 v83, v47 offset:264
	s_waitcnt vmcnt(40)
	ds_write_b32 v83, v50 offset:528
	s_waitcnt vmcnt(39)
	ds_write_b32 v83, v51 offset:792
	s_waitcnt vmcnt(38)
	ds_write_b32 v83, v72 offset:1056
	s_waitcnt vmcnt(37)
	ds_write_b32 v83, v73 offset:1320
	s_waitcnt vmcnt(36)
	ds_write_b32 v83, v74 offset:1584
	s_waitcnt vmcnt(35)
	ds_write_b32 v83, v75 offset:1848
	s_waitcnt vmcnt(34)
	ds_write_b32 v83, v76 offset:2112
	s_waitcnt vmcnt(33)
	ds_write_b32 v83, v77 offset:2376
	s_waitcnt vmcnt(32)
	ds_write_b32 v83, v89 offset:2640
	s_waitcnt vmcnt(31)
	ds_write_b32 v83, v90 offset:2904
	s_waitcnt vmcnt(30)
	ds_write_b32 v83, v91 offset:3168
	;; [unrolled: 40-line block ×3, first 2 shown]
	s_waitcnt vmcnt(13)
	ds_write_b32 v83, v102 offset:3432
	s_waitcnt vmcnt(12)
	ds_write_b32 v83, v103 offset:3696
	;; [unrolled: 2-line block ×3, first 2 shown]
	ds_read_b64 v[74:75], v84
	ds_read_b64 v[68:69], v84 offset:32
	ds_read_b64 v[64:65], v84 offset:64
	;; [unrolled: 1-line block ×7, first 2 shown]
	ds_write_b32 v83, v85
	ds_write_b32 v83, v86 offset:264
	s_waitcnt vmcnt(10)
	ds_write_b32 v83, v105 offset:528
	s_waitcnt vmcnt(9)
	;; [unrolled: 2-line block ×11, first 2 shown]
	ds_write_b32 v83, v115 offset:3168
	ds_write_b32 v83, v1 offset:3432
	;; [unrolled: 1-line block ×4, first 2 shown]
	ds_read_b64 v[76:77], v84
	s_waitcnt lgkmcnt(0)
	v_mfma_f32_16x16x4_f32 a[12:15], v66, v76, a[12:15]
	v_add_u32_e32 v82, 0x80, v82
	v_cmp_le_i32_e32 vcc, s5, v82
	v_lshl_add_u64 v[8:9], v[8:9], 0, s[12:13]
	v_lshl_add_u64 v[10:11], v[10:11], 0, s[12:13]
	;; [unrolled: 1-line block ×3, first 2 shown]
	s_or_b64 s[8:9], vcc, s[8:9]
	v_lshl_add_u64 v[6:7], v[6:7], 0, s[12:13]
	v_mfma_f32_16x16x4_f32 a[8:11], v70, v76, a[8:11]
	v_mfma_f32_16x16x4_f32 a[4:7], v72, v76, a[4:7]
	v_mfma_f32_16x16x4_f32 a[0:3], v74, v76, a[0:3]
	v_mfma_f32_16x16x4_f32 a[12:15], v67, v77, a[12:15]
	ds_read_b64 v[66:67], v84 offset:32
	v_mfma_f32_16x16x4_f32 a[8:11], v71, v77, a[8:11]
	v_mfma_f32_16x16x4_f32 a[4:7], v73, v77, a[4:7]
	v_mfma_f32_16x16x4_f32 a[0:3], v75, v77, a[0:3]
	s_waitcnt lgkmcnt(0)
	v_mfma_f32_16x16x4_f32 a[12:15], v54, v66, a[12:15]
	v_mfma_f32_16x16x4_f32 a[8:11], v58, v66, a[8:11]
	v_mfma_f32_16x16x4_f32 a[4:7], v62, v66, a[4:7]
	v_mfma_f32_16x16x4_f32 a[0:3], v68, v66, a[0:3]
	v_mfma_f32_16x16x4_f32 a[12:15], v55, v67, a[12:15]
	ds_read_b64 v[54:55], v84 offset:64
	v_mfma_f32_16x16x4_f32 a[8:11], v59, v67, a[8:11]
	v_mfma_f32_16x16x4_f32 a[4:7], v63, v67, a[4:7]
	v_mfma_f32_16x16x4_f32 a[0:3], v69, v67, a[0:3]
	s_waitcnt lgkmcnt(0)
	v_mfma_f32_16x16x4_f32 a[12:15], v48, v54, a[12:15]
	v_mfma_f32_16x16x4_f32 a[8:11], v56, v54, a[8:11]
	v_mfma_f32_16x16x4_f32 a[4:7], v60, v54, a[4:7]
	v_mfma_f32_16x16x4_f32 a[0:3], v64, v54, a[0:3]
	v_mfma_f32_16x16x4_f32 a[12:15], v49, v55, a[12:15]
	ds_read_b64 v[48:49], v84 offset:96
	v_mfma_f32_16x16x4_f32 a[8:11], v57, v55, a[8:11]
	v_mfma_f32_16x16x4_f32 a[4:7], v61, v55, a[4:7]
	v_mfma_f32_16x16x4_f32 a[0:3], v65, v55, a[0:3]
	s_waitcnt lgkmcnt(0)
	v_mfma_f32_16x16x4_f32 a[12:15], v34, v48, a[12:15]
	v_mfma_f32_16x16x4_f32 a[8:11], v42, v48, a[8:11]
	v_mfma_f32_16x16x4_f32 a[4:7], v46, v48, a[4:7]
	v_mfma_f32_16x16x4_f32 a[0:3], v52, v48, a[0:3]
	v_mfma_f32_16x16x4_f32 a[12:15], v35, v49, a[12:15]
	ds_read_b64 v[34:35], v84 offset:128
	v_mfma_f32_16x16x4_f32 a[8:11], v43, v49, a[8:11]
	v_mfma_f32_16x16x4_f32 a[4:7], v47, v49, a[4:7]
	v_mfma_f32_16x16x4_f32 a[0:3], v53, v49, a[0:3]
	s_waitcnt lgkmcnt(0)
	v_mfma_f32_16x16x4_f32 a[12:15], v30, v34, a[12:15]
	v_mfma_f32_16x16x4_f32 a[8:11], v38, v34, a[8:11]
	v_mfma_f32_16x16x4_f32 a[4:7], v44, v34, a[4:7]
	v_mfma_f32_16x16x4_f32 a[0:3], v50, v34, a[0:3]
	v_mfma_f32_16x16x4_f32 a[12:15], v31, v35, a[12:15]
	ds_read_b64 v[30:31], v84 offset:160
	v_mfma_f32_16x16x4_f32 a[8:11], v39, v35, a[8:11]
	v_mfma_f32_16x16x4_f32 a[4:7], v45, v35, a[4:7]
	v_mfma_f32_16x16x4_f32 a[0:3], v51, v35, a[0:3]
	s_waitcnt lgkmcnt(0)
	v_mfma_f32_16x16x4_f32 a[12:15], v20, v30, a[12:15]
	v_mfma_f32_16x16x4_f32 a[8:11], v26, v30, a[8:11]
	v_mfma_f32_16x16x4_f32 a[4:7], v32, v30, a[4:7]
	v_mfma_f32_16x16x4_f32 a[0:3], v40, v30, a[0:3]
	v_mfma_f32_16x16x4_f32 a[12:15], v21, v31, a[12:15]
	ds_read_b64 v[20:21], v84 offset:192
	v_mfma_f32_16x16x4_f32 a[8:11], v27, v31, a[8:11]
	v_mfma_f32_16x16x4_f32 a[4:7], v33, v31, a[4:7]
	v_mfma_f32_16x16x4_f32 a[0:3], v41, v31, a[0:3]
	s_waitcnt lgkmcnt(0)
	v_mfma_f32_16x16x4_f32 a[12:15], v16, v20, a[12:15]
	v_mfma_f32_16x16x4_f32 a[8:11], v24, v20, a[8:11]
	v_mfma_f32_16x16x4_f32 a[4:7], v28, v20, a[4:7]
	v_mfma_f32_16x16x4_f32 a[0:3], v36, v20, a[0:3]
	v_mfma_f32_16x16x4_f32 a[12:15], v17, v21, a[12:15]
	ds_read_b64 v[16:17], v84 offset:224
	v_mfma_f32_16x16x4_f32 a[8:11], v25, v21, a[8:11]
	v_mfma_f32_16x16x4_f32 a[4:7], v29, v21, a[4:7]
	v_mfma_f32_16x16x4_f32 a[0:3], v37, v21, a[0:3]
	s_waitcnt lgkmcnt(0)
	v_mfma_f32_16x16x4_f32 a[12:15], v12, v16, a[12:15]
	v_mfma_f32_16x16x4_f32 a[8:11], v14, v16, a[8:11]
	v_mfma_f32_16x16x4_f32 a[4:7], v18, v16, a[4:7]
	;; [unrolled: 1-line block ×7, first 2 shown]
	s_andn2_b64 exec, exec, s[8:9]
	s_cbranch_execnz .LBB80_4
; %bb.5:
	s_or_b64 exec, exec, s[8:9]
.LBB80_6:
	s_or_b64 exec, exec, s[24:25]
	v_lshl_add_u32 v0, v80, 2, 0
	v_mul_u32_u24_e32 v1, 0x208, v81
	v_and_b32_e32 v2, 0x3f0, v79
	v_add3_u32 v0, v0, v1, v2
	v_accvgpr_read_b32 v1, a13
	v_accvgpr_read_b32 v2, a12
	s_waitcnt lgkmcnt(0)
	s_barrier
	ds_write2_b32 v0, v2, v1 offset1:1
	v_accvgpr_read_b32 v1, a15
	v_accvgpr_read_b32 v2, a14
	ds_write2_b32 v0, v2, v1 offset0:2 offset1:3
	v_accvgpr_read_b32 v1, a9
	v_accvgpr_read_b32 v2, a8
	ds_write2_b32 v0, v2, v1 offset0:16 offset1:17
	;; [unrolled: 3-line block ×4, first 2 shown]
	v_accvgpr_read_b32 v1, a7
	v_accvgpr_read_b32 v2, a6
	s_mul_hi_i32 s1, s15, s4
	s_mul_i32 s0, s15, s4
	ds_write2_b32 v0, v2, v1 offset0:34 offset1:35
	v_accvgpr_read_b32 v1, a1
	v_accvgpr_read_b32 v2, a0
	s_lshl_b64 s[0:1], s[0:1], 2
	ds_write2_b32 v0, v2, v1 offset0:48 offset1:49
	v_accvgpr_read_b32 v1, a3
	v_accvgpr_read_b32 v2, a2
	s_mul_i32 s4, s11, s3
	s_add_u32 s3, s6, s0
	s_movk_i32 s0, 0x208
	ds_write2_b32 v0, v2, v1 offset0:50 offset1:51
	v_lshl_add_u32 v1, v79, 2, 0
	v_mad_u32_u24 v8, v78, s0, v1
	s_waitcnt lgkmcnt(0)
	s_barrier
	ds_read2st64_b32 v[2:3], v8 offset1:1
	s_addc_u32 s6, s7, s1
	s_ashr_i32 s5, s4, 31
	s_lshl_b64 s[0:1], s[4:5], 2
	v_add_u32_e32 v0, s2, v79
	s_waitcnt lgkmcnt(0)
	v_add_f32_e32 v2, 0, v2
	v_add_f32_e32 v9, v2, v3
	v_add_u32_e32 v2, 16, v8
	ds_read2st64_b32 v[4:5], v2 offset0:4 offset1:5
	s_add_u32 s0, s3, s0
	v_mad_u64_u32 v[2:3], s[2:3], v78, s18, v[0:1]
	s_addc_u32 s1, s6, s1
	v_mov_b32_e32 v3, 0
	v_lshl_add_u64 v[6:7], v[2:3], 2, s[0:1]
	s_waitcnt lgkmcnt(0)
	v_add_f32_e32 v4, 0, v4
	s_lshl_b32 s2, s18, 1
	global_store_dword v[6:7], v9, off
	v_add_f32_e32 v9, v4, v5
	v_add_u32_e32 v4, 32, v8
	v_add_u32_e32 v2, s2, v2
	ds_read2st64_b32 v[4:5], v4 offset0:8 offset1:9
	v_lshl_add_u64 v[6:7], v[2:3], 2, s[0:1]
	global_store_dword v[6:7], v9, off
	v_add_u32_e32 v6, 48, v8
	ds_read2st64_b32 v[6:7], v6 offset0:12 offset1:13
	s_waitcnt lgkmcnt(1)
	v_add_f32_e32 v4, 0, v4
	v_add_u32_e32 v2, s2, v2
	v_add_f32_e32 v9, v4, v5
	v_lshl_add_u64 v[4:5], v[2:3], 2, s[0:1]
	global_store_dword v[4:5], v9, off
	s_waitcnt lgkmcnt(0)
	v_add_f32_e32 v6, 0, v6
	v_add_u32_e32 v4, 64, v8
	v_add_u32_e32 v2, s2, v2
	ds_read2st64_b32 v[4:5], v4 offset0:16 offset1:17
	v_add_f32_e32 v9, v6, v7
	v_lshl_add_u64 v[6:7], v[2:3], 2, s[0:1]
	global_store_dword v[6:7], v9, off
	v_add_u32_e32 v6, 0x50, v8
	ds_read2st64_b32 v[6:7], v6 offset0:20 offset1:21
	s_waitcnt lgkmcnt(1)
	v_add_f32_e32 v4, 0, v4
	v_add_u32_e32 v2, s2, v2
	v_add_f32_e32 v8, v4, v5
	v_lshl_add_u64 v[4:5], v[2:3], 2, s[0:1]
	global_store_dword v[4:5], v8, off
	s_waitcnt lgkmcnt(0)
	v_add_f32_e32 v4, 0, v6
	v_add_u32_e32 v2, s2, v2
	v_add_f32_e32 v6, v4, v7
	v_lshl_add_u64 v[4:5], v[2:3], 2, s[0:1]
	v_cmp_eq_u32_e32 vcc, 0, v78
	global_store_dword v[4:5], v6, off
	s_and_saveexec_b64 s[2:3], vcc
	s_cbranch_execz .LBB80_8
; %bb.7:
	v_add_u32_e32 v1, 0x60, v1
	ds_read2st64_b32 v[4:5], v1 offset0:24 offset1:25
	v_mad_u64_u32 v[0:1], s[2:3], s18, 12, v[0:1]
	v_mov_b32_e32 v1, v3
	v_lshl_add_u64 v[0:1], v[0:1], 2, s[0:1]
	s_waitcnt lgkmcnt(0)
	v_add_f32_e32 v2, 0, v4
	v_add_f32_e32 v2, v2, v5
	global_store_dword v[0:1], v2, off
.LBB80_8:
	s_endpgm
	.section	.rodata,"a",@progbits
	.p2align	6, 0x0
	.amdhsa_kernel _ZL9mul_mat_fIfLi64ELi13ELi2ELb0EEvPKT_PKfPKiPfiiiiiiiiiiiiiiii
		.amdhsa_group_segment_fixed_size 0
		.amdhsa_private_segment_fixed_size 0
		.amdhsa_kernarg_size 96
		.amdhsa_user_sgpr_count 2
		.amdhsa_user_sgpr_dispatch_ptr 0
		.amdhsa_user_sgpr_queue_ptr 0
		.amdhsa_user_sgpr_kernarg_segment_ptr 1
		.amdhsa_user_sgpr_dispatch_id 0
		.amdhsa_user_sgpr_kernarg_preload_length 0
		.amdhsa_user_sgpr_kernarg_preload_offset 0
		.amdhsa_user_sgpr_private_segment_size 0
		.amdhsa_uses_dynamic_stack 0
		.amdhsa_enable_private_segment 0
		.amdhsa_system_sgpr_workgroup_id_x 1
		.amdhsa_system_sgpr_workgroup_id_y 1
		.amdhsa_system_sgpr_workgroup_id_z 1
		.amdhsa_system_sgpr_workgroup_info 0
		.amdhsa_system_vgpr_workitem_id 1
		.amdhsa_next_free_vgpr 132
		.amdhsa_next_free_sgpr 91
		.amdhsa_accum_offset 116
		.amdhsa_reserve_vcc 1
		.amdhsa_float_round_mode_32 0
		.amdhsa_float_round_mode_16_64 0
		.amdhsa_float_denorm_mode_32 3
		.amdhsa_float_denorm_mode_16_64 3
		.amdhsa_dx10_clamp 1
		.amdhsa_ieee_mode 1
		.amdhsa_fp16_overflow 0
		.amdhsa_tg_split 0
		.amdhsa_exception_fp_ieee_invalid_op 0
		.amdhsa_exception_fp_denorm_src 0
		.amdhsa_exception_fp_ieee_div_zero 0
		.amdhsa_exception_fp_ieee_overflow 0
		.amdhsa_exception_fp_ieee_underflow 0
		.amdhsa_exception_fp_ieee_inexact 0
		.amdhsa_exception_int_div_zero 0
	.end_amdhsa_kernel
	.section	.text._ZL9mul_mat_fIfLi64ELi13ELi2ELb0EEvPKT_PKfPKiPfiiiiiiiiiiiiiiii,"axG",@progbits,_ZL9mul_mat_fIfLi64ELi13ELi2ELb0EEvPKT_PKfPKiPfiiiiiiiiiiiiiiii,comdat
.Lfunc_end80:
	.size	_ZL9mul_mat_fIfLi64ELi13ELi2ELb0EEvPKT_PKfPKiPfiiiiiiiiiiiiiiii, .Lfunc_end80-_ZL9mul_mat_fIfLi64ELi13ELi2ELb0EEvPKT_PKfPKiPfiiiiiiiiiiiiiiii
                                        ; -- End function
	.set _ZL9mul_mat_fIfLi64ELi13ELi2ELb0EEvPKT_PKfPKiPfiiiiiiiiiiiiiiii.num_vgpr, 116
	.set _ZL9mul_mat_fIfLi64ELi13ELi2ELb0EEvPKT_PKfPKiPfiiiiiiiiiiiiiiii.num_agpr, 16
	.set _ZL9mul_mat_fIfLi64ELi13ELi2ELb0EEvPKT_PKfPKiPfiiiiiiiiiiiiiiii.numbered_sgpr, 91
	.set _ZL9mul_mat_fIfLi64ELi13ELi2ELb0EEvPKT_PKfPKiPfiiiiiiiiiiiiiiii.num_named_barrier, 0
	.set _ZL9mul_mat_fIfLi64ELi13ELi2ELb0EEvPKT_PKfPKiPfiiiiiiiiiiiiiiii.private_seg_size, 0
	.set _ZL9mul_mat_fIfLi64ELi13ELi2ELb0EEvPKT_PKfPKiPfiiiiiiiiiiiiiiii.uses_vcc, 1
	.set _ZL9mul_mat_fIfLi64ELi13ELi2ELb0EEvPKT_PKfPKiPfiiiiiiiiiiiiiiii.uses_flat_scratch, 0
	.set _ZL9mul_mat_fIfLi64ELi13ELi2ELb0EEvPKT_PKfPKiPfiiiiiiiiiiiiiiii.has_dyn_sized_stack, 0
	.set _ZL9mul_mat_fIfLi64ELi13ELi2ELb0EEvPKT_PKfPKiPfiiiiiiiiiiiiiiii.has_recursion, 0
	.set _ZL9mul_mat_fIfLi64ELi13ELi2ELb0EEvPKT_PKfPKiPfiiiiiiiiiiiiiiii.has_indirect_call, 0
	.section	.AMDGPU.csdata,"",@progbits
; Kernel info:
; codeLenInByte = 5560
; TotalNumSgprs: 97
; NumVgprs: 116
; NumAgprs: 16
; TotalNumVgprs: 132
; ScratchSize: 0
; MemoryBound: 0
; FloatMode: 240
; IeeeMode: 1
; LDSByteSize: 0 bytes/workgroup (compile time only)
; SGPRBlocks: 12
; VGPRBlocks: 16
; NumSGPRsForWavesPerEU: 97
; NumVGPRsForWavesPerEU: 132
; AccumOffset: 116
; Occupancy: 3
; WaveLimiterHint : 0
; COMPUTE_PGM_RSRC2:SCRATCH_EN: 0
; COMPUTE_PGM_RSRC2:USER_SGPR: 2
; COMPUTE_PGM_RSRC2:TRAP_HANDLER: 0
; COMPUTE_PGM_RSRC2:TGID_X_EN: 1
; COMPUTE_PGM_RSRC2:TGID_Y_EN: 1
; COMPUTE_PGM_RSRC2:TGID_Z_EN: 1
; COMPUTE_PGM_RSRC2:TIDIG_COMP_CNT: 1
; COMPUTE_PGM_RSRC3_GFX90A:ACCUM_OFFSET: 28
; COMPUTE_PGM_RSRC3_GFX90A:TG_SPLIT: 0
	.section	.text._ZL13mul_mat_f_idsIfLi64ELi13ELi3EEvPKT_PKfPKiS6_S6_Pfiiiiiiiiiiiiii15HIP_vector_typeIjLj3EES9_,"axG",@progbits,_ZL13mul_mat_f_idsIfLi64ELi13ELi3EEvPKT_PKfPKiS6_S6_Pfiiiiiiiiiiiiii15HIP_vector_typeIjLj3EES9_,comdat
	.globl	_ZL13mul_mat_f_idsIfLi64ELi13ELi3EEvPKT_PKfPKiS6_S6_Pfiiiiiiiiiiiiii15HIP_vector_typeIjLj3EES9_ ; -- Begin function _ZL13mul_mat_f_idsIfLi64ELi13ELi3EEvPKT_PKfPKiS6_S6_Pfiiiiiiiiiiiiii15HIP_vector_typeIjLj3EES9_
	.p2align	8
	.type	_ZL13mul_mat_f_idsIfLi64ELi13ELi3EEvPKT_PKfPKiS6_S6_Pfiiiiiiiiiiiiii15HIP_vector_typeIjLj3EES9_,@function
_ZL13mul_mat_f_idsIfLi64ELi13ELi3EEvPKT_PKfPKiS6_S6_Pfiiiiiiiiiiiiii15HIP_vector_typeIjLj3EES9_: ; @_ZL13mul_mat_f_idsIfLi64ELi13ELi3EEvPKT_PKfPKiS6_S6_Pfiiiiiiiiiiiiii15HIP_vector_typeIjLj3EES9_
; %bb.0:
	s_load_dwordx2 s[6:7], s[0:1], 0x20
	s_mov_b32 s34, s3
	s_ashr_i32 s35, s3, 31
	s_lshl_b64 s[8:9], s[34:35], 2
	s_waitcnt lgkmcnt(0)
	s_add_u32 s6, s6, s8
	s_addc_u32 s7, s7, s9
	s_load_dwordx2 s[30:31], s[6:7], 0x0
	s_waitcnt lgkmcnt(0)
	s_sub_i32 s26, s31, s30
	s_add_i32 s3, s26, 12
	s_mul_hi_i32 s3, s3, 0x4ec4ec4f
	s_lshr_b32 s5, s3, 31
	s_ashr_i32 s3, s3, 2
	s_add_i32 s3, s3, s5
	s_cmp_ge_i32 s4, s3
	s_cbranch_scc1 .LBB81_62
; %bb.1:
	v_bfe_u32 v2, v0, 10, 10
	v_lshlrev_b32_e32 v70, 6, v2
	v_and_b32_e32 v3, 0x3ff, v0
	s_load_dwordx4 s[12:15], s[0:1], 0x30
	s_load_dwordx2 s[20:21], s[0:1], 0x40
	s_load_dwordx4 s[8:11], s[0:1], 0x4c
	s_load_dwordx4 s[16:19], s[0:1], 0x68
	s_load_dwordx2 s[24:25], s[0:1], 0x78
	v_add_u32_e32 v72, v70, v3
	s_ashr_i32 s31, s30, 31
	s_waitcnt lgkmcnt(0)
	v_cmp_le_i32_e32 vcc, s12, v72
	v_and_b32_e32 v71, 15, v3
	s_and_saveexec_b64 s[6:7], vcc
	s_xor_b64 s[6:7], exec, s[6:7]
; %bb.2:
	v_and_b32_e32 v71, 15, v3
                                        ; implicit-def: $vgpr72
; %bb.3:
	s_or_saveexec_b64 s[36:37], s[6:7]
	s_load_dwordx2 s[22:23], s[0:1], 0x18
	s_load_dwordx2 s[6:7], s[0:1], 0x28
                                        ; implicit-def: $vgpr90 : SGPR spill to VGPR lane
	s_lshl_b32 s11, s2, 6
	s_mul_i32 s28, s4, 13
	v_mov_b32_e32 v1, 0
	v_accvgpr_write_b32 a0, 0
	s_waitcnt lgkmcnt(0)
	v_writelane_b32 v90, s6, 0
	v_accvgpr_write_b32 a1, 0
	v_accvgpr_write_b32 a2, 0
	;; [unrolled: 1-line block ×15, first 2 shown]
	v_writelane_b32 v90, s7, 1
	s_xor_b64 exec, exec, s[36:37]
	s_cbranch_execz .LBB81_46
; %bb.4:
	s_load_dwordx4 s[4:7], s[0:1], 0x0
	s_load_dwordx2 s[2:3], s[0:1], 0x10
	v_writelane_b32 v90, s36, 2
	s_mul_i32 s0, s8, s34
	s_ashr_i32 s1, s0, 31
	v_writelane_b32 v90, s37, 3
	v_writelane_b32 v90, s22, 4
	s_lshl_b64 s[64:65], s[0:1], 2
	s_waitcnt lgkmcnt(0)
	s_add_u32 s0, s4, s64
	v_writelane_b32 v90, s23, 5
	s_mul_i32 s22, s15, s11
	v_writelane_b32 v90, s24, 6
	s_addc_u32 s1, s5, s65
	s_ashr_i32 s23, s22, 31
	v_writelane_b32 v90, s25, 7
	s_lshl_b64 s[66:67], s[22:23], 2
	v_writelane_b32 v90, s11, 8
	s_add_u32 s0, s0, s66
	s_addc_u32 s1, s1, s67
	v_writelane_b32 v90, s30, 9
	s_lshl_b64 s[22:23], s[30:31], 2
	s_add_u32 s8, s2, s22
	s_addc_u32 s11, s3, s23
	s_movk_i32 s2, 0x1080
	s_cmp_lt_i32 s28, s26
	v_writelane_b32 v90, s31, 10
	v_mad_u32_u24 v0, v2, s2, 0
	s_cselect_b64 s[2:3], -1, 0
	v_writelane_b32 v90, s2, 11
	s_ashr_i32 s29, s28, 31
	s_mov_b32 s22, s15
	v_writelane_b32 v90, s3, 12
	s_lshl_b64 s[2:3], s[28:29], 2
	s_add_u32 s36, s8, s2
	s_addc_u32 s37, s11, s3
	s_add_i32 s2, s28, 1
	s_cmp_lt_i32 s2, s26
	s_cselect_b64 s[2:3], -1, 0
	v_writelane_b32 v90, s2, 13
	v_lshrrev_b32_e32 v6, 1, v3
	v_lshlrev_b32_e32 v4, 2, v3
	v_writelane_b32 v90, s3, 14
	s_add_i32 s2, s28, 2
	s_cmp_lt_i32 s2, s26
	s_cselect_b64 s[2:3], -1, 0
	v_writelane_b32 v90, s2, 15
	v_mul_u32_u24_e32 v5, 0x108, v71
	v_and_b32_e32 v6, 0x1f8, v6
	v_writelane_b32 v90, s3, 16
	s_add_i32 s2, s28, 3
	s_cmp_lt_i32 s2, s26
	s_cselect_b64 s[2:3], -1, 0
	v_writelane_b32 v90, s2, 17
	v_add_u32_e32 v73, v0, v4
	v_add3_u32 v74, v0, v5, v6
	v_writelane_b32 v90, s3, 18
	s_add_i32 s2, s28, 4
	s_cmp_lt_i32 s2, s26
	s_cselect_b64 s[2:3], -1, 0
	v_writelane_b32 v90, s2, 19
	v_lshlrev_b32_e32 v0, 8, v2
	v_mov_b32_e32 v5, v1
	v_writelane_b32 v90, s3, 20
	s_add_i32 s2, s28, 5
	s_cmp_lt_i32 s2, s26
	s_cselect_b64 s[2:3], -1, 0
	v_writelane_b32 v90, s2, 21
	s_mul_i32 s8, s15, 3
	s_mul_i32 s69, s15, 5
	v_writelane_b32 v90, s3, 22
	s_add_i32 s2, s28, 6
	s_cmp_lt_i32 s2, s26
	s_cselect_b64 s[48:49], -1, 0
	s_add_i32 s2, s28, 7
	s_cmp_lt_i32 s2, s26
	s_cselect_b64 s[50:51], -1, 0
	;; [unrolled: 3-line block ×5, first 2 shown]
	s_add_i32 s2, s28, 11
	s_cmp_lt_i32 s2, s26
	s_mov_b32 s2, s28
	v_writelane_b32 v90, s2, 23
	s_cselect_b64 s[58:59], -1, 0
	s_mul_i32 s70, s15, 6
	v_writelane_b32 v90, s3, 24
	s_add_i32 s2, s28, 12
	s_cmp_lt_i32 s2, s26
	s_cselect_b64 s[60:61], -1, 0
	s_ashr_i32 s23, s15, 31
	s_add_i32 s3, s15, s15
	s_lshl_b32 s68, s15, 2
	s_lshl_b32 s72, s15, 3
	s_lshl_b32 s80, s15, 4
	s_lshl_b32 s85, s15, 5
	s_lshl_b64 s[62:63], s[22:23], 2
	s_add_u32 s22, s64, s66
	s_addc_u32 s23, s65, s67
	v_lshl_add_u64 v[6:7], s[22:23], 0, v[0:1]
	v_lshl_add_u64 v[4:5], v[6:7], 0, v[4:5]
	v_writelane_b32 v90, s26, 25
	s_mul_i32 s71, s15, 7
	s_mul_i32 s73, s15, 9
	;; [unrolled: 1-line block ×20, first 2 shown]
	v_accvgpr_write_b32 a15, 0
	v_accvgpr_write_b32 a14, 0
	;; [unrolled: 1-line block ×16, first 2 shown]
	v_lshl_add_u64 v[4:5], s[4:5], 0, v[4:5]
	s_mul_i32 s90, s15, 29
	s_mul_i32 s91, s15, 30
	;; [unrolled: 1-line block ×34, first 2 shown]
	s_mov_b64 s[4:5], 0
	s_branch .LBB81_6
.LBB81_5:                               ;   in Loop: Header=BB81_6 Depth=1
	s_waitcnt vmcnt(0)
	ds_write2_b32 v73, v0, v76 offset1:66
	ds_write2_b32 v73, v75, v78 offset0:132 offset1:198
	v_add_u32_e32 v0, 0x400, v73
	ds_write2_b32 v0, v77, v80 offset0:8 offset1:74
	ds_write2_b32 v0, v79, v82 offset0:140 offset1:206
	v_add_u32_e32 v0, 0x800, v73
	ds_write2_b32 v0, v81, v84 offset0:16 offset1:82
	;; [unrolled: 3-line block ×3, first 2 shown]
	ds_write2_b32 v0, v1, v1 offset0:156 offset1:222
	ds_read2_b64 v[76:79], v74 offset1:4
	v_add_u32_e32 v72, 0xc0, v72
	s_waitcnt lgkmcnt(0)
	v_mfma_f32_16x16x4_f32 a[12:15], v12, v76, a[12:15]
	s_mov_b64 vcc, 0x300
	v_lshl_add_u64 v[4:5], v[4:5], 0, vcc
	v_cmp_le_i32_e32 vcc, s12, v72
	s_or_b64 s[4:5], vcc, s[4:5]
	v_mfma_f32_16x16x4_f32 a[8:11], v46, v76, a[8:11]
	v_mfma_f32_16x16x4_f32 a[4:7], v56, v76, a[4:7]
	;; [unrolled: 1-line block ×12, first 2 shown]
	ds_read2_b64 v[10:13], v74 offset0:8 offset1:12
	v_mfma_f32_16x16x4_f32 a[8:11], v43, v79, a[8:11]
	v_mfma_f32_16x16x4_f32 a[4:7], v53, v79, a[4:7]
	;; [unrolled: 1-line block ×3, first 2 shown]
	s_waitcnt lgkmcnt(0)
	v_mfma_f32_16x16x4_f32 a[12:15], v8, v10, a[12:15]
	v_mfma_f32_16x16x4_f32 a[8:11], v38, v10, a[8:11]
	;; [unrolled: 1-line block ×13, first 2 shown]
	ds_read2_b64 v[6:9], v74 offset0:16 offset1:20
	v_mfma_f32_16x16x4_f32 a[8:11], v35, v13, a[8:11]
	v_mfma_f32_16x16x4_f32 a[4:7], v45, v13, a[4:7]
	;; [unrolled: 1-line block ×3, first 2 shown]
	s_waitcnt lgkmcnt(0)
	v_mfma_f32_16x16x4_f32 a[12:15], v22, v6, a[12:15]
	v_mfma_f32_16x16x4_f32 a[8:11], v30, v6, a[8:11]
	;; [unrolled: 1-line block ×16, first 2 shown]
	ds_read2_b64 v[6:9], v74 offset0:24 offset1:28
	s_waitcnt lgkmcnt(0)
	v_mfma_f32_16x16x4_f32 a[12:15], v16, v6, a[12:15]
	v_mfma_f32_16x16x4_f32 a[8:11], v24, v6, a[8:11]
	;; [unrolled: 1-line block ×16, first 2 shown]
	s_andn2_b64 exec, exec, s[4:5]
	s_cbranch_execz .LBB81_45
.LBB81_6:                               ; =>This Inner Loop Header: Depth=1
	v_lshl_add_u64 v[6:7], v[4:5], 0, s[62:63]
	global_load_dword v0, v[4:5], off
	global_load_dword v22, v[6:7], off
	v_add_u32_e32 v6, s3, v72
	v_add_u32_e32 v10, s68, v72
	;; [unrolled: 1-line block ×4, first 2 shown]
	v_ashrrev_i32_e32 v7, 31, v6
	v_add_u32_e32 v8, s8, v72
	v_ashrrev_i32_e32 v11, 31, v10
	v_ashrrev_i32_e32 v13, 31, v12
	v_add_u32_e32 v14, s70, v72
	v_add_u32_e32 v16, s71, v72
	v_ashrrev_i32_e32 v19, 31, v18
	v_add_u32_e32 v20, s73, v72
	v_lshl_add_u64 v[6:7], v[6:7], 2, s[0:1]
	v_ashrrev_i32_e32 v9, 31, v8
	v_lshl_add_u64 v[10:11], v[10:11], 2, s[0:1]
	v_lshl_add_u64 v[12:13], v[12:13], 2, s[0:1]
	v_ashrrev_i32_e32 v15, 31, v14
	v_ashrrev_i32_e32 v17, 31, v16
	v_lshl_add_u64 v[18:19], v[18:19], 2, s[0:1]
	v_ashrrev_i32_e32 v21, 31, v20
	v_lshl_add_u64 v[8:9], v[8:9], 2, s[0:1]
	v_lshl_add_u64 v[14:15], v[14:15], 2, s[0:1]
	;; [unrolled: 1-line block ×4, first 2 shown]
	global_load_dword v23, v[6:7], off
	global_load_dword v24, v[8:9], off
	;; [unrolled: 1-line block ×6, first 2 shown]
	s_nop 0
	global_load_dword v18, v[18:19], off
	s_nop 0
	global_load_dword v19, v[20:21], off
	v_add_u32_e32 v6, s74, v72
	v_add_u32_e32 v10, s76, v72
	;; [unrolled: 1-line block ×3, first 2 shown]
	v_ashrrev_i32_e32 v7, 31, v6
	v_add_u32_e32 v8, s75, v72
	v_ashrrev_i32_e32 v11, 31, v10
	v_ashrrev_i32_e32 v13, 31, v12
	v_add_u32_e32 v14, s78, v72
	v_add_u32_e32 v16, s79, v72
	v_lshl_add_u64 v[6:7], v[6:7], 2, s[0:1]
	v_ashrrev_i32_e32 v9, 31, v8
	v_lshl_add_u64 v[10:11], v[10:11], 2, s[0:1]
	v_lshl_add_u64 v[12:13], v[12:13], 2, s[0:1]
	v_ashrrev_i32_e32 v15, 31, v14
	v_ashrrev_i32_e32 v17, 31, v16
	v_lshl_add_u64 v[8:9], v[8:9], 2, s[0:1]
	v_lshl_add_u64 v[14:15], v[14:15], 2, s[0:1]
	;; [unrolled: 1-line block ×3, first 2 shown]
	global_load_dword v20, v[6:7], off
	global_load_dword v21, v[8:9], off
	s_nop 0
	global_load_dword v10, v[10:11], off
	s_nop 0
	;; [unrolled: 2-line block ×3, first 2 shown]
	global_load_dword v12, v[14:15], off
	global_load_dword v13, v[16:17], off
	v_add_u32_e32 v6, s80, v72
	v_add_u32_e32 v8, s81, v72
	v_ashrrev_i32_e32 v7, 31, v6
	v_ashrrev_i32_e32 v9, 31, v8
	v_lshl_add_u64 v[6:7], v[6:7], 2, s[0:1]
	v_add_u32_e32 v14, s82, v72
	v_lshl_add_u64 v[8:9], v[8:9], 2, s[0:1]
	global_load_dword v30, v[6:7], off
	global_load_dword v31, v[8:9], off
	v_ashrrev_i32_e32 v15, 31, v14
	v_add_u32_e32 v16, s83, v72
	v_lshl_add_u64 v[14:15], v[14:15], 2, s[0:1]
	v_ashrrev_i32_e32 v17, 31, v16
	v_lshl_add_u64 v[16:17], v[16:17], 2, s[0:1]
	v_readlane_b32 s46, v90, 11
	v_readlane_b32 s47, v90, 12
	s_andn2_b64 vcc, exec, s[46:47]
	s_waitcnt vmcnt(17)
	ds_write_b32 v73, v0
	s_waitcnt vmcnt(16)
	ds_write_b32 v73, v22 offset:264
	s_waitcnt vmcnt(15)
	ds_write_b32 v73, v23 offset:528
	;; [unrolled: 2-line block ×15, first 2 shown]
	v_add_u32_e32 v18, s84, v72
	v_add_u32_e32 v20, s64, v72
	;; [unrolled: 1-line block ×6, first 2 shown]
	v_ashrrev_i32_e32 v19, 31, v18
	v_ashrrev_i32_e32 v21, 31, v20
	;; [unrolled: 1-line block ×6, first 2 shown]
	ds_read_b64 v[12:13], v74
	ds_read_b64 v[10:11], v74 offset:32
	ds_read_b64 v[8:9], v74 offset:64
	;; [unrolled: 1-line block ×3, first 2 shown]
	v_lshl_add_u64 v[18:19], v[18:19], 2, s[0:1]
	v_lshl_add_u64 v[20:21], v[20:21], 2, s[0:1]
	v_lshl_add_u64 v[22:23], v[22:23], 2, s[0:1]
	v_lshl_add_u64 v[24:25], v[24:25], 2, s[0:1]
	v_lshl_add_u64 v[26:27], v[26:27], 2, s[0:1]
	v_lshl_add_u64 v[28:29], v[28:29], 2, s[0:1]
	global_load_dword v0, v[14:15], off
	global_load_dword v32, v[16:17], off
	global_load_dword v33, v[18:19], off
	global_load_dword v34, v[20:21], off
	global_load_dword v35, v[22:23], off
	global_load_dword v36, v[24:25], off
	global_load_dword v37, v[26:27], off
	global_load_dword v38, v[28:29], off
	v_add_u32_e32 v14, s87, v72
	v_ashrrev_i32_e32 v15, 31, v14
	v_add_u32_e32 v16, s88, v72
	v_add_u32_e32 v18, s89, v72
	v_add_u32_e32 v20, s90, v72
	v_add_u32_e32 v22, s91, v72
	v_add_u32_e32 v24, s92, v72
	v_add_u32_e32 v26, s85, v72
	v_add_u32_e32 v28, s93, v72
	v_lshl_add_u64 v[14:15], v[14:15], 2, s[0:1]
	v_ashrrev_i32_e32 v17, 31, v16
	v_ashrrev_i32_e32 v19, 31, v18
	v_ashrrev_i32_e32 v21, 31, v20
	v_ashrrev_i32_e32 v23, 31, v22
	v_ashrrev_i32_e32 v25, 31, v24
	v_ashrrev_i32_e32 v27, 31, v26
	v_ashrrev_i32_e32 v29, 31, v28
	v_lshl_add_u64 v[16:17], v[16:17], 2, s[0:1]
	v_lshl_add_u64 v[18:19], v[18:19], 2, s[0:1]
	v_lshl_add_u64 v[20:21], v[20:21], 2, s[0:1]
	v_lshl_add_u64 v[22:23], v[22:23], 2, s[0:1]
	v_lshl_add_u64 v[24:25], v[24:25], 2, s[0:1]
	v_lshl_add_u64 v[26:27], v[26:27], 2, s[0:1]
	v_lshl_add_u64 v[28:29], v[28:29], 2, s[0:1]
	global_load_dword v39, v[14:15], off
	global_load_dword v40, v[16:17], off
	global_load_dword v41, v[18:19], off
	global_load_dword v42, v[20:21], off
	global_load_dword v43, v[22:23], off
	global_load_dword v44, v[24:25], off
	global_load_dword v45, v[26:27], off
	global_load_dword v48, v[28:29], off
	v_add_u32_e32 v14, s94, v72
	v_ashrrev_i32_e32 v15, 31, v14
	v_add_u32_e32 v16, s95, v72
	v_add_u32_e32 v18, s96, v72
	v_add_u32_e32 v20, s97, v72
	v_add_u32_e32 v22, s98, v72
	v_add_u32_e32 v24, s99, v72
	v_add_u32_e32 v26, s24, v72
	v_add_u32_e32 v28, s25, v72
	v_lshl_add_u64 v[14:15], v[14:15], 2, s[0:1]
	v_ashrrev_i32_e32 v17, 31, v16
	v_ashrrev_i32_e32 v19, 31, v18
	v_ashrrev_i32_e32 v21, 31, v20
	v_ashrrev_i32_e32 v23, 31, v22
	v_ashrrev_i32_e32 v25, 31, v24
	v_ashrrev_i32_e32 v27, 31, v26
	v_ashrrev_i32_e32 v29, 31, v28
	v_lshl_add_u64 v[16:17], v[16:17], 2, s[0:1]
	v_lshl_add_u64 v[18:19], v[18:19], 2, s[0:1]
	v_lshl_add_u64 v[20:21], v[20:21], 2, s[0:1]
	v_lshl_add_u64 v[22:23], v[22:23], 2, s[0:1]
	v_lshl_add_u64 v[24:25], v[24:25], 2, s[0:1]
	v_lshl_add_u64 v[26:27], v[26:27], 2, s[0:1]
	v_lshl_add_u64 v[28:29], v[28:29], 2, s[0:1]
	global_load_dword v49, v[14:15], off
	global_load_dword v50, v[16:17], off
	global_load_dword v51, v[18:19], off
	global_load_dword v52, v[20:21], off
	global_load_dword v53, v[22:23], off
	global_load_dword v54, v[24:25], off
	global_load_dword v55, v[26:27], off
	global_load_dword v56, v[28:29], off
	v_add_u32_e32 v14, s11, v72
	v_ashrrev_i32_e32 v15, 31, v14
	v_add_u32_e32 v16, s28, v72
	v_add_u32_e32 v18, s29, v72
	v_add_u32_e32 v20, s30, v72
	v_add_u32_e32 v22, s31, v72
	v_add_u32_e32 v24, s22, v72
	v_add_u32_e32 v26, s23, v72
	v_add_u32_e32 v28, s26, v72
	v_lshl_add_u64 v[14:15], v[14:15], 2, s[0:1]
	v_ashrrev_i32_e32 v17, 31, v16
	v_ashrrev_i32_e32 v19, 31, v18
	v_ashrrev_i32_e32 v21, 31, v20
	v_ashrrev_i32_e32 v23, 31, v22
	v_ashrrev_i32_e32 v25, 31, v24
	v_ashrrev_i32_e32 v27, 31, v26
	v_ashrrev_i32_e32 v29, 31, v28
	v_lshl_add_u64 v[16:17], v[16:17], 2, s[0:1]
	v_lshl_add_u64 v[18:19], v[18:19], 2, s[0:1]
	v_lshl_add_u64 v[20:21], v[20:21], 2, s[0:1]
	v_lshl_add_u64 v[22:23], v[22:23], 2, s[0:1]
	v_lshl_add_u64 v[24:25], v[24:25], 2, s[0:1]
	v_lshl_add_u64 v[26:27], v[26:27], 2, s[0:1]
	v_lshl_add_u64 v[28:29], v[28:29], 2, s[0:1]
	global_load_dword v57, v[14:15], off
	global_load_dword v58, v[16:17], off
	global_load_dword v59, v[18:19], off
	global_load_dword v60, v[20:21], off
	global_load_dword v61, v[22:23], off
	global_load_dword v62, v[24:25], off
	global_load_dword v63, v[26:27], off
	global_load_dword v64, v[28:29], off
	v_add_u32_e32 v14, s27, v72
	v_ashrrev_i32_e32 v15, 31, v14
	v_add_u32_e32 v16, s33, v72
	v_add_u32_e32 v18, s2, v72
	v_add_u32_e32 v20, s34, v72
	v_add_u32_e32 v22, s35, v72
	v_add_u32_e32 v24, s38, v72
	v_add_u32_e32 v26, s39, v72
	v_add_u32_e32 v28, s40, v72
	v_lshl_add_u64 v[14:15], v[14:15], 2, s[0:1]
	v_ashrrev_i32_e32 v17, 31, v16
	v_ashrrev_i32_e32 v19, 31, v18
	v_ashrrev_i32_e32 v21, 31, v20
	v_ashrrev_i32_e32 v23, 31, v22
	v_ashrrev_i32_e32 v25, 31, v24
	v_ashrrev_i32_e32 v27, 31, v26
	v_ashrrev_i32_e32 v29, 31, v28
	v_lshl_add_u64 v[16:17], v[16:17], 2, s[0:1]
	v_lshl_add_u64 v[18:19], v[18:19], 2, s[0:1]
	v_lshl_add_u64 v[20:21], v[20:21], 2, s[0:1]
	;; [unrolled: 1-line block ×6, first 2 shown]
	global_load_dword v65, v[14:15], off
	global_load_dword v66, v[16:17], off
	;; [unrolled: 1-line block ×8, first 2 shown]
	v_add_u32_e32 v14, s41, v72
	v_ashrrev_i32_e32 v15, 31, v14
	v_add_u32_e32 v16, s42, v72
	v_add_u32_e32 v18, s43, v72
	;; [unrolled: 1-line block ×5, first 2 shown]
	v_lshl_add_u64 v[14:15], v[14:15], 2, s[0:1]
	v_ashrrev_i32_e32 v17, 31, v16
	v_ashrrev_i32_e32 v19, 31, v18
	;; [unrolled: 1-line block ×5, first 2 shown]
	v_lshl_add_u64 v[16:17], v[16:17], 2, s[0:1]
	v_lshl_add_u64 v[18:19], v[18:19], 2, s[0:1]
	;; [unrolled: 1-line block ×5, first 2 shown]
	global_load_dword v78, v[14:15], off
	global_load_dword v79, v[16:17], off
	;; [unrolled: 1-line block ×6, first 2 shown]
	ds_read_b64 v[22:23], v74 offset:128
	ds_read_b64 v[18:19], v74 offset:160
	ds_read_b64 v[16:17], v74 offset:192
	ds_read_b64 v[14:15], v74 offset:224
	s_waitcnt vmcnt(47)
	ds_write_b32 v73, v30
	s_waitcnt vmcnt(46)
	ds_write_b32 v73, v31 offset:264
	s_waitcnt vmcnt(45)
	ds_write_b32 v73, v0 offset:528
	s_waitcnt vmcnt(44)
	ds_write_b32 v73, v32 offset:792
	s_waitcnt vmcnt(43)
	ds_write_b32 v73, v33 offset:1056
	s_waitcnt vmcnt(42)
	ds_write_b32 v73, v34 offset:1320
	s_waitcnt vmcnt(41)
	ds_write_b32 v73, v35 offset:1584
	s_waitcnt vmcnt(40)
	ds_write_b32 v73, v36 offset:1848
	s_waitcnt vmcnt(39)
	ds_write_b32 v73, v37 offset:2112
	s_waitcnt vmcnt(38)
	ds_write_b32 v73, v38 offset:2376
	s_waitcnt vmcnt(37)
	ds_write_b32 v73, v39 offset:2640
	s_waitcnt vmcnt(36)
	ds_write_b32 v73, v40 offset:2904
	s_waitcnt vmcnt(35)
	ds_write_b32 v73, v41 offset:3168
	s_waitcnt vmcnt(34)
	ds_write_b32 v73, v42 offset:3432
	s_waitcnt vmcnt(33)
	ds_write_b32 v73, v43 offset:3696
	s_waitcnt vmcnt(32)
	ds_write_b32 v73, v44 offset:3960
	ds_read_b64 v[46:47], v74
	ds_read_b64 v[42:43], v74 offset:32
	ds_read_b64 v[38:39], v74 offset:64
	ds_read_b64 v[34:35], v74 offset:96
	ds_read_b64 v[30:31], v74 offset:128
	ds_read_b64 v[26:27], v74 offset:160
	ds_read_b64 v[24:25], v74 offset:192
	ds_read_b64 v[20:21], v74 offset:224
	s_waitcnt vmcnt(31)
	ds_write_b32 v73, v45
	s_waitcnt vmcnt(30)
	ds_write_b32 v73, v48 offset:264
	s_waitcnt vmcnt(29)
	ds_write_b32 v73, v49 offset:528
	s_waitcnt vmcnt(28)
	ds_write_b32 v73, v50 offset:792
	s_waitcnt vmcnt(27)
	ds_write_b32 v73, v51 offset:1056
	s_waitcnt vmcnt(26)
	ds_write_b32 v73, v52 offset:1320
	s_waitcnt vmcnt(25)
	ds_write_b32 v73, v53 offset:1584
	s_waitcnt vmcnt(24)
	ds_write_b32 v73, v54 offset:1848
	s_waitcnt vmcnt(23)
	ds_write_b32 v73, v55 offset:2112
	s_waitcnt vmcnt(22)
	ds_write_b32 v73, v56 offset:2376
	s_waitcnt vmcnt(21)
	ds_write_b32 v73, v57 offset:2640
	s_waitcnt vmcnt(20)
	ds_write_b32 v73, v58 offset:2904
	s_waitcnt vmcnt(19)
	ds_write_b32 v73, v59 offset:3168
	s_waitcnt vmcnt(18)
	ds_write_b32 v73, v60 offset:3432
	s_waitcnt vmcnt(17)
	ds_write_b32 v73, v61 offset:3696
	s_waitcnt vmcnt(16)
	ds_write_b32 v73, v62 offset:3960
	ds_read_b64 v[56:57], v74
	ds_read_b64 v[52:53], v74 offset:32
	ds_read_b64 v[50:51], v74 offset:64
	ds_read_b64 v[44:45], v74 offset:96
	;; [unrolled: 40-line block ×3, first 2 shown]
	ds_read_b64 v[60:61], v74 offset:128
	ds_read_b64 v[58:59], v74 offset:160
	ds_read_b64 v[54:55], v74 offset:192
	ds_read_b64 v[48:49], v74 offset:224
	v_mov_b32_e32 v0, 0
	s_cbranch_vccnz .LBB81_9
; %bb.7:                                ;   in Loop: Header=BB81_6 Depth=1
	s_load_dword vcc_lo, s[36:37], 0x0
	v_mov_b32_e32 v0, 0
	s_waitcnt lgkmcnt(0)
	s_mul_hi_u32 vcc_hi, vcc_lo, s16
	s_add_i32 vcc_hi, vcc_lo, vcc_hi
	s_lshr_b32 s46, vcc_hi, s17
	s_cmp_ge_i32 s46, s13
	s_cbranch_scc1 .LBB81_9
; %bb.8:                                ;   in Loop: Header=BB81_6 Depth=1
	s_mul_i32 vcc_hi, s46, s18
	s_sub_i32 s47, vcc_lo, vcc_hi
	s_mul_i32 s47, s47, s9
	s_mul_i32 s46, s46, s20
	s_add_i32 s46, s46, s47
	v_add_u32_e32 v76, s46, v72
	v_ashrrev_i32_e32 v77, 31, v76
	v_lshl_add_u64 v[76:77], v[76:77], 2, s[6:7]
	global_load_dword v0, v[76:77], off
.LBB81_9:                               ;   in Loop: Header=BB81_6 Depth=1
	v_readlane_b32 s46, v90, 13
	v_readlane_b32 s47, v90, 14
	v_mov_b32_e32 v75, 0
	s_andn2_b64 vcc, exec, s[46:47]
	v_mov_b32_e32 v76, 0
	s_cbranch_vccnz .LBB81_12
; %bb.10:                               ;   in Loop: Header=BB81_6 Depth=1
	s_load_dword vcc_lo, s[36:37], 0x4
	v_mov_b32_e32 v76, 0
	s_waitcnt lgkmcnt(0)
	s_mul_hi_u32 s46, vcc_lo, s16
	s_add_i32 s46, vcc_lo, s46
	s_lshr_b32 vcc_hi, s46, s17
	s_cmp_ge_i32 vcc_hi, s13
	s_cbranch_scc1 .LBB81_12
; %bb.11:                               ;   in Loop: Header=BB81_6 Depth=1
	s_mul_i32 s46, vcc_hi, s18
	s_sub_i32 s46, vcc_lo, s46
	s_mul_i32 s46, s46, s9
	s_mul_i32 s47, vcc_hi, s20
	s_add_i32 s47, s47, s46
	v_add_u32_e32 v76, s47, v72
	v_ashrrev_i32_e32 v77, 31, v76
	v_lshl_add_u64 v[76:77], v[76:77], 2, s[6:7]
	global_load_dword v76, v[76:77], off
.LBB81_12:                              ;   in Loop: Header=BB81_6 Depth=1
	v_readlane_b32 s46, v90, 15
	v_readlane_b32 s47, v90, 16
	s_andn2_b64 vcc, exec, s[46:47]
	s_cbranch_vccnz .LBB81_15
; %bb.13:                               ;   in Loop: Header=BB81_6 Depth=1
	s_load_dword vcc_lo, s[36:37], 0x8
	v_mov_b32_e32 v75, 0
	s_waitcnt lgkmcnt(0)
	s_mul_hi_u32 s46, vcc_lo, s16
	s_add_i32 s46, vcc_lo, s46
	s_lshr_b32 vcc_hi, s46, s17
	s_cmp_ge_i32 vcc_hi, s13
	s_cbranch_scc1 .LBB81_15
; %bb.14:                               ;   in Loop: Header=BB81_6 Depth=1
	s_mul_i32 s46, vcc_hi, s18
	s_sub_i32 s46, vcc_lo, s46
	s_mul_i32 s46, s46, s9
	s_mul_i32 s47, vcc_hi, s20
	s_add_i32 s47, s47, s46
	v_add_u32_e32 v78, s47, v72
	v_ashrrev_i32_e32 v79, 31, v78
	v_lshl_add_u64 v[78:79], v[78:79], 2, s[6:7]
	global_load_dword v75, v[78:79], off
.LBB81_15:                              ;   in Loop: Header=BB81_6 Depth=1
	v_readlane_b32 s46, v90, 17
	v_readlane_b32 s47, v90, 18
	v_mov_b32_e32 v77, 0
	s_andn2_b64 vcc, exec, s[46:47]
	v_mov_b32_e32 v78, 0
	s_cbranch_vccnz .LBB81_18
; %bb.16:                               ;   in Loop: Header=BB81_6 Depth=1
	s_load_dword vcc_lo, s[36:37], 0xc
	v_mov_b32_e32 v78, 0
	s_waitcnt lgkmcnt(0)
	s_mul_hi_u32 s46, vcc_lo, s16
	s_add_i32 s46, vcc_lo, s46
	s_lshr_b32 vcc_hi, s46, s17
	s_cmp_ge_i32 vcc_hi, s13
	s_cbranch_scc1 .LBB81_18
; %bb.17:                               ;   in Loop: Header=BB81_6 Depth=1
	s_mul_i32 s46, vcc_hi, s18
	s_sub_i32 s46, vcc_lo, s46
	s_mul_i32 s46, s46, s9
	s_mul_i32 s47, vcc_hi, s20
	s_add_i32 s47, s47, s46
	v_add_u32_e32 v78, s47, v72
	v_ashrrev_i32_e32 v79, 31, v78
	v_lshl_add_u64 v[78:79], v[78:79], 2, s[6:7]
	global_load_dword v78, v[78:79], off
.LBB81_18:                              ;   in Loop: Header=BB81_6 Depth=1
	v_readlane_b32 s46, v90, 19
	v_readlane_b32 s47, v90, 20
	s_andn2_b64 vcc, exec, s[46:47]
	s_cbranch_vccnz .LBB81_21
; %bb.19:                               ;   in Loop: Header=BB81_6 Depth=1
	s_load_dword vcc_lo, s[36:37], 0x10
	v_mov_b32_e32 v77, 0
	s_waitcnt lgkmcnt(0)
	s_mul_hi_u32 s46, vcc_lo, s16
	s_add_i32 s46, vcc_lo, s46
	s_lshr_b32 vcc_hi, s46, s17
	s_cmp_ge_i32 vcc_hi, s13
	s_cbranch_scc1 .LBB81_21
; %bb.20:                               ;   in Loop: Header=BB81_6 Depth=1
	s_mul_i32 s46, vcc_hi, s18
	s_sub_i32 s46, vcc_lo, s46
	s_mul_i32 s46, s46, s9
	s_mul_i32 s47, vcc_hi, s20
	s_add_i32 s47, s47, s46
	v_add_u32_e32 v80, s47, v72
	v_ashrrev_i32_e32 v81, 31, v80
	v_lshl_add_u64 v[80:81], v[80:81], 2, s[6:7]
	global_load_dword v77, v[80:81], off
.LBB81_21:                              ;   in Loop: Header=BB81_6 Depth=1
	v_readlane_b32 s46, v90, 21
	v_readlane_b32 s47, v90, 22
	v_mov_b32_e32 v79, 0
	s_andn2_b64 vcc, exec, s[46:47]
	v_mov_b32_e32 v80, 0
	s_cbranch_vccnz .LBB81_24
; %bb.22:                               ;   in Loop: Header=BB81_6 Depth=1
	s_load_dword vcc_lo, s[36:37], 0x14
	v_mov_b32_e32 v80, 0
	s_waitcnt lgkmcnt(0)
	s_mul_hi_u32 s46, vcc_lo, s16
	s_add_i32 s46, vcc_lo, s46
	s_lshr_b32 vcc_hi, s46, s17
	s_cmp_ge_i32 vcc_hi, s13
	s_cbranch_scc1 .LBB81_24
; %bb.23:                               ;   in Loop: Header=BB81_6 Depth=1
	s_mul_i32 s46, vcc_hi, s18
	s_sub_i32 s46, vcc_lo, s46
	s_mul_i32 s46, s46, s9
	s_mul_i32 s47, vcc_hi, s20
	s_add_i32 s47, s47, s46
	v_add_u32_e32 v80, s47, v72
	v_ashrrev_i32_e32 v81, 31, v80
	v_lshl_add_u64 v[80:81], v[80:81], 2, s[6:7]
	global_load_dword v80, v[80:81], off
.LBB81_24:                              ;   in Loop: Header=BB81_6 Depth=1
	s_andn2_b64 vcc, exec, s[48:49]
	s_cbranch_vccnz .LBB81_27
; %bb.25:                               ;   in Loop: Header=BB81_6 Depth=1
	s_load_dword vcc_lo, s[36:37], 0x18
	v_mov_b32_e32 v79, 0
	s_waitcnt lgkmcnt(0)
	s_mul_hi_u32 s46, vcc_lo, s16
	s_add_i32 s46, vcc_lo, s46
	s_lshr_b32 vcc_hi, s46, s17
	s_cmp_ge_i32 vcc_hi, s13
	s_cbranch_scc1 .LBB81_27
; %bb.26:                               ;   in Loop: Header=BB81_6 Depth=1
	s_mul_i32 s46, vcc_hi, s18
	s_sub_i32 s46, vcc_lo, s46
	s_mul_i32 s46, s46, s9
	s_mul_i32 s47, vcc_hi, s20
	s_add_i32 s47, s47, s46
	v_add_u32_e32 v82, s47, v72
	v_ashrrev_i32_e32 v83, 31, v82
	v_lshl_add_u64 v[82:83], v[82:83], 2, s[6:7]
	global_load_dword v79, v[82:83], off
.LBB81_27:                              ;   in Loop: Header=BB81_6 Depth=1
	v_mov_b32_e32 v81, 0
	s_andn2_b64 vcc, exec, s[50:51]
	v_mov_b32_e32 v82, 0
	s_cbranch_vccnz .LBB81_30
; %bb.28:                               ;   in Loop: Header=BB81_6 Depth=1
	s_load_dword vcc_lo, s[36:37], 0x1c
	v_mov_b32_e32 v82, 0
	s_waitcnt lgkmcnt(0)
	s_mul_hi_u32 s46, vcc_lo, s16
	s_add_i32 s46, vcc_lo, s46
	s_lshr_b32 vcc_hi, s46, s17
	s_cmp_ge_i32 vcc_hi, s13
	s_cbranch_scc1 .LBB81_30
; %bb.29:                               ;   in Loop: Header=BB81_6 Depth=1
	s_mul_i32 s46, vcc_hi, s18
	s_sub_i32 s46, vcc_lo, s46
	s_mul_i32 s46, s46, s9
	s_mul_i32 s47, vcc_hi, s20
	s_add_i32 s47, s47, s46
	v_add_u32_e32 v82, s47, v72
	v_ashrrev_i32_e32 v83, 31, v82
	v_lshl_add_u64 v[82:83], v[82:83], 2, s[6:7]
	global_load_dword v82, v[82:83], off
.LBB81_30:                              ;   in Loop: Header=BB81_6 Depth=1
	s_andn2_b64 vcc, exec, s[52:53]
	s_cbranch_vccnz .LBB81_33
; %bb.31:                               ;   in Loop: Header=BB81_6 Depth=1
	s_load_dword vcc_lo, s[36:37], 0x20
	v_mov_b32_e32 v81, 0
	s_waitcnt lgkmcnt(0)
	s_mul_hi_u32 s46, vcc_lo, s16
	s_add_i32 s46, vcc_lo, s46
	s_lshr_b32 vcc_hi, s46, s17
	s_cmp_ge_i32 vcc_hi, s13
	s_cbranch_scc1 .LBB81_33
; %bb.32:                               ;   in Loop: Header=BB81_6 Depth=1
	s_mul_i32 s46, vcc_hi, s18
	s_sub_i32 s46, vcc_lo, s46
	s_mul_i32 s46, s46, s9
	s_mul_i32 s47, vcc_hi, s20
	s_add_i32 s47, s47, s46
	v_add_u32_e32 v84, s47, v72
	v_ashrrev_i32_e32 v85, 31, v84
	v_lshl_add_u64 v[84:85], v[84:85], 2, s[6:7]
	global_load_dword v81, v[84:85], off
.LBB81_33:                              ;   in Loop: Header=BB81_6 Depth=1
	;; [unrolled: 46-line block ×3, first 2 shown]
	v_mov_b32_e32 v85, 0
	s_andn2_b64 vcc, exec, s[58:59]
	v_mov_b32_e32 v86, 0
	s_cbranch_vccnz .LBB81_42
; %bb.40:                               ;   in Loop: Header=BB81_6 Depth=1
	s_load_dword vcc_lo, s[36:37], 0x2c
	v_mov_b32_e32 v86, 0
	s_waitcnt lgkmcnt(0)
	s_mul_hi_u32 s46, vcc_lo, s16
	s_add_i32 s46, vcc_lo, s46
	s_lshr_b32 vcc_hi, s46, s17
	s_cmp_ge_i32 vcc_hi, s13
	s_cbranch_scc1 .LBB81_42
; %bb.41:                               ;   in Loop: Header=BB81_6 Depth=1
	s_mul_i32 s46, vcc_hi, s18
	s_sub_i32 s46, vcc_lo, s46
	s_mul_i32 s46, s46, s9
	s_mul_i32 s47, vcc_hi, s20
	s_add_i32 s47, s47, s46
	v_add_u32_e32 v86, s47, v72
	v_ashrrev_i32_e32 v87, 31, v86
	v_lshl_add_u64 v[86:87], v[86:87], 2, s[6:7]
	global_load_dword v86, v[86:87], off
.LBB81_42:                              ;   in Loop: Header=BB81_6 Depth=1
	s_andn2_b64 vcc, exec, s[60:61]
	s_cbranch_vccnz .LBB81_5
; %bb.43:                               ;   in Loop: Header=BB81_6 Depth=1
	s_load_dword vcc_lo, s[36:37], 0x30
	v_mov_b32_e32 v85, 0
	s_waitcnt lgkmcnt(0)
	s_mul_hi_u32 s46, vcc_lo, s16
	s_add_i32 s46, vcc_lo, s46
	s_lshr_b32 vcc_hi, s46, s17
	s_cmp_ge_i32 vcc_hi, s13
	s_cbranch_scc1 .LBB81_5
; %bb.44:                               ;   in Loop: Header=BB81_6 Depth=1
	s_mul_i32 s46, vcc_hi, s18
	s_sub_i32 s46, vcc_lo, s46
	s_mul_i32 s46, s46, s9
	s_mul_i32 s47, vcc_hi, s20
	s_add_i32 s47, s47, s46
	v_add_u32_e32 v88, s47, v72
	v_ashrrev_i32_e32 v89, 31, v88
	v_lshl_add_u64 v[88:89], v[88:89], 2, s[6:7]
	global_load_dword v85, v[88:89], off
	s_branch .LBB81_5
.LBB81_45:
	s_or_b64 exec, exec, s[4:5]
	v_readlane_b32 s24, v90, 6
	v_readlane_b32 s30, v90, 9
	;; [unrolled: 1-line block ×12, first 2 shown]
.LBB81_46:
	s_or_b64 exec, exec, s[36:37]
	v_lshl_add_u32 v0, v70, 2, 0
	v_mul_u32_u24_e32 v1, 0x308, v71
	v_and_b32_e32 v4, 0x3f0, v3
	v_add3_u32 v0, v0, v1, v4
	v_accvgpr_read_b32 v1, a13
	v_accvgpr_read_b32 v4, a12
	s_barrier
	ds_write2_b32 v0, v4, v1 offset1:1
	v_accvgpr_read_b32 v1, a15
	v_accvgpr_read_b32 v4, a14
	ds_write2_b32 v0, v4, v1 offset0:2 offset1:3
	v_accvgpr_read_b32 v1, a9
	v_accvgpr_read_b32 v4, a8
	ds_write2_b32 v0, v4, v1 offset0:16 offset1:17
	v_accvgpr_read_b32 v1, a11
	v_accvgpr_read_b32 v4, a10
	ds_write2_b32 v0, v4, v1 offset0:18 offset1:19
	v_accvgpr_read_b32 v1, a5
	v_accvgpr_read_b32 v4, a4
	s_lshl_b64 s[0:1], s[30:31], 2
	ds_write2_b32 v0, v4, v1 offset0:32 offset1:33
	v_accvgpr_read_b32 v1, a7
	v_accvgpr_read_b32 v4, a6
	s_add_u32 s4, s22, s0
	ds_write2_b32 v0, v4, v1 offset0:34 offset1:35
	v_accvgpr_read_b32 v1, a1
	v_accvgpr_read_b32 v4, a0
	s_addc_u32 s5, s23, s1
	ds_write2_b32 v0, v4, v1 offset0:48 offset1:49
	v_accvgpr_read_b32 v1, a3
	v_accvgpr_read_b32 v4, a2
	ds_write2_b32 v0, v4, v1 offset0:50 offset1:51
	s_cmp_gt_i32 s14, 0
	v_add_u32_e32 v0, s28, v2
	s_cselect_b64 s[6:7], -1, 0
	v_cmp_gt_i32_e64 s[0:1], s26, v0
	v_cmp_gt_u32_e32 vcc, 13, v2
	s_and_b64 s[0:1], s[6:7], s[0:1]
	v_lshl_add_u32 v5, v3, 2, 0
	v_add_u32_e32 v4, s11, v3
	v_mul_u32_u24_e32 v6, 0x308, v2
	s_and_b64 s[2:3], vcc, s[0:1]
	s_waitcnt lgkmcnt(0)
	s_barrier
	s_and_saveexec_b64 s[0:1], s[2:3]
	v_readlane_b32 s8, v90, 0
	v_readlane_b32 s9, v90, 1
	s_cbranch_execz .LBB81_49
; %bb.47:
	v_ashrrev_i32_e32 v1, 31, v0
	v_lshl_add_u64 v[8:9], v[0:1], 2, s[4:5]
	global_load_dword v3, v[8:9], off
	s_waitcnt vmcnt(0)
	v_mul_hi_u32 v1, v3, s19
	v_add_u32_e32 v1, v3, v1
	v_lshrrev_b32_e32 v1, s24, v1
	v_cmp_gt_i32_e32 vcc, s13, v1
	s_and_b64 exec, exec, vcc
	s_cbranch_execz .LBB81_49
; %bb.48:
	v_add_u32_e32 v7, v5, v6
	ds_read2st64_b32 v[8:9], v7 offset1:1
	ds_read_b32 v7, v7 offset:512
	v_mul_lo_u32 v10, v1, s25
	v_sub_u32_e32 v3, v3, v10
	v_mul_lo_u32 v3, v3, s10
	s_waitcnt lgkmcnt(1)
	v_add_f32_e32 v8, 0, v8
	v_add_f32_e32 v8, v8, v9
	v_mul_lo_u32 v1, v1, s21
	s_waitcnt lgkmcnt(0)
	v_add_f32_e32 v7, v8, v7
	v_add3_u32 v8, v4, v1, v3
	v_mov_b32_e32 v9, 0
	v_lshl_add_u64 v[8:9], v[8:9], 2, s[8:9]
	global_store_dword v[8:9], v7, off
.LBB81_49:
	s_or_b64 exec, exec, s[0:1]
	v_add_u32_e32 v1, 3, v0
	v_cmp_gt_i32_e64 s[0:1], s26, v1
	v_cmp_gt_u32_e32 vcc, 10, v2
	s_and_b64 s[0:1], s[6:7], s[0:1]
	s_and_b64 s[2:3], vcc, s[0:1]
	s_and_saveexec_b64 s[0:1], s[2:3]
	s_cbranch_execz .LBB81_52
; %bb.50:
	s_ashr_i32 s29, s28, 31
	v_mov_b32_e32 v3, 0
	v_lshl_add_u64 v[8:9], v[2:3], 0, s[28:29]
	v_lshl_add_u64 v[8:9], v[8:9], 2, s[4:5]
	global_load_dword v7, v[8:9], off offset:12
	s_waitcnt vmcnt(0)
	v_mul_hi_u32 v1, v7, s19
	v_add_u32_e32 v1, v7, v1
	v_lshrrev_b32_e32 v1, s24, v1
	v_cmp_gt_i32_e32 vcc, s13, v1
	s_and_b64 exec, exec, vcc
	s_cbranch_execz .LBB81_52
; %bb.51:
	v_add_u32_e32 v10, v6, v5
	v_add_u32_e32 v8, 24, v10
	ds_read2st64_b32 v[8:9], v8 offset0:9 offset1:10
	ds_read_b32 v10, v10 offset:2840
	v_mul_lo_u32 v11, v1, s25
	v_sub_u32_e32 v7, v7, v11
	v_mul_lo_u32 v7, v7, s10
	s_waitcnt lgkmcnt(1)
	v_add_f32_e32 v8, 0, v8
	v_add_f32_e32 v8, v8, v9
	v_mul_lo_u32 v1, v1, s21
	s_waitcnt lgkmcnt(0)
	v_add_f32_e32 v10, v8, v10
	v_add3_u32 v8, v4, v1, v7
	v_mov_b32_e32 v9, v3
	v_lshl_add_u64 v[8:9], v[8:9], 2, s[8:9]
	global_store_dword v[8:9], v10, off
.LBB81_52:
	s_or_b64 exec, exec, s[0:1]
	v_add_u32_e32 v1, 6, v0
	v_cmp_gt_i32_e64 s[0:1], s26, v1
	v_cmp_gt_u32_e32 vcc, 7, v2
	s_and_b64 s[0:1], s[6:7], s[0:1]
	s_and_b64 s[2:3], vcc, s[0:1]
	s_and_saveexec_b64 s[0:1], s[2:3]
	s_cbranch_execz .LBB81_55
; %bb.53:
	s_ashr_i32 s29, s28, 31
	v_mov_b32_e32 v3, 0
	v_lshl_add_u64 v[8:9], v[2:3], 0, s[28:29]
	v_lshl_add_u64 v[8:9], v[8:9], 2, s[4:5]
	global_load_dword v7, v[8:9], off offset:24
	s_waitcnt vmcnt(0)
	v_mul_hi_u32 v1, v7, s19
	v_add_u32_e32 v1, v7, v1
	v_lshrrev_b32_e32 v1, s24, v1
	v_cmp_gt_i32_e32 vcc, s13, v1
	s_and_b64 exec, exec, vcc
	s_cbranch_execz .LBB81_55
; %bb.54:
	v_add_u32_e32 v10, v5, v6
	v_add_u32_e32 v8, 48, v10
	ds_read2st64_b32 v[8:9], v8 offset0:18 offset1:19
	ds_read_b32 v10, v10 offset:5168
	v_mul_lo_u32 v11, v1, s25
	v_sub_u32_e32 v7, v7, v11
	v_mul_lo_u32 v7, v7, s10
	s_waitcnt lgkmcnt(1)
	v_add_f32_e32 v8, 0, v8
	v_add_f32_e32 v8, v8, v9
	v_mul_lo_u32 v1, v1, s21
	s_waitcnt lgkmcnt(0)
	v_add_f32_e32 v10, v8, v10
	v_add3_u32 v8, v4, v1, v7
	v_mov_b32_e32 v9, v3
	v_lshl_add_u64 v[8:9], v[8:9], 2, s[8:9]
	global_store_dword v[8:9], v10, off
.LBB81_55:
	s_or_b64 exec, exec, s[0:1]
	v_add_u32_e32 v0, 9, v0
	v_cmp_gt_i32_e64 s[0:1], s26, v0
	v_cmp_gt_u32_e32 vcc, 4, v2
	s_and_b64 s[0:1], s[6:7], s[0:1]
	s_and_b64 s[2:3], vcc, s[0:1]
	s_and_saveexec_b64 s[0:1], s[2:3]
	s_cbranch_execz .LBB81_58
; %bb.56:
	s_ashr_i32 s29, s28, 31
	v_mov_b32_e32 v3, 0
	v_lshl_add_u64 v[0:1], v[2:3], 0, s[28:29]
	v_lshl_add_u64 v[0:1], v[0:1], 2, s[4:5]
	global_load_dword v1, v[0:1], off offset:36
	s_waitcnt vmcnt(0)
	v_mul_hi_u32 v0, v1, s19
	v_add_u32_e32 v0, v1, v0
	v_lshrrev_b32_e32 v0, s24, v0
	v_cmp_gt_i32_e32 vcc, s13, v0
	s_and_b64 exec, exec, vcc
	s_cbranch_execz .LBB81_58
; %bb.57:
	v_add_u32_e32 v8, v5, v6
	v_add_u32_e32 v6, 0x48, v8
	ds_read2st64_b32 v[6:7], v6 offset0:27 offset1:28
	ds_read_b32 v8, v8 offset:7496
	v_mul_lo_u32 v9, v0, s25
	v_sub_u32_e32 v1, v1, v9
	v_mul_lo_u32 v1, v1, s10
	s_waitcnt lgkmcnt(1)
	v_add_f32_e32 v6, 0, v6
	v_mul_lo_u32 v0, v0, s21
	v_add_f32_e32 v6, v6, v7
	v_add3_u32 v0, v4, v0, v1
	v_mov_b32_e32 v1, v3
	s_waitcnt lgkmcnt(0)
	v_add_f32_e32 v6, v6, v8
	v_lshl_add_u64 v[0:1], v[0:1], 2, s[8:9]
	global_store_dword v[0:1], v6, off
.LBB81_58:
	s_or_b64 exec, exec, s[0:1]
	v_cmp_eq_u32_e32 vcc, 0, v2
	s_and_saveexec_b64 s[0:1], vcc
	s_cbranch_execz .LBB81_62
; %bb.59:
	s_add_i32 s0, s28, 12
	s_cmp_ge_i32 s0, s26
	s_cselect_b64 s[0:1], -1, 0
	s_xor_b64 s[2:3], s[6:7], -1
	s_or_b64 s[0:1], s[2:3], s[0:1]
	s_and_b64 vcc, exec, s[0:1]
	s_cbranch_vccnz .LBB81_62
; %bb.60:
	s_ashr_i32 s29, s28, 31
	s_lshl_b64 s[0:1], s[28:29], 2
	s_add_u32 s0, s4, s0
	s_addc_u32 s1, s5, s1
	s_load_dword s1, s[0:1], 0x30
	s_waitcnt lgkmcnt(0)
	s_mul_hi_u32 s0, s1, s19
	s_add_i32 s0, s1, s0
	s_lshr_b32 s0, s0, s24
	s_cmp_ge_i32 s0, s13
	s_cbranch_scc1 .LBB81_62
; %bb.61:
	v_add_u32_e32 v0, 0x60, v5
	ds_read2st64_b32 v[0:1], v0 offset0:36 offset1:37
	ds_read_b32 v2, v5 offset:9824
	s_mul_i32 s2, s0, s25
	s_sub_i32 s1, s1, s2
	s_mul_i32 s1, s1, s10
	s_waitcnt lgkmcnt(1)
	v_add_f32_e32 v0, 0, v0
	s_mul_i32 s0, s0, s21
	v_add_f32_e32 v0, v0, v1
	s_add_i32 s1, s1, s0
	s_waitcnt lgkmcnt(0)
	v_add_f32_e32 v2, v0, v2
	v_add_u32_e32 v0, s1, v4
	v_mov_b32_e32 v1, 0
	v_lshl_add_u64 v[0:1], v[0:1], 2, s[8:9]
	global_store_dword v[0:1], v2, off
.LBB81_62:
	s_endpgm
	.section	.rodata,"a",@progbits
	.p2align	6, 0x0
	.amdhsa_kernel _ZL13mul_mat_f_idsIfLi64ELi13ELi3EEvPKT_PKfPKiS6_S6_Pfiiiiiiiiiiiiii15HIP_vector_typeIjLj3EES9_
		.amdhsa_group_segment_fixed_size 0
		.amdhsa_private_segment_fixed_size 0
		.amdhsa_kernarg_size 128
		.amdhsa_user_sgpr_count 2
		.amdhsa_user_sgpr_dispatch_ptr 0
		.amdhsa_user_sgpr_queue_ptr 0
		.amdhsa_user_sgpr_kernarg_segment_ptr 1
		.amdhsa_user_sgpr_dispatch_id 0
		.amdhsa_user_sgpr_kernarg_preload_length 0
		.amdhsa_user_sgpr_kernarg_preload_offset 0
		.amdhsa_user_sgpr_private_segment_size 0
		.amdhsa_uses_dynamic_stack 0
		.amdhsa_enable_private_segment 0
		.amdhsa_system_sgpr_workgroup_id_x 1
		.amdhsa_system_sgpr_workgroup_id_y 1
		.amdhsa_system_sgpr_workgroup_id_z 1
		.amdhsa_system_sgpr_workgroup_info 0
		.amdhsa_system_vgpr_workitem_id 1
		.amdhsa_next_free_vgpr 108
		.amdhsa_next_free_sgpr 100
		.amdhsa_accum_offset 92
		.amdhsa_reserve_vcc 1
		.amdhsa_float_round_mode_32 0
		.amdhsa_float_round_mode_16_64 0
		.amdhsa_float_denorm_mode_32 3
		.amdhsa_float_denorm_mode_16_64 3
		.amdhsa_dx10_clamp 1
		.amdhsa_ieee_mode 1
		.amdhsa_fp16_overflow 0
		.amdhsa_tg_split 0
		.amdhsa_exception_fp_ieee_invalid_op 0
		.amdhsa_exception_fp_denorm_src 0
		.amdhsa_exception_fp_ieee_div_zero 0
		.amdhsa_exception_fp_ieee_overflow 0
		.amdhsa_exception_fp_ieee_underflow 0
		.amdhsa_exception_fp_ieee_inexact 0
		.amdhsa_exception_int_div_zero 0
	.end_amdhsa_kernel
	.section	.text._ZL13mul_mat_f_idsIfLi64ELi13ELi3EEvPKT_PKfPKiS6_S6_Pfiiiiiiiiiiiiii15HIP_vector_typeIjLj3EES9_,"axG",@progbits,_ZL13mul_mat_f_idsIfLi64ELi13ELi3EEvPKT_PKfPKiS6_S6_Pfiiiiiiiiiiiiii15HIP_vector_typeIjLj3EES9_,comdat
.Lfunc_end81:
	.size	_ZL13mul_mat_f_idsIfLi64ELi13ELi3EEvPKT_PKfPKiS6_S6_Pfiiiiiiiiiiiiii15HIP_vector_typeIjLj3EES9_, .Lfunc_end81-_ZL13mul_mat_f_idsIfLi64ELi13ELi3EEvPKT_PKfPKiS6_S6_Pfiiiiiiiiiiiiii15HIP_vector_typeIjLj3EES9_
                                        ; -- End function
	.set _ZL13mul_mat_f_idsIfLi64ELi13ELi3EEvPKT_PKfPKiS6_S6_Pfiiiiiiiiiiiiii15HIP_vector_typeIjLj3EES9_.num_vgpr, 91
	.set _ZL13mul_mat_f_idsIfLi64ELi13ELi3EEvPKT_PKfPKiS6_S6_Pfiiiiiiiiiiiiii15HIP_vector_typeIjLj3EES9_.num_agpr, 16
	.set _ZL13mul_mat_f_idsIfLi64ELi13ELi3EEvPKT_PKfPKiS6_S6_Pfiiiiiiiiiiiiii15HIP_vector_typeIjLj3EES9_.numbered_sgpr, 100
	.set _ZL13mul_mat_f_idsIfLi64ELi13ELi3EEvPKT_PKfPKiS6_S6_Pfiiiiiiiiiiiiii15HIP_vector_typeIjLj3EES9_.num_named_barrier, 0
	.set _ZL13mul_mat_f_idsIfLi64ELi13ELi3EEvPKT_PKfPKiS6_S6_Pfiiiiiiiiiiiiii15HIP_vector_typeIjLj3EES9_.private_seg_size, 0
	.set _ZL13mul_mat_f_idsIfLi64ELi13ELi3EEvPKT_PKfPKiS6_S6_Pfiiiiiiiiiiiiii15HIP_vector_typeIjLj3EES9_.uses_vcc, 1
	.set _ZL13mul_mat_f_idsIfLi64ELi13ELi3EEvPKT_PKfPKiS6_S6_Pfiiiiiiiiiiiiii15HIP_vector_typeIjLj3EES9_.uses_flat_scratch, 0
	.set _ZL13mul_mat_f_idsIfLi64ELi13ELi3EEvPKT_PKfPKiS6_S6_Pfiiiiiiiiiiiiii15HIP_vector_typeIjLj3EES9_.has_dyn_sized_stack, 0
	.set _ZL13mul_mat_f_idsIfLi64ELi13ELi3EEvPKT_PKfPKiS6_S6_Pfiiiiiiiiiiiiii15HIP_vector_typeIjLj3EES9_.has_recursion, 0
	.set _ZL13mul_mat_f_idsIfLi64ELi13ELi3EEvPKT_PKfPKiS6_S6_Pfiiiiiiiiiiiiii15HIP_vector_typeIjLj3EES9_.has_indirect_call, 0
	.section	.AMDGPU.csdata,"",@progbits
; Kernel info:
; codeLenInByte = 7188
; TotalNumSgprs: 106
; NumVgprs: 91
; NumAgprs: 16
; TotalNumVgprs: 108
; ScratchSize: 0
; MemoryBound: 0
; FloatMode: 240
; IeeeMode: 1
; LDSByteSize: 0 bytes/workgroup (compile time only)
; SGPRBlocks: 13
; VGPRBlocks: 13
; NumSGPRsForWavesPerEU: 106
; NumVGPRsForWavesPerEU: 108
; AccumOffset: 92
; Occupancy: 4
; WaveLimiterHint : 1
; COMPUTE_PGM_RSRC2:SCRATCH_EN: 0
; COMPUTE_PGM_RSRC2:USER_SGPR: 2
; COMPUTE_PGM_RSRC2:TRAP_HANDLER: 0
; COMPUTE_PGM_RSRC2:TGID_X_EN: 1
; COMPUTE_PGM_RSRC2:TGID_Y_EN: 1
; COMPUTE_PGM_RSRC2:TGID_Z_EN: 1
; COMPUTE_PGM_RSRC2:TIDIG_COMP_CNT: 1
; COMPUTE_PGM_RSRC3_GFX90A:ACCUM_OFFSET: 22
; COMPUTE_PGM_RSRC3_GFX90A:TG_SPLIT: 0
	.section	.text._ZL9mul_mat_fIfLi64ELi13ELi3ELb1EEvPKT_PKfPKiPfiiiiiiiiiiiiiiii,"axG",@progbits,_ZL9mul_mat_fIfLi64ELi13ELi3ELb1EEvPKT_PKfPKiPfiiiiiiiiiiiiiiii,comdat
	.globl	_ZL9mul_mat_fIfLi64ELi13ELi3ELb1EEvPKT_PKfPKiPfiiiiiiiiiiiiiiii ; -- Begin function _ZL9mul_mat_fIfLi64ELi13ELi3ELb1EEvPKT_PKfPKiPfiiiiiiiiiiiiiiii
	.p2align	8
	.type	_ZL9mul_mat_fIfLi64ELi13ELi3ELb1EEvPKT_PKfPKiPfiiiiiiiiiiiiiiii,@function
_ZL9mul_mat_fIfLi64ELi13ELi3ELb1EEvPKT_PKfPKiPfiiiiiiiiiiiiiiii: ; @_ZL9mul_mat_fIfLi64ELi13ELi3ELb1EEvPKT_PKfPKiPfiiiiiiiiiiiiiiii
; %bb.0:
	s_load_dwordx8 s[44:51], s[0:1], 0x20
	s_mov_b32 s24, s4
	v_bfe_u32 v74, v0, 10, 10
	s_waitcnt lgkmcnt(0)
	s_add_i32 s4, s45, 12
	s_mul_hi_i32 s4, s4, 0x4ec4ec4f
	s_lshr_b32 s5, s4, 31
	s_ashr_i32 s4, s4, 2
	s_add_i32 s4, s4, s5
	v_cvt_f32_u32_e32 v1, s4
	s_load_dword s5, s[0:1], 0x64
	s_add_u32 s14, s0, 0x60
	s_addc_u32 s15, s1, 0
	v_rcp_iflag_f32_e32 v1, v1
	s_sub_i32 s6, 0, s4
	s_load_dwordx4 s[52:55], s[0:1], 0x44
	s_load_dwordx2 s[8:9], s[0:1], 0x10
	v_mul_f32_e32 v1, 0x4f7ffffe, v1
	v_cvt_u32_f32_e32 v1, v1
	v_mul_lo_u32 v2, s6, v1
	v_mul_hi_u32 v2, v1, v2
	v_add_u32_e32 v1, v1, v2
	s_waitcnt lgkmcnt(0)
	v_mul_hi_u32 v1, s5, v1
	v_mul_lo_u32 v2, v1, s4
	v_sub_u32_e32 v2, s5, v2
	v_add_u32_e32 v3, 1, v1
	v_subrev_u32_e32 v4, s4, v2
	v_cmp_le_u32_e32 vcc, s4, v2
	s_nop 1
	v_cndmask_b32_e32 v1, v1, v3, vcc
	v_cndmask_b32_e32 v2, v2, v4, vcc
	v_add_u32_e32 v3, 1, v1
	v_cmp_le_u32_e32 vcc, s4, v2
	s_nop 1
	v_cndmask_b32_e32 v1, v1, v3, vcc
	v_cvt_f32_u32_e32 v2, v1
	v_sub_u32_e32 v4, 0, v1
	v_rcp_iflag_f32_e32 v2, v2
	s_nop 0
	v_mul_f32_e32 v2, 0x4f7ffffe, v2
	v_cvt_u32_f32_e32 v3, v2
	v_and_b32_e32 v2, 0x3ff, v0
	v_cmp_eq_u32_e32 vcc, 0, v2
	v_mul_lo_u32 v4, v4, v3
	v_mul_hi_u32 v4, v3, v4
	v_add_u32_e32 v3, v3, v4
	v_mul_hi_u32 v3, s3, v3
	s_and_saveexec_b64 s[6:7], vcc
; %bb.1:
	v_mov_b32_e32 v4, 0x100
	v_lshl_add_u32 v4, v74, 2, v4
	v_mov_b32_e32 v5, -1
	ds_write_b32 v4, v5
; %bb.2:
	s_or_b64 exec, exec, s[6:7]
	v_mul_lo_u32 v4, v3, v1
	v_sub_u32_e32 v4, s3, v4
	v_add_u32_e32 v5, 1, v3
	v_sub_u32_e32 v6, v4, v1
	v_cmp_ge_u32_e64 s[6:7], v4, v1
	v_cmp_gt_i32_e64 s[10:11], s46, v2
	s_nop 0
	v_cndmask_b32_e64 v3, v3, v5, s[6:7]
	v_cndmask_b32_e64 v4, v4, v6, s[6:7]
	v_add_u32_e32 v5, 1, v3
	v_cmp_ge_u32_e64 s[6:7], v4, v1
	s_nop 1
	v_cndmask_b32_e64 v3, v3, v5, s[6:7]
	v_mul_lo_u32 v1, v3, v1
	v_mul_lo_u32 v3, v3, 13
	v_mul_hi_i32 v5, v3, s51
	v_mul_lo_u32 v4, v3, s51
	v_sub_u32_e32 v10, s3, v1
	v_lshlrev_b64 v[4:5], 2, v[4:5]
	v_add_u32_e32 v1, v74, v3
	v_lshl_add_u64 v[4:5], s[8:9], 0, v[4:5]
	v_cmp_gt_i32_e64 s[26:27], s45, v1
	v_mov_b32_e32 v1, 0
	s_and_saveexec_b64 s[12:13], s[26:27]
	s_cbranch_execz .LBB82_10
; %bb.3:
	v_mov_b32_e32 v1, 0
	s_and_saveexec_b64 s[16:17], s[10:11]
	s_cbranch_execz .LBB82_9
; %bb.4:
	v_mul_lo_u32 v6, v74, s51
	v_ashrrev_i32_e32 v7, 31, v6
	v_mov_b32_e32 v1, 0x100
	v_lshl_add_u64 v[6:7], v[6:7], 2, v[4:5]
	v_lshl_add_u32 v11, v74, 2, v1
	v_mul_lo_u32 v8, v2, s50
	s_lshl_b32 s3, s50, 6
	v_mov_b32_e32 v1, 0
	s_mov_b64 s[18:19], 0
	v_mov_b32_e32 v12, v2
	s_branch .LBB82_6
.LBB82_5:                               ;   in Loop: Header=BB82_6 Depth=1
	s_or_b64 exec, exec, s[20:21]
	v_add_u32_e32 v12, 64, v12
	v_cmp_le_i32_e64 s[8:9], s46, v12
	s_xor_b64 s[4:5], s[6:7], -1
	s_or_b64 s[4:5], s[4:5], s[8:9]
	s_and_b64 s[4:5], exec, s[4:5]
	s_or_b64 s[18:19], s[4:5], s[18:19]
	v_add_u32_e32 v8, s3, v8
	s_andn2_b64 exec, exec, s[18:19]
	s_cbranch_execz .LBB82_8
.LBB82_6:                               ; =>This Inner Loop Header: Depth=1
	v_ashrrev_i32_e32 v9, 31, v8
	v_lshl_add_u64 v[14:15], v[8:9], 2, v[6:7]
	global_load_dword v9, v[14:15], off
	s_waitcnt vmcnt(0)
	v_cmp_ne_u32_e64 s[6:7], v9, v10
	v_cmp_eq_u32_e64 s[8:9], v9, v10
	s_and_saveexec_b64 s[20:21], s[8:9]
	s_cbranch_execz .LBB82_5
; %bb.7:                                ;   in Loop: Header=BB82_6 Depth=1
	v_mov_b32_e32 v1, 1
	ds_write_b32 v11, v12
	s_branch .LBB82_5
.LBB82_8:
	s_or_b64 exec, exec, s[18:19]
.LBB82_9:
	s_or_b64 exec, exec, s[16:17]
.LBB82_10:
	s_or_b64 exec, exec, s[12:13]
	s_abs_i32 s3, s55
	s_and_saveexec_b64 s[6:7], vcc
; %bb.11:
	v_mov_b32_e32 v6, 0x100
	v_lshl_add_u32 v6, v74, 2, v6
	v_mov_b32_e32 v7, -1
	ds_write_b32 v6, v7 offset:12
; %bb.12:
	s_or_b64 exec, exec, s[6:7]
	v_cvt_f32_u32_e32 v11, s3
	v_add_u32_e32 v75, 3, v74
	v_add_u32_e32 v6, v75, v3
	v_cmp_gt_i32_e64 s[4:5], s45, v6
	s_mov_b64 s[12:13], exec
                                        ; implicit-def: $vgpr93 : SGPR spill to VGPR lane
	s_nop 0
	v_writelane_b32 v93, s4, 0
	s_nop 1
	v_writelane_b32 v93, s5, 1
	s_and_b64 s[4:5], s[12:13], s[4:5]
	s_mov_b64 exec, s[4:5]
	s_cbranch_execz .LBB82_20
; %bb.13:
	s_and_saveexec_b64 s[16:17], s[10:11]
	s_cbranch_execz .LBB82_19
; %bb.14:
	v_mul_lo_u32 v6, v75, s51
	v_ashrrev_i32_e32 v7, 31, v6
	v_mov_b32_e32 v8, 0x100
	v_lshl_add_u64 v[6:7], v[6:7], 2, v[4:5]
	v_lshl_add_u32 v12, v74, 2, v8
	v_mul_lo_u32 v8, v2, s50
	s_lshl_b32 s4, s50, 6
	s_mov_b64 s[18:19], 0
	v_mov_b32_e32 v13, v2
	s_branch .LBB82_16
.LBB82_15:                              ;   in Loop: Header=BB82_16 Depth=1
	s_or_b64 exec, exec, s[20:21]
	v_add_u32_e32 v13, 64, v13
	v_cmp_le_i32_e64 s[8:9], s46, v13
	s_xor_b64 s[6:7], s[6:7], -1
	s_or_b64 s[6:7], s[6:7], s[8:9]
	s_and_b64 s[6:7], exec, s[6:7]
	s_or_b64 s[18:19], s[6:7], s[18:19]
	v_add_u32_e32 v8, s4, v8
	s_andn2_b64 exec, exec, s[18:19]
	s_cbranch_execz .LBB82_18
.LBB82_16:                              ; =>This Inner Loop Header: Depth=1
	v_ashrrev_i32_e32 v9, 31, v8
	v_lshl_add_u64 v[14:15], v[8:9], 2, v[6:7]
	global_load_dword v9, v[14:15], off
	s_waitcnt vmcnt(0)
	v_cmp_ne_u32_e64 s[6:7], v9, v10
	v_cmp_eq_u32_e64 s[8:9], v9, v10
	s_and_saveexec_b64 s[20:21], s[8:9]
	s_cbranch_execz .LBB82_15
; %bb.17:                               ;   in Loop: Header=BB82_16 Depth=1
	v_mov_b32_e32 v1, 1
	ds_write_b32 v12, v13 offset:12
	s_branch .LBB82_15
.LBB82_18:
	s_or_b64 exec, exec, s[18:19]
.LBB82_19:
	s_or_b64 exec, exec, s[16:17]
.LBB82_20:
	s_or_b64 exec, exec, s[12:13]
	v_rcp_iflag_f32_e32 v6, v11
	s_and_saveexec_b64 s[6:7], vcc
; %bb.21:
	v_mov_b32_e32 v7, 0x100
	v_lshl_add_u32 v7, v74, 2, v7
	v_mov_b32_e32 v8, -1
	ds_write_b32 v7, v8 offset:24
; %bb.22:
	s_or_b64 exec, exec, s[6:7]
	v_add_u32_e32 v76, 6, v74
	v_mul_f32_e32 v11, 0x4f7ffffe, v6
	v_add_u32_e32 v6, v76, v3
	v_cmp_gt_i32_e64 s[4:5], s45, v6
	s_mov_b64 s[12:13], exec
	s_nop 0
	v_writelane_b32 v93, s4, 2
	s_nop 1
	v_writelane_b32 v93, s5, 3
	s_and_b64 s[4:5], s[12:13], s[4:5]
	s_mov_b64 exec, s[4:5]
	s_cbranch_execz .LBB82_30
; %bb.23:
	s_and_saveexec_b64 s[16:17], s[10:11]
	s_cbranch_execz .LBB82_29
; %bb.24:
	v_mul_lo_u32 v6, v76, s51
	v_ashrrev_i32_e32 v7, 31, v6
	v_mov_b32_e32 v8, 0x100
	v_lshl_add_u64 v[6:7], v[6:7], 2, v[4:5]
	v_lshl_add_u32 v12, v74, 2, v8
	v_mul_lo_u32 v8, v2, s50
	s_lshl_b32 s4, s50, 6
	s_mov_b64 s[18:19], 0
	v_mov_b32_e32 v13, v2
	s_branch .LBB82_26
.LBB82_25:                              ;   in Loop: Header=BB82_26 Depth=1
	s_or_b64 exec, exec, s[20:21]
	v_add_u32_e32 v13, 64, v13
	v_cmp_le_i32_e64 s[8:9], s46, v13
	s_xor_b64 s[6:7], s[6:7], -1
	s_or_b64 s[6:7], s[6:7], s[8:9]
	s_and_b64 s[6:7], exec, s[6:7]
	s_or_b64 s[18:19], s[6:7], s[18:19]
	v_add_u32_e32 v8, s4, v8
	s_andn2_b64 exec, exec, s[18:19]
	s_cbranch_execz .LBB82_28
.LBB82_26:                              ; =>This Inner Loop Header: Depth=1
	v_ashrrev_i32_e32 v9, 31, v8
	v_lshl_add_u64 v[14:15], v[8:9], 2, v[6:7]
	global_load_dword v9, v[14:15], off
	s_waitcnt vmcnt(0)
	v_cmp_ne_u32_e64 s[6:7], v9, v10
	v_cmp_eq_u32_e64 s[8:9], v9, v10
	s_and_saveexec_b64 s[20:21], s[8:9]
	s_cbranch_execz .LBB82_25
; %bb.27:                               ;   in Loop: Header=BB82_26 Depth=1
	v_mov_b32_e32 v1, 1
	ds_write_b32 v12, v13 offset:24
	s_branch .LBB82_25
.LBB82_28:
	s_or_b64 exec, exec, s[18:19]
.LBB82_29:
	s_or_b64 exec, exec, s[16:17]
.LBB82_30:
	s_or_b64 exec, exec, s[12:13]
	v_cvt_u32_f32_e32 v11, v11
	s_sub_i32 s4, 0, s3
	s_and_saveexec_b64 s[6:7], vcc
; %bb.31:
	v_mov_b32_e32 v6, 0x100
	v_lshl_add_u32 v6, v74, 2, v6
	v_mov_b32_e32 v7, -1
	ds_write_b32 v6, v7 offset:36
; %bb.32:
	s_or_b64 exec, exec, s[6:7]
	v_add_u32_e32 v77, 9, v74
	v_mul_lo_u32 v12, s4, v11
	v_add_u32_e32 v6, v77, v3
	v_cmp_gt_i32_e64 s[4:5], s45, v6
	s_mov_b64 s[16:17], exec
	s_nop 0
	v_writelane_b32 v93, s4, 4
	s_nop 1
	v_writelane_b32 v93, s5, 5
	s_and_b64 s[4:5], s[16:17], s[4:5]
	s_mov_b64 exec, s[4:5]
	s_cbranch_execz .LBB82_40
; %bb.33:
	s_and_saveexec_b64 s[18:19], s[10:11]
	s_cbranch_execz .LBB82_39
; %bb.34:
	v_mul_lo_u32 v6, v77, s51
	v_ashrrev_i32_e32 v7, 31, v6
	v_mov_b32_e32 v8, 0x100
	v_lshl_add_u64 v[6:7], v[6:7], 2, v[4:5]
	v_lshl_add_u32 v13, v74, 2, v8
	v_mul_lo_u32 v8, v2, s50
	s_lshl_b32 s4, s50, 6
	s_mov_b64 s[20:21], 0
	v_mov_b32_e32 v14, v2
	s_branch .LBB82_36
.LBB82_35:                              ;   in Loop: Header=BB82_36 Depth=1
	s_or_b64 exec, exec, s[22:23]
	v_add_u32_e32 v14, 64, v14
	v_cmp_le_i32_e64 s[12:13], s46, v14
	s_xor_b64 s[6:7], s[8:9], -1
	s_or_b64 s[6:7], s[6:7], s[12:13]
	s_and_b64 s[6:7], exec, s[6:7]
	s_or_b64 s[20:21], s[6:7], s[20:21]
	v_add_u32_e32 v8, s4, v8
	s_andn2_b64 exec, exec, s[20:21]
	s_cbranch_execz .LBB82_38
.LBB82_36:                              ; =>This Inner Loop Header: Depth=1
	v_ashrrev_i32_e32 v9, 31, v8
	v_lshl_add_u64 v[16:17], v[8:9], 2, v[6:7]
	global_load_dword v9, v[16:17], off
	s_waitcnt vmcnt(0)
	v_cmp_ne_u32_e64 s[8:9], v9, v10
	v_cmp_eq_u32_e64 s[12:13], v9, v10
	s_and_saveexec_b64 s[22:23], s[12:13]
	s_cbranch_execz .LBB82_35
; %bb.37:                               ;   in Loop: Header=BB82_36 Depth=1
	v_mov_b32_e32 v1, 1
	ds_write_b32 v13, v14 offset:36
	s_branch .LBB82_35
.LBB82_38:
	s_or_b64 exec, exec, s[20:21]
.LBB82_39:
	s_or_b64 exec, exec, s[18:19]
.LBB82_40:
	s_or_b64 exec, exec, s[16:17]
	v_mul_hi_u32 v6, v11, v12
	s_and_saveexec_b64 s[8:9], vcc
; %bb.41:
	v_mov_b32_e32 v7, 0x100
	v_lshl_add_u32 v7, v74, 2, v7
	v_mov_b32_e32 v8, -1
	ds_write_b32 v7, v8 offset:48
; %bb.42:
	s_or_b64 exec, exec, s[8:9]
	s_load_dwordx4 s[28:31], s[0:1], 0x54
	v_add_u32_e32 v8, v11, v6
	v_add_u32_e32 v6, 12, v74
	s_abs_i32 s4, s24
	v_add_u32_e32 v7, v6, v3
	v_cmp_gt_i32_e64 s[6:7], s45, v7
	s_mov_b64 s[12:13], exec
	s_nop 0
	v_writelane_b32 v93, s6, 6
	s_nop 1
	v_writelane_b32 v93, s7, 7
	s_and_b64 s[6:7], s[12:13], s[6:7]
	s_mov_b64 exec, s[6:7]
	s_cbranch_execz .LBB82_50
; %bb.43:
	s_and_saveexec_b64 s[16:17], s[10:11]
	s_cbranch_execz .LBB82_49
; %bb.44:
	v_mul_lo_u32 v6, v6, s51
	v_ashrrev_i32_e32 v7, 31, v6
	v_lshl_add_u64 v[4:5], v[6:7], 2, v[4:5]
	v_mov_b32_e32 v6, 0x100
	v_lshl_add_u32 v9, v74, 2, v6
	v_mul_lo_u32 v6, v2, s50
	s_lshl_b32 s5, s50, 6
	s_mov_b64 s[18:19], 0
	v_mov_b32_e32 v11, v2
	s_branch .LBB82_46
.LBB82_45:                              ;   in Loop: Header=BB82_46 Depth=1
	s_or_b64 exec, exec, s[20:21]
	v_add_u32_e32 v11, 64, v11
	v_cmp_le_i32_e64 s[10:11], s46, v11
	s_xor_b64 s[6:7], vcc, -1
	s_or_b64 s[6:7], s[6:7], s[10:11]
	s_and_b64 s[6:7], exec, s[6:7]
	s_or_b64 s[18:19], s[6:7], s[18:19]
	v_add_u32_e32 v6, s5, v6
	s_andn2_b64 exec, exec, s[18:19]
	s_cbranch_execz .LBB82_48
.LBB82_46:                              ; =>This Inner Loop Header: Depth=1
	v_ashrrev_i32_e32 v7, 31, v6
	v_lshl_add_u64 v[12:13], v[6:7], 2, v[4:5]
	global_load_dword v7, v[12:13], off
	s_waitcnt vmcnt(0)
	v_cmp_ne_u32_e32 vcc, v7, v10
	v_cmp_eq_u32_e64 s[10:11], v7, v10
	s_and_saveexec_b64 s[20:21], s[10:11]
	s_cbranch_execz .LBB82_45
; %bb.47:                               ;   in Loop: Header=BB82_46 Depth=1
	v_mov_b32_e32 v1, 1
	ds_write_b32 v9, v11 offset:48
	s_branch .LBB82_45
.LBB82_48:
	s_or_b64 exec, exec, s[18:19]
.LBB82_49:
	s_or_b64 exec, exec, s[16:17]
.LBB82_50:
	s_or_b64 exec, exec, s[12:13]
	s_load_dwordx2 s[6:7], s[14:15], 0xc
	s_load_dwordx2 s[12:13], s[0:1], 0x8
	;; [unrolled: 1-line block ×3, first 2 shown]
	v_or_b32_dpp v1, v1, v1 row_shl:1 row_mask:0xf bank_mask:0xf bound_ctrl:1
	v_mul_hi_u32 v4, s4, v8
	s_waitcnt lgkmcnt(0)
	s_and_b32 s5, s7, 0xffff
	s_lshr_b32 s7, s6, 16
	v_writelane_b32 v93, s8, 8
	s_and_b32 s6, s6, 0xffff
	v_or_b32_dpp v1, v1, v1 row_shl:2 row_mask:0xf bank_mask:0xf bound_ctrl:1
	v_writelane_b32 v93, s9, 9
	s_mul_i32 s8, s7, s6
	v_or_b32_dpp v1, v1, v1 row_shl:4 row_mask:0xf bank_mask:0xf bound_ctrl:1
	s_bfe_i32 s8, s8, 0x180000
	s_mul_i32 s5, s8, s5
	v_or_b32_dpp v1, v1, v1 row_shl:8 row_mask:0xf bank_mask:0xf bound_ctrl:1
	s_add_i32 s8, s5, 63
	s_bitcmp1_b32 exec_hi, 0
	v_mov_b32_dpp v5, v1 wave_shl:1 row_mask:0xf bank_mask:0xf bound_ctrl:1
                                        ; kill: killed $sgpr14 killed $sgpr15
	s_nop 1
	v_or_b32_dpp v1, v5, v1 row_mirror row_mask:0xf bank_mask:0xf bound_ctrl:1
	s_nop 0
	v_readlane_b32 s5, v1, 32
	s_cselect_b32 s5, s5, 0
	v_readlane_b32 s9, v1, 0
	s_or_b32 s5, s5, s9
	s_andn2_b32 s8, s8, 63
	s_cmp_lg_u32 s8, 64
	v_mov_b32_e32 v1, s5
	s_cbranch_scc0 .LBB82_57
; %bb.51:
	v_bfe_u32 v0, v0, 20, 10
	v_mbcnt_lo_u32_b32 v1, -1, 0
	v_mad_u32_u24 v0, v0, s7, v74
	v_mbcnt_hi_u32_b32 v5, -1, v1
	v_mad_u64_u32 v[0:1], s[6:7], v0, s6, v[2:3]
	v_lshrrev_b32_e32 v1, 6, v0
	v_or_b32_e32 v1, v5, v1
	v_cmp_eq_u32_e32 vcc, 0, v1
	s_and_saveexec_b64 s[10:11], vcc
; %bb.52:
	v_mov_b32_e32 v1, 0
	v_mov_b32_e32 v6, s5
	ds_write_b32 v1, v6
; %bb.53:
	s_or_b64 exec, exec, s[10:11]
	v_cmp_eq_u32_e32 vcc, 0, v5
	v_cmp_lt_u32_e64 s[10:11], 63, v0
	s_and_b64 s[6:7], s[10:11], vcc
	s_waitcnt lgkmcnt(0)
	s_barrier
	s_and_saveexec_b64 s[10:11], s[6:7]
	s_cbranch_execz .LBB82_56
; %bb.54:
	v_mbcnt_lo_u32_b32 v0, exec_lo, 0
	v_mbcnt_hi_u32_b32 v0, exec_hi, v0
	v_cmp_eq_u32_e32 vcc, 0, v0
	s_and_b64 exec, exec, vcc
; %bb.55:
	v_mov_b32_e32 v0, 0
	v_mov_b32_e32 v1, s5
	ds_or_b32 v0, v1
.LBB82_56:
	s_or_b64 exec, exec, s[10:11]
	v_mov_b32_e32 v0, 0
	s_waitcnt lgkmcnt(0)
	s_barrier
	ds_read_b32 v1, v0
	s_waitcnt lgkmcnt(0)
	s_barrier
.LBB82_57:
	s_load_dwordx2 s[10:11], s[0:1], 0x0
	v_cmp_ne_u32_e32 vcc, 0, v1
	s_ashr_i32 s5, s24, 31
	s_ashr_i32 s6, s55, 31
	s_cbranch_vccz .LBB82_135
; %bb.58:
	v_lshlrev_b32_e32 v78, 6, v74
	v_add_u32_e32 v80, v78, v2
	v_cmp_le_i32_e32 vcc, s44, v80
	v_and_b32_e32 v79, 15, v2
	s_and_saveexec_b64 s[0:1], vcc
	s_xor_b64 s[0:1], exec, s[0:1]
; %bb.59:
	v_and_b32_e32 v79, 15, v2
                                        ; implicit-def: $vgpr80
                                        ; implicit-def: $vgpr4
                                        ; implicit-def: $vgpr10
; %bb.60:
	s_or_saveexec_b64 s[0:1], s[0:1]
	s_lshl_b32 s7, s2, 6
	v_mov_b32_e32 v1, 0
	v_accvgpr_write_b32 a0, 0
	v_accvgpr_write_b32 a1, 0
	;; [unrolled: 1-line block ×16, first 2 shown]
	v_writelane_b32 v93, s0, 10
	s_nop 1
	v_writelane_b32 v93, s1, 11
	s_xor_b64 exec, exec, s[0:1]
	s_cbranch_execz .LBB82_116
; %bb.61:
	v_mul_lo_u32 v0, v4, s3
	v_sub_u32_e32 v0, s4, v0
	v_add_u32_e32 v5, 1, v4
	v_subrev_u32_e32 v6, s3, v0
	v_cmp_le_u32_e32 vcc, s3, v0
	s_xor_b32 s0, s5, s6
	v_writelane_b32 v93, s26, 12
	v_cndmask_b32_e32 v4, v4, v5, vcc
	v_cndmask_b32_e32 v0, v0, v6, vcc
	v_add_u32_e32 v5, 1, v4
	v_cmp_le_u32_e32 vcc, s3, v0
	v_writelane_b32 v93, s27, 13
	v_writelane_b32 v93, s7, 14
	v_cndmask_b32_e32 v0, v4, v5, vcc
	v_xor_b32_e32 v0, s0, v0
	v_subrev_u32_e32 v0, s0, v0
	s_mul_i32 s0, s47, s7
	s_ashr_i32 s1, s0, 31
	s_lshl_b64 s[2:3], s[0:1], 2
	s_movk_i32 s0, 0x1080
	v_mov_b32_e32 v81, 0x100
	v_writelane_b32 v93, s24, 15
	v_mul_hi_i32 v5, v0, s28
	v_mul_lo_u32 v4, v0, s28
	v_mul_lo_u32 v6, v10, s52
	v_mad_u32_u24 v0, v74, s0, v81
	s_mul_hi_i32 s1, s29, s24
	v_writelane_b32 v93, s28, 16
	s_mul_i32 s0, s29, s24
	v_ashrrev_i32_e32 v7, 31, v6
	s_lshl_b64 s[0:1], s[0:1], 2
	v_lshlrev_b64 v[10:11], 2, v[6:7]
	v_writelane_b32 v93, s29, 17
	v_mul_hi_i32 v7, v3, s48
	v_mul_lo_u32 v6, v3, s48
	s_add_u32 s0, s12, s0
	v_lshlrev_b64 v[8:9], 2, v[4:5]
	v_writelane_b32 v93, s30, 18
	s_addc_u32 s1, s13, s1
	v_lshlrev_b64 v[6:7], 2, v[6:7]
	s_waitcnt lgkmcnt(0)
	v_lshl_add_u64 v[4:5], s[10:11], 0, v[8:9]
	v_writelane_b32 v93, s31, 19
	v_lshl_add_u64 v[6:7], s[0:1], 0, v[6:7]
	v_lshrrev_b32_e32 v13, 1, v2
	s_lshl_b32 s0, s48, 1
	v_lshl_add_u64 v[8:9], v[8:9], 0, s[2:3]
	v_mul_u32_u24_e32 v12, 0x108, v79
	v_and_b32_e32 v13, 0x1f8, v13
	v_writelane_b32 v93, s0, 20
	s_lshl_b32 s0, s48, 2
	v_lshl_add_u64 v[8:9], v[8:9], 0, v[10:11]
	v_lshl_add_u64 v[4:5], v[4:5], 0, v[10:11]
	v_lshl_add_u32 v82, v2, 2, v0
	v_add3_u32 v83, v0, v12, v13
	v_add_u32_e32 v12, 1, v3
	v_add_u32_e32 v13, 2, v3
	v_add_u32_e32 v14, 3, v3
	v_add_u32_e32 v15, 4, v3
	v_writelane_b32 v93, s0, 21
	v_add_u32_e32 v16, 5, v3
	v_add_u32_e32 v17, 6, v3
	;; [unrolled: 1-line block ×8, first 2 shown]
	s_ashr_i32 s1, s47, 31
	s_mov_b32 s0, s47
	v_lshl_add_u64 v[8:9], s[10:11], 0, v[8:9]
	v_lshlrev_b32_e32 v0, 2, v80
	v_lshl_add_u64 v[4:5], v[4:5], 0, s[2:3]
	s_lshl_b32 s55, s48, 3
	s_add_i32 s56, s47, s47
	s_mul_i32 s57, s47, 3
	s_lshl_b32 s59, s47, 2
	s_mul_i32 s60, s47, 5
	s_mul_i32 s61, s47, 6
	s_mul_i32 s62, s47, 7
	s_lshl_b32 s63, s47, 3
	s_mul_i32 s64, s47, 9
	s_mul_i32 s65, s47, 10
	;; [unrolled: 1-line block ×7, first 2 shown]
	s_lshl_b32 s71, s47, 4
	s_mul_i32 s72, s47, 17
	s_mul_i32 s73, s47, 18
	;; [unrolled: 1-line block ×15, first 2 shown]
	s_lshl_b32 s87, s47, 5
	s_mul_i32 s88, s47, 33
	s_mul_i32 s89, s47, 34
	;; [unrolled: 1-line block ×12, first 2 shown]
	v_cmp_gt_i32_e64 s[10:11], s45, v3
	s_mul_i32 s5, s47, 45
	s_mul_i32 s8, s47, 46
	s_lshl_b64 s[2:3], s[0:1], 2
	v_accvgpr_write_b32 a15, 0
	v_accvgpr_write_b32 a14, 0
	;; [unrolled: 1-line block ×16, first 2 shown]
	v_lshl_add_u64 v[8:9], v[8:9], 0, v[0:1]
	s_mul_i32 s9, s47, 47
	s_mul_i32 s38, s47, 48
	;; [unrolled: 1-line block ×17, first 2 shown]
	v_cmp_gt_i32_e64 s[12:13], s45, v12
	v_cmp_gt_i32_e64 s[14:15], s45, v13
	v_cmp_gt_i32_e64 s[16:17], s45, v14
	v_cmp_gt_i32_e64 s[18:19], s45, v15
	v_cmp_gt_i32_e64 s[20:21], s45, v16
	v_cmp_gt_i32_e64 s[22:23], s45, v17
	v_cmp_gt_i32_e64 s[24:25], s45, v18
	v_cmp_gt_i32_e64 s[26:27], s45, v19
	v_cmp_gt_i32_e64 s[28:29], s45, v20
	v_cmp_gt_i32_e64 s[30:31], s45, v21
	v_cmp_gt_i32_e64 s[34:35], s45, v22
	v_cmp_gt_i32_e64 s[36:37], s45, v23
	s_mov_b64 s[46:47], 0
	s_branch .LBB82_64
.LBB82_62:                              ;   in Loop: Header=BB82_64 Depth=1
	v_mul_lo_u32 v0, v0, s53
	s_mul_i32 s45, s48, 12
	v_add_u32_e32 v0, s45, v0
	v_add_u32_e32 v84, v0, v80
	v_ashrrev_i32_e32 v85, 31, v84
	v_lshl_add_u64 v[84:85], v[84:85], 2, v[6:7]
	global_load_dword v0, v[84:85], off
.LBB82_63:                              ;   in Loop: Header=BB82_64 Depth=1
	v_add_u32_e32 v84, 0xc00, v82
	s_waitcnt vmcnt(0)
	ds_write2_b32 v84, v0, v1 offset0:40 offset1:106
	ds_write2_b32 v84, v1, v1 offset0:172 offset1:238
	ds_read2_b64 v[84:87], v83 offset0:8 offset1:12
	v_add_u32_e32 v80, 0xc0, v80
	s_mov_b64 vcc, 0x300
	v_lshl_add_u64 v[8:9], v[8:9], 0, vcc
	v_cmp_le_i32_e32 vcc, s44, v80
	s_waitcnt lgkmcnt(0)
	v_mfma_f32_16x16x4_f32 a[12:15], v16, v84, a[12:15]
	s_or_b64 s[46:47], vcc, s[46:47]
	v_mfma_f32_16x16x4_f32 a[8:11], v50, v84, a[8:11]
	v_mfma_f32_16x16x4_f32 a[4:7], v60, v84, a[4:7]
	v_mfma_f32_16x16x4_f32 a[0:3], v72, v84, a[0:3]
	v_mfma_f32_16x16x4_f32 a[12:15], v17, v85, a[12:15]
	v_mfma_f32_16x16x4_f32 a[8:11], v51, v85, a[8:11]
	v_mfma_f32_16x16x4_f32 a[4:7], v61, v85, a[4:7]
	v_mfma_f32_16x16x4_f32 a[0:3], v73, v85, a[0:3]
	v_mfma_f32_16x16x4_f32 a[12:15], v14, v86, a[12:15]
	v_mfma_f32_16x16x4_f32 a[8:11], v46, v86, a[8:11]
	v_mfma_f32_16x16x4_f32 a[4:7], v56, v86, a[4:7]
	v_mfma_f32_16x16x4_f32 a[0:3], v70, v86, a[0:3]
	v_mfma_f32_16x16x4_f32 a[12:15], v15, v87, a[12:15]
	ds_read2_b64 v[14:17], v83 offset0:16 offset1:20
	v_mfma_f32_16x16x4_f32 a[8:11], v47, v87, a[8:11]
	v_mfma_f32_16x16x4_f32 a[4:7], v57, v87, a[4:7]
	;; [unrolled: 1-line block ×3, first 2 shown]
	s_waitcnt lgkmcnt(0)
	v_mfma_f32_16x16x4_f32 a[12:15], v12, v14, a[12:15]
	v_mfma_f32_16x16x4_f32 a[8:11], v42, v14, a[8:11]
	;; [unrolled: 1-line block ×13, first 2 shown]
	ds_read2_b64 v[10:13], v83 offset0:24 offset1:28
	v_mfma_f32_16x16x4_f32 a[8:11], v39, v17, a[8:11]
	v_mfma_f32_16x16x4_f32 a[4:7], v49, v17, a[4:7]
	;; [unrolled: 1-line block ×3, first 2 shown]
	s_waitcnt lgkmcnt(0)
	v_mfma_f32_16x16x4_f32 a[12:15], v26, v10, a[12:15]
	v_mfma_f32_16x16x4_f32 a[8:11], v34, v10, a[8:11]
	;; [unrolled: 1-line block ×16, first 2 shown]
	ds_read2_b64 v[10:13], v83 offset0:32 offset1:36
	s_waitcnt lgkmcnt(0)
	v_mfma_f32_16x16x4_f32 a[12:15], v20, v10, a[12:15]
	v_mfma_f32_16x16x4_f32 a[8:11], v28, v10, a[8:11]
	;; [unrolled: 1-line block ×16, first 2 shown]
	s_andn2_b64 exec, exec, s[46:47]
	s_cbranch_execz .LBB82_115
.LBB82_64:                              ; =>This Inner Loop Header: Depth=1
	v_lshl_add_u64 v[10:11], v[8:9], 0, s[2:3]
	global_load_dword v0, v[8:9], off
	global_load_dword v26, v[10:11], off
	v_add_u32_e32 v10, s56, v80
	v_add_u32_e32 v14, s59, v80
	;; [unrolled: 1-line block ×4, first 2 shown]
	v_ashrrev_i32_e32 v11, 31, v10
	v_add_u32_e32 v12, s57, v80
	v_ashrrev_i32_e32 v15, 31, v14
	v_ashrrev_i32_e32 v17, 31, v16
	v_add_u32_e32 v18, s61, v80
	v_add_u32_e32 v20, s62, v80
	v_ashrrev_i32_e32 v23, 31, v22
	v_add_u32_e32 v24, s64, v80
	v_lshl_add_u64 v[10:11], v[10:11], 2, v[4:5]
	v_ashrrev_i32_e32 v13, 31, v12
	v_lshl_add_u64 v[14:15], v[14:15], 2, v[4:5]
	v_lshl_add_u64 v[16:17], v[16:17], 2, v[4:5]
	v_ashrrev_i32_e32 v19, 31, v18
	v_ashrrev_i32_e32 v21, 31, v20
	v_lshl_add_u64 v[22:23], v[22:23], 2, v[4:5]
	v_ashrrev_i32_e32 v25, 31, v24
	v_lshl_add_u64 v[12:13], v[12:13], 2, v[4:5]
	v_lshl_add_u64 v[18:19], v[18:19], 2, v[4:5]
	;; [unrolled: 1-line block ×4, first 2 shown]
	global_load_dword v27, v[10:11], off
	global_load_dword v28, v[12:13], off
	;; [unrolled: 1-line block ×6, first 2 shown]
	s_nop 0
	global_load_dword v22, v[22:23], off
	s_nop 0
	global_load_dword v23, v[24:25], off
	v_add_u32_e32 v10, s65, v80
	v_add_u32_e32 v14, s67, v80
	;; [unrolled: 1-line block ×3, first 2 shown]
	v_ashrrev_i32_e32 v11, 31, v10
	v_add_u32_e32 v12, s66, v80
	v_ashrrev_i32_e32 v15, 31, v14
	v_ashrrev_i32_e32 v17, 31, v16
	v_add_u32_e32 v18, s69, v80
	v_add_u32_e32 v20, s70, v80
	v_lshl_add_u64 v[10:11], v[10:11], 2, v[4:5]
	v_ashrrev_i32_e32 v13, 31, v12
	v_lshl_add_u64 v[14:15], v[14:15], 2, v[4:5]
	v_lshl_add_u64 v[16:17], v[16:17], 2, v[4:5]
	v_ashrrev_i32_e32 v19, 31, v18
	v_ashrrev_i32_e32 v21, 31, v20
	v_lshl_add_u64 v[12:13], v[12:13], 2, v[4:5]
	v_lshl_add_u64 v[18:19], v[18:19], 2, v[4:5]
	;; [unrolled: 1-line block ×3, first 2 shown]
	global_load_dword v24, v[10:11], off
	global_load_dword v25, v[12:13], off
	s_nop 0
	global_load_dword v14, v[14:15], off
	s_nop 0
	;; [unrolled: 2-line block ×3, first 2 shown]
	global_load_dword v16, v[18:19], off
	global_load_dword v17, v[20:21], off
	v_add_u32_e32 v10, s71, v80
	v_add_u32_e32 v12, s72, v80
	v_ashrrev_i32_e32 v11, 31, v10
	v_ashrrev_i32_e32 v13, 31, v12
	v_lshl_add_u64 v[10:11], v[10:11], 2, v[4:5]
	v_add_u32_e32 v18, s73, v80
	v_lshl_add_u64 v[12:13], v[12:13], 2, v[4:5]
	global_load_dword v34, v[10:11], off
	global_load_dword v35, v[12:13], off
	v_ashrrev_i32_e32 v19, 31, v18
	v_add_u32_e32 v20, s74, v80
	v_lshl_add_u64 v[18:19], v[18:19], 2, v[4:5]
	v_ashrrev_i32_e32 v21, 31, v20
	v_lshl_add_u64 v[20:21], v[20:21], 2, v[4:5]
	s_andn2_b64 vcc, exec, s[10:11]
	s_waitcnt vmcnt(17)
	ds_write_b32 v82, v0 offset:64
	s_waitcnt vmcnt(16)
	ds_write_b32 v82, v26 offset:328
	;; [unrolled: 2-line block ×16, first 2 shown]
	v_add_u32_e32 v22, s75, v80
	v_add_u32_e32 v24, s76, v80
	;; [unrolled: 1-line block ×6, first 2 shown]
	v_ashrrev_i32_e32 v23, 31, v22
	v_ashrrev_i32_e32 v25, 31, v24
	v_ashrrev_i32_e32 v27, 31, v26
	v_ashrrev_i32_e32 v29, 31, v28
	v_ashrrev_i32_e32 v31, 31, v30
	v_ashrrev_i32_e32 v33, 31, v32
	ds_read_b64 v[16:17], v83 offset:64
	ds_read_b64 v[14:15], v83 offset:96
	;; [unrolled: 1-line block ×4, first 2 shown]
	v_lshl_add_u64 v[22:23], v[22:23], 2, v[4:5]
	v_lshl_add_u64 v[24:25], v[24:25], 2, v[4:5]
	v_lshl_add_u64 v[26:27], v[26:27], 2, v[4:5]
	v_lshl_add_u64 v[28:29], v[28:29], 2, v[4:5]
	v_lshl_add_u64 v[30:31], v[30:31], 2, v[4:5]
	v_lshl_add_u64 v[32:33], v[32:33], 2, v[4:5]
	global_load_dword v0, v[18:19], off
	global_load_dword v36, v[20:21], off
	global_load_dword v37, v[22:23], off
	global_load_dword v38, v[24:25], off
	global_load_dword v39, v[26:27], off
	global_load_dword v40, v[28:29], off
	global_load_dword v41, v[30:31], off
	global_load_dword v42, v[32:33], off
	v_add_u32_e32 v18, s81, v80
	v_ashrrev_i32_e32 v19, 31, v18
	v_add_u32_e32 v20, s82, v80
	v_add_u32_e32 v22, s83, v80
	v_add_u32_e32 v24, s84, v80
	v_add_u32_e32 v26, s85, v80
	v_add_u32_e32 v28, s86, v80
	v_add_u32_e32 v30, s87, v80
	v_add_u32_e32 v32, s88, v80
	v_lshl_add_u64 v[18:19], v[18:19], 2, v[4:5]
	v_ashrrev_i32_e32 v21, 31, v20
	v_ashrrev_i32_e32 v23, 31, v22
	v_ashrrev_i32_e32 v25, 31, v24
	v_ashrrev_i32_e32 v27, 31, v26
	v_ashrrev_i32_e32 v29, 31, v28
	v_ashrrev_i32_e32 v31, 31, v30
	v_ashrrev_i32_e32 v33, 31, v32
	v_lshl_add_u64 v[20:21], v[20:21], 2, v[4:5]
	v_lshl_add_u64 v[22:23], v[22:23], 2, v[4:5]
	v_lshl_add_u64 v[24:25], v[24:25], 2, v[4:5]
	v_lshl_add_u64 v[26:27], v[26:27], 2, v[4:5]
	v_lshl_add_u64 v[28:29], v[28:29], 2, v[4:5]
	v_lshl_add_u64 v[30:31], v[30:31], 2, v[4:5]
	v_lshl_add_u64 v[32:33], v[32:33], 2, v[4:5]
	global_load_dword v43, v[18:19], off
	global_load_dword v44, v[20:21], off
	global_load_dword v45, v[22:23], off
	global_load_dword v46, v[24:25], off
	global_load_dword v47, v[26:27], off
	global_load_dword v48, v[28:29], off
	global_load_dword v49, v[30:31], off
	global_load_dword v52, v[32:33], off
	v_add_u32_e32 v18, s89, v80
	v_ashrrev_i32_e32 v19, 31, v18
	v_add_u32_e32 v20, s90, v80
	v_add_u32_e32 v22, s91, v80
	v_add_u32_e32 v24, s92, v80
	v_add_u32_e32 v26, s93, v80
	v_add_u32_e32 v28, s94, v80
	v_add_u32_e32 v30, s95, v80
	v_add_u32_e32 v32, s96, v80
	v_lshl_add_u64 v[18:19], v[18:19], 2, v[4:5]
	v_ashrrev_i32_e32 v21, 31, v20
	v_ashrrev_i32_e32 v23, 31, v22
	v_ashrrev_i32_e32 v25, 31, v24
	v_ashrrev_i32_e32 v27, 31, v26
	v_ashrrev_i32_e32 v29, 31, v28
	v_ashrrev_i32_e32 v31, 31, v30
	v_ashrrev_i32_e32 v33, 31, v32
	v_lshl_add_u64 v[20:21], v[20:21], 2, v[4:5]
	;; [unrolled: 32-line block ×4, first 2 shown]
	v_lshl_add_u64 v[22:23], v[22:23], 2, v[4:5]
	v_lshl_add_u64 v[24:25], v[24:25], 2, v[4:5]
	;; [unrolled: 1-line block ×6, first 2 shown]
	global_load_dword v69, v[18:19], off
	global_load_dword v70, v[20:21], off
	;; [unrolled: 1-line block ×8, first 2 shown]
	v_add_u32_e32 v18, s50, v80
	v_ashrrev_i32_e32 v19, 31, v18
	v_add_u32_e32 v20, s51, v80
	v_add_u32_e32 v22, s58, v80
	;; [unrolled: 1-line block ×5, first 2 shown]
	v_lshl_add_u64 v[18:19], v[18:19], 2, v[4:5]
	v_ashrrev_i32_e32 v21, 31, v20
	v_ashrrev_i32_e32 v23, 31, v22
	v_ashrrev_i32_e32 v25, 31, v24
	v_ashrrev_i32_e32 v27, 31, v26
	v_ashrrev_i32_e32 v29, 31, v28
	v_lshl_add_u64 v[20:21], v[20:21], 2, v[4:5]
	v_lshl_add_u64 v[22:23], v[22:23], 2, v[4:5]
	;; [unrolled: 1-line block ×5, first 2 shown]
	global_load_dword v87, v[18:19], off
	global_load_dword v88, v[20:21], off
	global_load_dword v89, v[22:23], off
	global_load_dword v90, v[24:25], off
	global_load_dword v91, v[26:27], off
	global_load_dword v92, v[28:29], off
	ds_read_b64 v[26:27], v83 offset:192
	ds_read_b64 v[22:23], v83 offset:224
	ds_read_b64 v[20:21], v83 offset:256
	ds_read_b64 v[18:19], v83 offset:288
	s_waitcnt vmcnt(47)
	ds_write_b32 v82, v34 offset:64
	s_waitcnt vmcnt(46)
	ds_write_b32 v82, v35 offset:328
	s_waitcnt vmcnt(45)
	ds_write_b32 v82, v0 offset:592
	s_waitcnt vmcnt(44)
	ds_write_b32 v82, v36 offset:856
	s_waitcnt vmcnt(43)
	ds_write_b32 v82, v37 offset:1120
	s_waitcnt vmcnt(42)
	ds_write_b32 v82, v38 offset:1384
	s_waitcnt vmcnt(41)
	ds_write_b32 v82, v39 offset:1648
	s_waitcnt vmcnt(40)
	ds_write_b32 v82, v40 offset:1912
	s_waitcnt vmcnt(39)
	ds_write_b32 v82, v41 offset:2176
	s_waitcnt vmcnt(38)
	ds_write_b32 v82, v42 offset:2440
	s_waitcnt vmcnt(37)
	ds_write_b32 v82, v43 offset:2704
	s_waitcnt vmcnt(36)
	ds_write_b32 v82, v44 offset:2968
	s_waitcnt vmcnt(35)
	ds_write_b32 v82, v45 offset:3232
	s_waitcnt vmcnt(34)
	ds_write_b32 v82, v46 offset:3496
	s_waitcnt vmcnt(33)
	ds_write_b32 v82, v47 offset:3760
	s_waitcnt vmcnt(32)
	ds_write_b32 v82, v48 offset:4024
	ds_read_b64 v[50:51], v83 offset:64
	ds_read_b64 v[46:47], v83 offset:96
	ds_read_b64 v[42:43], v83 offset:128
	ds_read_b64 v[38:39], v83 offset:160
	ds_read_b64 v[34:35], v83 offset:192
	ds_read_b64 v[30:31], v83 offset:224
	ds_read_b64 v[28:29], v83 offset:256
	ds_read_b64 v[24:25], v83 offset:288
	s_waitcnt vmcnt(31)
	ds_write_b32 v82, v49 offset:64
	s_waitcnt vmcnt(30)
	ds_write_b32 v82, v52 offset:328
	s_waitcnt vmcnt(29)
	ds_write_b32 v82, v53 offset:592
	s_waitcnt vmcnt(28)
	ds_write_b32 v82, v54 offset:856
	s_waitcnt vmcnt(27)
	ds_write_b32 v82, v55 offset:1120
	s_waitcnt vmcnt(26)
	ds_write_b32 v82, v56 offset:1384
	s_waitcnt vmcnt(25)
	ds_write_b32 v82, v57 offset:1648
	s_waitcnt vmcnt(24)
	ds_write_b32 v82, v58 offset:1912
	s_waitcnt vmcnt(23)
	ds_write_b32 v82, v59 offset:2176
	s_waitcnt vmcnt(22)
	ds_write_b32 v82, v60 offset:2440
	s_waitcnt vmcnt(21)
	ds_write_b32 v82, v61 offset:2704
	s_waitcnt vmcnt(20)
	ds_write_b32 v82, v62 offset:2968
	s_waitcnt vmcnt(19)
	ds_write_b32 v82, v63 offset:3232
	s_waitcnt vmcnt(18)
	ds_write_b32 v82, v64 offset:3496
	s_waitcnt vmcnt(17)
	ds_write_b32 v82, v65 offset:3760
	s_waitcnt vmcnt(16)
	ds_write_b32 v82, v66 offset:4024
	ds_read_b64 v[60:61], v83 offset:64
	ds_read_b64 v[56:57], v83 offset:96
	ds_read_b64 v[54:55], v83 offset:128
	ds_read_b64 v[48:49], v83 offset:160
	;; [unrolled: 40-line block ×3, first 2 shown]
	ds_read_b64 v[64:65], v83 offset:192
	ds_read_b64 v[62:63], v83 offset:224
	ds_read_b64 v[58:59], v83 offset:256
	ds_read_b64 v[52:53], v83 offset:288
	v_mov_b32_e32 v0, 0
	s_cbranch_vccnz .LBB82_68
; %bb.65:                               ;   in Loop: Header=BB82_64 Depth=1
	ds_read_b32 v0, v81
	s_waitcnt lgkmcnt(0)
	v_cmp_gt_i32_e32 vcc, 0, v0
	s_cbranch_vccnz .LBB82_67
; %bb.66:                               ;   in Loop: Header=BB82_64 Depth=1
	v_mul_lo_u32 v0, v0, s53
	v_add_u32_e32 v84, v80, v0
	v_ashrrev_i32_e32 v85, 31, v84
	v_lshl_add_u64 v[84:85], v[84:85], 2, v[6:7]
	global_load_dword v0, v[84:85], off
	s_branch .LBB82_68
.LBB82_67:                              ;   in Loop: Header=BB82_64 Depth=1
	v_mov_b32_e32 v0, 0
.LBB82_68:                              ;   in Loop: Header=BB82_64 Depth=1
	s_waitcnt vmcnt(0)
	ds_write_b32 v82, v0 offset:64
	v_mov_b32_e32 v84, 0
	s_andn2_b64 vcc, exec, s[12:13]
	v_mov_b32_e32 v0, 0
	s_cbranch_vccnz .LBB82_71
; %bb.69:                               ;   in Loop: Header=BB82_64 Depth=1
	ds_read_b32 v0, v81 offset:4
	s_waitcnt lgkmcnt(0)
	v_cmp_gt_i32_e32 vcc, 0, v0
	s_cbranch_vccnz .LBB82_74
; %bb.70:                               ;   in Loop: Header=BB82_64 Depth=1
	v_mul_lo_u32 v0, v0, s53
	v_add_u32_e32 v0, s48, v0
	v_add_u32_e32 v86, v0, v80
	v_ashrrev_i32_e32 v87, 31, v86
	v_lshl_add_u64 v[86:87], v[86:87], 2, v[6:7]
	global_load_dword v0, v[86:87], off
.LBB82_71:                              ;   in Loop: Header=BB82_64 Depth=1
	s_andn2_b64 vcc, exec, s[14:15]
	s_waitcnt vmcnt(0)
	ds_write_b32 v82, v0 offset:328
	s_cbranch_vccnz .LBB82_76
.LBB82_72:                              ;   in Loop: Header=BB82_64 Depth=1
	ds_read_b32 v0, v81 offset:8
	s_waitcnt lgkmcnt(0)
	v_cmp_gt_i32_e32 vcc, 0, v0
	s_cbranch_vccnz .LBB82_75
; %bb.73:                               ;   in Loop: Header=BB82_64 Depth=1
	v_mul_lo_u32 v0, v0, s53
	v_readlane_b32 s45, v93, 20
	s_nop 1
	v_add_u32_e32 v0, s45, v0
	v_add_u32_e32 v84, v0, v80
	v_ashrrev_i32_e32 v85, 31, v84
	v_lshl_add_u64 v[84:85], v[84:85], 2, v[6:7]
	global_load_dword v84, v[84:85], off
	s_branch .LBB82_76
.LBB82_74:                              ;   in Loop: Header=BB82_64 Depth=1
	v_mov_b32_e32 v0, 0
	s_andn2_b64 vcc, exec, s[14:15]
	ds_write_b32 v82, v0 offset:328
	s_cbranch_vccz .LBB82_72
	s_branch .LBB82_76
.LBB82_75:                              ;   in Loop: Header=BB82_64 Depth=1
	v_mov_b32_e32 v84, 0
.LBB82_76:                              ;   in Loop: Header=BB82_64 Depth=1
	s_waitcnt vmcnt(0)
	ds_write_b32 v82, v84 offset:592
	v_mov_b32_e32 v84, 0
	s_andn2_b64 vcc, exec, s[16:17]
	v_mov_b32_e32 v0, 0
	s_cbranch_vccnz .LBB82_79
; %bb.77:                               ;   in Loop: Header=BB82_64 Depth=1
	ds_read_b32 v0, v81 offset:12
	s_waitcnt lgkmcnt(0)
	v_cmp_gt_i32_e32 vcc, 0, v0
	s_cbranch_vccnz .LBB82_82
; %bb.78:                               ;   in Loop: Header=BB82_64 Depth=1
	v_mul_lo_u32 v0, v0, s53
	s_mul_i32 s45, s48, 3
	v_add_u32_e32 v0, s45, v0
	v_add_u32_e32 v86, v0, v80
	v_ashrrev_i32_e32 v87, 31, v86
	v_lshl_add_u64 v[86:87], v[86:87], 2, v[6:7]
	global_load_dword v0, v[86:87], off
.LBB82_79:                              ;   in Loop: Header=BB82_64 Depth=1
	s_andn2_b64 vcc, exec, s[18:19]
	s_waitcnt vmcnt(0)
	ds_write_b32 v82, v0 offset:856
	s_cbranch_vccnz .LBB82_84
.LBB82_80:                              ;   in Loop: Header=BB82_64 Depth=1
	ds_read_b32 v0, v81 offset:16
	s_waitcnt lgkmcnt(0)
	v_cmp_gt_i32_e32 vcc, 0, v0
	s_cbranch_vccnz .LBB82_83
; %bb.81:                               ;   in Loop: Header=BB82_64 Depth=1
	v_mul_lo_u32 v0, v0, s53
	v_readlane_b32 s45, v93, 21
	s_nop 1
	v_add_u32_e32 v0, s45, v0
	v_add_u32_e32 v84, v0, v80
	v_ashrrev_i32_e32 v85, 31, v84
	v_lshl_add_u64 v[84:85], v[84:85], 2, v[6:7]
	global_load_dword v84, v[84:85], off
	s_branch .LBB82_84
.LBB82_82:                              ;   in Loop: Header=BB82_64 Depth=1
	v_mov_b32_e32 v0, 0
	s_andn2_b64 vcc, exec, s[18:19]
	ds_write_b32 v82, v0 offset:856
	s_cbranch_vccz .LBB82_80
	s_branch .LBB82_84
.LBB82_83:                              ;   in Loop: Header=BB82_64 Depth=1
	v_mov_b32_e32 v84, 0
.LBB82_84:                              ;   in Loop: Header=BB82_64 Depth=1
	s_waitcnt vmcnt(0)
	ds_write_b32 v82, v84 offset:1120
	v_mov_b32_e32 v84, 0
	s_andn2_b64 vcc, exec, s[20:21]
	v_mov_b32_e32 v0, 0
	s_cbranch_vccnz .LBB82_87
; %bb.85:                               ;   in Loop: Header=BB82_64 Depth=1
	ds_read_b32 v0, v81 offset:20
	s_waitcnt lgkmcnt(0)
	v_cmp_gt_i32_e32 vcc, 0, v0
	s_cbranch_vccnz .LBB82_90
; %bb.86:                               ;   in Loop: Header=BB82_64 Depth=1
	v_mul_lo_u32 v0, v0, s53
	s_mul_i32 s45, s48, 5
	v_add_u32_e32 v0, s45, v0
	v_add_u32_e32 v86, v0, v80
	v_ashrrev_i32_e32 v87, 31, v86
	v_lshl_add_u64 v[86:87], v[86:87], 2, v[6:7]
	global_load_dword v0, v[86:87], off
.LBB82_87:                              ;   in Loop: Header=BB82_64 Depth=1
	s_andn2_b64 vcc, exec, s[22:23]
	s_waitcnt vmcnt(0)
	ds_write_b32 v82, v0 offset:1384
	s_cbranch_vccnz .LBB82_92
.LBB82_88:                              ;   in Loop: Header=BB82_64 Depth=1
	ds_read_b32 v0, v81 offset:24
	s_waitcnt lgkmcnt(0)
	v_cmp_gt_i32_e32 vcc, 0, v0
	s_cbranch_vccnz .LBB82_91
; %bb.89:                               ;   in Loop: Header=BB82_64 Depth=1
	v_mul_lo_u32 v0, v0, s53
	s_mul_i32 s45, s48, 6
	v_add_u32_e32 v0, s45, v0
	v_add_u32_e32 v84, v0, v80
	v_ashrrev_i32_e32 v85, 31, v84
	v_lshl_add_u64 v[84:85], v[84:85], 2, v[6:7]
	global_load_dword v84, v[84:85], off
	s_branch .LBB82_92
.LBB82_90:                              ;   in Loop: Header=BB82_64 Depth=1
	v_mov_b32_e32 v0, 0
	s_andn2_b64 vcc, exec, s[22:23]
	ds_write_b32 v82, v0 offset:1384
	s_cbranch_vccz .LBB82_88
	s_branch .LBB82_92
.LBB82_91:                              ;   in Loop: Header=BB82_64 Depth=1
	v_mov_b32_e32 v84, 0
.LBB82_92:                              ;   in Loop: Header=BB82_64 Depth=1
	s_waitcnt vmcnt(0)
	ds_write_b32 v82, v84 offset:1648
	v_mov_b32_e32 v84, 0
	s_andn2_b64 vcc, exec, s[24:25]
	v_mov_b32_e32 v0, 0
	s_cbranch_vccnz .LBB82_95
; %bb.93:                               ;   in Loop: Header=BB82_64 Depth=1
	ds_read_b32 v0, v81 offset:28
	s_waitcnt lgkmcnt(0)
	v_cmp_gt_i32_e32 vcc, 0, v0
	s_cbranch_vccnz .LBB82_98
; %bb.94:                               ;   in Loop: Header=BB82_64 Depth=1
	v_mul_lo_u32 v0, v0, s53
	s_mul_i32 s45, s48, 7
	v_add_u32_e32 v0, s45, v0
	v_add_u32_e32 v86, v0, v80
	v_ashrrev_i32_e32 v87, 31, v86
	v_lshl_add_u64 v[86:87], v[86:87], 2, v[6:7]
	global_load_dword v0, v[86:87], off
.LBB82_95:                              ;   in Loop: Header=BB82_64 Depth=1
	s_andn2_b64 vcc, exec, s[26:27]
	s_waitcnt vmcnt(0)
	ds_write_b32 v82, v0 offset:1912
	s_cbranch_vccnz .LBB82_100
.LBB82_96:                              ;   in Loop: Header=BB82_64 Depth=1
	ds_read_b32 v0, v81 offset:32
	s_waitcnt lgkmcnt(0)
	v_cmp_gt_i32_e32 vcc, 0, v0
	s_cbranch_vccnz .LBB82_99
; %bb.97:                               ;   in Loop: Header=BB82_64 Depth=1
	v_mul_lo_u32 v0, v0, s53
	v_add_u32_e32 v0, s55, v0
	v_add_u32_e32 v84, v0, v80
	v_ashrrev_i32_e32 v85, 31, v84
	v_lshl_add_u64 v[84:85], v[84:85], 2, v[6:7]
	global_load_dword v84, v[84:85], off
	s_branch .LBB82_100
.LBB82_98:                              ;   in Loop: Header=BB82_64 Depth=1
	v_mov_b32_e32 v0, 0
	s_andn2_b64 vcc, exec, s[26:27]
	ds_write_b32 v82, v0 offset:1912
	s_cbranch_vccz .LBB82_96
	s_branch .LBB82_100
.LBB82_99:                              ;   in Loop: Header=BB82_64 Depth=1
	v_mov_b32_e32 v84, 0
.LBB82_100:                             ;   in Loop: Header=BB82_64 Depth=1
	s_waitcnt vmcnt(0)
	ds_write_b32 v82, v84 offset:2176
	v_mov_b32_e32 v84, 0
	s_andn2_b64 vcc, exec, s[28:29]
	v_mov_b32_e32 v0, 0
	s_cbranch_vccnz .LBB82_103
; %bb.101:                              ;   in Loop: Header=BB82_64 Depth=1
	ds_read_b32 v0, v81 offset:36
	s_waitcnt lgkmcnt(0)
	v_cmp_gt_i32_e32 vcc, 0, v0
	s_cbranch_vccnz .LBB82_106
; %bb.102:                              ;   in Loop: Header=BB82_64 Depth=1
	v_mul_lo_u32 v0, v0, s53
	s_mul_i32 s45, s48, 9
	v_add_u32_e32 v0, s45, v0
	v_add_u32_e32 v86, v0, v80
	v_ashrrev_i32_e32 v87, 31, v86
	v_lshl_add_u64 v[86:87], v[86:87], 2, v[6:7]
	global_load_dword v0, v[86:87], off
.LBB82_103:                             ;   in Loop: Header=BB82_64 Depth=1
	s_andn2_b64 vcc, exec, s[30:31]
	s_waitcnt vmcnt(0)
	ds_write_b32 v82, v0 offset:2440
	s_cbranch_vccnz .LBB82_108
.LBB82_104:                             ;   in Loop: Header=BB82_64 Depth=1
	ds_read_b32 v0, v81 offset:40
	s_waitcnt lgkmcnt(0)
	v_cmp_gt_i32_e32 vcc, 0, v0
	s_cbranch_vccnz .LBB82_107
; %bb.105:                              ;   in Loop: Header=BB82_64 Depth=1
	v_mul_lo_u32 v0, v0, s53
	s_mul_i32 s45, s48, 10
	v_add_u32_e32 v0, s45, v0
	v_add_u32_e32 v84, v0, v80
	v_ashrrev_i32_e32 v85, 31, v84
	v_lshl_add_u64 v[84:85], v[84:85], 2, v[6:7]
	global_load_dword v84, v[84:85], off
	s_branch .LBB82_108
.LBB82_106:                             ;   in Loop: Header=BB82_64 Depth=1
	v_mov_b32_e32 v0, 0
	s_andn2_b64 vcc, exec, s[30:31]
	ds_write_b32 v82, v0 offset:2440
	s_cbranch_vccz .LBB82_104
	s_branch .LBB82_108
.LBB82_107:                             ;   in Loop: Header=BB82_64 Depth=1
	v_mov_b32_e32 v84, 0
.LBB82_108:                             ;   in Loop: Header=BB82_64 Depth=1
	s_waitcnt vmcnt(0)
	ds_write_b32 v82, v84 offset:2704
	v_mov_b32_e32 v0, 0
	s_andn2_b64 vcc, exec, s[34:35]
	v_mov_b32_e32 v84, 0
	s_cbranch_vccnz .LBB82_111
; %bb.109:                              ;   in Loop: Header=BB82_64 Depth=1
	ds_read_b32 v84, v81 offset:44
	s_waitcnt lgkmcnt(0)
	v_cmp_gt_i32_e32 vcc, 0, v84
	s_cbranch_vccnz .LBB82_114
; %bb.110:                              ;   in Loop: Header=BB82_64 Depth=1
	v_mul_lo_u32 v84, v84, s53
	s_mul_i32 s45, s48, 11
	v_add_u32_e32 v84, s45, v84
	v_add_u32_e32 v84, v84, v80
	v_ashrrev_i32_e32 v85, 31, v84
	v_lshl_add_u64 v[84:85], v[84:85], 2, v[6:7]
	global_load_dword v84, v[84:85], off
.LBB82_111:                             ;   in Loop: Header=BB82_64 Depth=1
	s_andn2_b64 vcc, exec, s[36:37]
	s_waitcnt vmcnt(0)
	ds_write_b32 v82, v84 offset:2968
	s_cbranch_vccnz .LBB82_63
.LBB82_112:                             ;   in Loop: Header=BB82_64 Depth=1
	ds_read_b32 v0, v81 offset:48
	s_waitcnt lgkmcnt(0)
	v_cmp_gt_i32_e32 vcc, 0, v0
	s_cbranch_vccz .LBB82_62
; %bb.113:                              ;   in Loop: Header=BB82_64 Depth=1
	v_mov_b32_e32 v0, 0
	s_branch .LBB82_63
.LBB82_114:                             ;   in Loop: Header=BB82_64 Depth=1
	v_mov_b32_e32 v84, 0
	s_andn2_b64 vcc, exec, s[36:37]
	ds_write_b32 v82, v84 offset:2968
	s_cbranch_vccnz .LBB82_63
	s_branch .LBB82_112
.LBB82_115:
	s_or_b64 exec, exec, s[46:47]
	v_readlane_b32 s26, v93, 12
	v_readlane_b32 s28, v93, 16
	;; [unrolled: 1-line block ×8, first 2 shown]
.LBB82_116:
	v_readlane_b32 s0, v93, 10
	v_readlane_b32 s1, v93, 11
	s_or_b64 exec, exec, s[0:1]
	v_mov_b32_e32 v1, 0x100
	v_lshl_add_u32 v0, v78, 2, v1
	v_mul_u32_u24_e32 v4, 0x308, v79
	v_and_b32_e32 v5, 0x3f0, v2
	v_add3_u32 v4, v0, v4, v5
	v_accvgpr_read_b32 v5, a13
	v_accvgpr_read_b32 v6, a12
	s_waitcnt lgkmcnt(0)
	s_barrier
	ds_write2_b32 v4, v6, v5 offset0:16 offset1:17
	v_accvgpr_read_b32 v5, a15
	v_accvgpr_read_b32 v6, a14
	ds_write2_b32 v4, v6, v5 offset0:18 offset1:19
	v_accvgpr_read_b32 v5, a9
	v_accvgpr_read_b32 v6, a8
	;; [unrolled: 3-line block ×7, first 2 shown]
	s_movk_i32 s0, 0x308
	ds_write2_b32 v4, v6, v5 offset0:66 offset1:67
	v_lshl_add_u32 v6, v2, 2, v1
	v_mad_u32_u24 v1, v74, s0, v6
	s_waitcnt lgkmcnt(0)
	s_barrier
	ds_read2_b32 v[4:5], v1 offset0:16 offset1:80
	ds_read_b32 v8, v1 offset:576
	v_cmp_gt_u32_e32 vcc, 13, v74
	v_mov_b32_e32 v9, -1
	s_and_saveexec_b64 s[0:1], vcc
; %bb.117:
	s_movk_i32 s2, 0xff04
	v_mad_i32_i24 v0, v74, s2, v0
	ds_read_b32 v9, v0
; %bb.118:
	s_or_b64 exec, exec, s[0:1]
	s_mul_hi_i32 s1, s30, s24
	s_mul_i32 s0, s30, s24
	s_lshl_b64 s[0:1], s[0:1], 2
	v_readlane_b32 s2, v93, 8
	v_mul_hi_i32 v1, v3, s49
	v_mul_lo_u32 v0, v3, s49
	v_readlane_b32 s3, v93, 9
	s_add_u32 s0, s2, s0
	s_addc_u32 s1, s3, s1
	v_lshlrev_b64 v[0:1], 2, v[0:1]
	s_waitcnt lgkmcnt(0)
	v_cmp_lt_i32_e32 vcc, -1, v9
	v_mul_u32_u24_e32 v10, 0x308, v74
	v_add_u32_e32 v7, s7, v2
	v_lshl_add_u64 v[0:1], s[0:1], 0, v[0:1]
	s_and_b64 s[2:3], vcc, s[26:27]
	s_and_saveexec_b64 s[0:1], s[2:3]
	s_cbranch_execz .LBB82_120
; %bb.119:
	v_add_f32_e32 v2, 0, v4
	v_add_f32_e32 v2, v2, v5
	;; [unrolled: 1-line block ×3, first 2 shown]
	v_mul_lo_u32 v2, v9, s54
	v_mul_lo_u32 v3, v74, s49
	v_add3_u32 v2, v7, v3, v2
	v_mov_b32_e32 v3, 0
	v_lshl_add_u64 v[2:3], v[2:3], 2, v[0:1]
	global_store_dword v[2:3], v4, off
.LBB82_120:
	s_or_b64 exec, exec, s[0:1]
	v_add_u32_e32 v4, v10, v6
	v_add_u32_e32 v2, 0x58, v4
	ds_read2st64_b32 v[2:3], v2 offset0:9 offset1:10
	ds_read_b32 v5, v4 offset:2904
	v_cmp_gt_u32_e32 vcc, 10, v74
	v_mov_b32_e32 v8, -1
	s_and_saveexec_b64 s[0:1], vcc
; %bb.121:
	v_mov_b32_e32 v8, 0x100
	v_lshl_add_u32 v8, v74, 2, v8
	ds_read_b32 v8, v8 offset:12
; %bb.122:
	s_or_b64 exec, exec, s[0:1]
	v_readlane_b32 s0, v93, 0
	s_waitcnt lgkmcnt(0)
	v_cmp_lt_i32_e32 vcc, -1, v8
	v_readlane_b32 s1, v93, 1
	s_and_b64 s[2:3], vcc, s[0:1]
	s_and_saveexec_b64 s[0:1], s[2:3]
	s_cbranch_execz .LBB82_124
; %bb.123:
	v_add_f32_e32 v2, 0, v2
	v_add_f32_e32 v2, v2, v3
	v_add_f32_e32 v5, v2, v5
	v_mul_lo_u32 v2, v8, s54
	v_mul_lo_u32 v3, v75, s49
	v_add3_u32 v2, v7, v3, v2
	v_mov_b32_e32 v3, 0
	v_lshl_add_u64 v[2:3], v[2:3], 2, v[0:1]
	global_store_dword v[2:3], v5, off
.LBB82_124:
	s_or_b64 exec, exec, s[0:1]
	v_add_u32_e32 v2, 0x70, v4
	ds_read2st64_b32 v[2:3], v2 offset0:18 offset1:19
	ds_read_b32 v5, v4 offset:5232
	v_cmp_gt_u32_e32 vcc, 7, v74
	v_mov_b32_e32 v8, -1
	s_and_saveexec_b64 s[0:1], vcc
; %bb.125:
	v_mov_b32_e32 v8, 0x100
	v_lshl_add_u32 v8, v74, 2, v8
	ds_read_b32 v8, v8 offset:24
; %bb.126:
	s_or_b64 exec, exec, s[0:1]
	v_readlane_b32 s0, v93, 2
	s_waitcnt lgkmcnt(0)
	v_cmp_lt_i32_e32 vcc, -1, v8
	v_readlane_b32 s1, v93, 3
	s_and_b64 s[2:3], vcc, s[0:1]
	s_and_saveexec_b64 s[0:1], s[2:3]
	s_cbranch_execz .LBB82_128
; %bb.127:
	v_add_f32_e32 v2, 0, v2
	v_add_f32_e32 v2, v2, v3
	v_add_f32_e32 v5, v2, v5
	v_mul_lo_u32 v2, v8, s54
	v_mul_lo_u32 v3, v76, s49
	v_add3_u32 v2, v7, v3, v2
	v_mov_b32_e32 v3, 0
	v_lshl_add_u64 v[2:3], v[2:3], 2, v[0:1]
	global_store_dword v[2:3], v5, off
.LBB82_128:
	s_or_b64 exec, exec, s[0:1]
	;; [unrolled: 31-line block ×3, first 2 shown]
	v_cmp_eq_u32_e32 vcc, 0, v74
	s_and_saveexec_b64 s[0:1], vcc
	s_cbranch_execz .LBB82_135
; %bb.133:
	v_mov_b32_e32 v2, 0x100
	ds_read_b32 v2, v2 offset:48
	v_readlane_b32 s2, v93, 6
	v_readlane_b32 s3, v93, 7
	s_waitcnt lgkmcnt(0)
	v_readfirstlane_b32 s0, v2
	s_cmp_gt_i32 s0, -1
	s_cselect_b64 s[0:1], -1, 0
	s_and_b64 s[0:1], s[0:1], s[2:3]
	s_and_b64 exec, exec, s[0:1]
	s_cbranch_execz .LBB82_135
; %bb.134:
	v_add_u32_e32 v3, 0xa0, v6
	ds_read2st64_b32 v[4:5], v3 offset0:36 offset1:37
	ds_read_b32 v3, v6 offset:9888
	v_mul_lo_u32 v2, v2, s54
	s_mul_i32 s0, s49, 12
	v_add_u32_e32 v2, s0, v2
	s_waitcnt lgkmcnt(1)
	v_add_f32_e32 v4, 0, v4
	v_add_f32_e32 v4, v4, v5
	s_waitcnt lgkmcnt(0)
	v_add_f32_e32 v4, v4, v3
	v_add_u32_e32 v2, v2, v7
	v_mov_b32_e32 v3, 0
	v_lshl_add_u64 v[0:1], v[2:3], 2, v[0:1]
	global_store_dword v[0:1], v4, off
.LBB82_135:
	s_endpgm
	.section	.rodata,"a",@progbits
	.p2align	6, 0x0
	.amdhsa_kernel _ZL9mul_mat_fIfLi64ELi13ELi3ELb1EEvPKT_PKfPKiPfiiiiiiiiiiiiiiii
		.amdhsa_group_segment_fixed_size 256
		.amdhsa_private_segment_fixed_size 0
		.amdhsa_kernarg_size 352
		.amdhsa_user_sgpr_count 2
		.amdhsa_user_sgpr_dispatch_ptr 0
		.amdhsa_user_sgpr_queue_ptr 0
		.amdhsa_user_sgpr_kernarg_segment_ptr 1
		.amdhsa_user_sgpr_dispatch_id 0
		.amdhsa_user_sgpr_kernarg_preload_length 0
		.amdhsa_user_sgpr_kernarg_preload_offset 0
		.amdhsa_user_sgpr_private_segment_size 0
		.amdhsa_uses_dynamic_stack 0
		.amdhsa_enable_private_segment 0
		.amdhsa_system_sgpr_workgroup_id_x 1
		.amdhsa_system_sgpr_workgroup_id_y 1
		.amdhsa_system_sgpr_workgroup_id_z 1
		.amdhsa_system_sgpr_workgroup_info 0
		.amdhsa_system_vgpr_workitem_id 2
		.amdhsa_next_free_vgpr 112
		.amdhsa_next_free_sgpr 100
		.amdhsa_accum_offset 96
		.amdhsa_reserve_vcc 1
		.amdhsa_float_round_mode_32 0
		.amdhsa_float_round_mode_16_64 0
		.amdhsa_float_denorm_mode_32 3
		.amdhsa_float_denorm_mode_16_64 3
		.amdhsa_dx10_clamp 1
		.amdhsa_ieee_mode 1
		.amdhsa_fp16_overflow 0
		.amdhsa_tg_split 0
		.amdhsa_exception_fp_ieee_invalid_op 0
		.amdhsa_exception_fp_denorm_src 0
		.amdhsa_exception_fp_ieee_div_zero 0
		.amdhsa_exception_fp_ieee_overflow 0
		.amdhsa_exception_fp_ieee_underflow 0
		.amdhsa_exception_fp_ieee_inexact 0
		.amdhsa_exception_int_div_zero 0
	.end_amdhsa_kernel
	.section	.text._ZL9mul_mat_fIfLi64ELi13ELi3ELb1EEvPKT_PKfPKiPfiiiiiiiiiiiiiiii,"axG",@progbits,_ZL9mul_mat_fIfLi64ELi13ELi3ELb1EEvPKT_PKfPKiPfiiiiiiiiiiiiiiii,comdat
.Lfunc_end82:
	.size	_ZL9mul_mat_fIfLi64ELi13ELi3ELb1EEvPKT_PKfPKiPfiiiiiiiiiiiiiiii, .Lfunc_end82-_ZL9mul_mat_fIfLi64ELi13ELi3ELb1EEvPKT_PKfPKiPfiiiiiiiiiiiiiiii
                                        ; -- End function
	.set _ZL9mul_mat_fIfLi64ELi13ELi3ELb1EEvPKT_PKfPKiPfiiiiiiiiiiiiiiii.num_vgpr, 94
	.set _ZL9mul_mat_fIfLi64ELi13ELi3ELb1EEvPKT_PKfPKiPfiiiiiiiiiiiiiiii.num_agpr, 16
	.set _ZL9mul_mat_fIfLi64ELi13ELi3ELb1EEvPKT_PKfPKiPfiiiiiiiiiiiiiiii.numbered_sgpr, 100
	.set _ZL9mul_mat_fIfLi64ELi13ELi3ELb1EEvPKT_PKfPKiPfiiiiiiiiiiiiiiii.num_named_barrier, 0
	.set _ZL9mul_mat_fIfLi64ELi13ELi3ELb1EEvPKT_PKfPKiPfiiiiiiiiiiiiiiii.private_seg_size, 0
	.set _ZL9mul_mat_fIfLi64ELi13ELi3ELb1EEvPKT_PKfPKiPfiiiiiiiiiiiiiiii.uses_vcc, 1
	.set _ZL9mul_mat_fIfLi64ELi13ELi3ELb1EEvPKT_PKfPKiPfiiiiiiiiiiiiiiii.uses_flat_scratch, 0
	.set _ZL9mul_mat_fIfLi64ELi13ELi3ELb1EEvPKT_PKfPKiPfiiiiiiiiiiiiiiii.has_dyn_sized_stack, 0
	.set _ZL9mul_mat_fIfLi64ELi13ELi3ELb1EEvPKT_PKfPKiPfiiiiiiiiiiiiiiii.has_recursion, 0
	.set _ZL9mul_mat_fIfLi64ELi13ELi3ELb1EEvPKT_PKfPKiPfiiiiiiiiiiiiiiii.has_indirect_call, 0
	.section	.AMDGPU.csdata,"",@progbits
; Kernel info:
; codeLenInByte = 9016
; TotalNumSgprs: 106
; NumVgprs: 94
; NumAgprs: 16
; TotalNumVgprs: 112
; ScratchSize: 0
; MemoryBound: 0
; FloatMode: 240
; IeeeMode: 1
; LDSByteSize: 256 bytes/workgroup (compile time only)
; SGPRBlocks: 13
; VGPRBlocks: 13
; NumSGPRsForWavesPerEU: 106
; NumVGPRsForWavesPerEU: 112
; AccumOffset: 96
; Occupancy: 4
; WaveLimiterHint : 0
; COMPUTE_PGM_RSRC2:SCRATCH_EN: 0
; COMPUTE_PGM_RSRC2:USER_SGPR: 2
; COMPUTE_PGM_RSRC2:TRAP_HANDLER: 0
; COMPUTE_PGM_RSRC2:TGID_X_EN: 1
; COMPUTE_PGM_RSRC2:TGID_Y_EN: 1
; COMPUTE_PGM_RSRC2:TGID_Z_EN: 1
; COMPUTE_PGM_RSRC2:TIDIG_COMP_CNT: 2
; COMPUTE_PGM_RSRC3_GFX90A:ACCUM_OFFSET: 23
; COMPUTE_PGM_RSRC3_GFX90A:TG_SPLIT: 0
	.section	.text._ZL9mul_mat_fIfLi64ELi13ELi3ELb0EEvPKT_PKfPKiPfiiiiiiiiiiiiiiii,"axG",@progbits,_ZL9mul_mat_fIfLi64ELi13ELi3ELb0EEvPKT_PKfPKiPfiiiiiiiiiiiiiiii,comdat
	.globl	_ZL9mul_mat_fIfLi64ELi13ELi3ELb0EEvPKT_PKfPKiPfiiiiiiiiiiiiiiii ; -- Begin function _ZL9mul_mat_fIfLi64ELi13ELi3ELb0EEvPKT_PKfPKiPfiiiiiiiiiiiiiiii
	.p2align	8
	.type	_ZL9mul_mat_fIfLi64ELi13ELi3ELb0EEvPKT_PKfPKiPfiiiiiiiiiiiiiiii,@function
_ZL9mul_mat_fIfLi64ELi13ELi3ELb0EEvPKT_PKfPKiPfiiiiiiiiiiiiiiii: ; @_ZL9mul_mat_fIfLi64ELi13ELi3ELb0EEvPKT_PKfPKiPfiiiiiiiiiiiiiiii
; %bb.0:
	s_load_dword s5, s[0:1], 0x20
	s_load_dwordx4 s[16:19], s[0:1], 0x2c
	v_bfe_u32 v78, v0, 10, 10
	v_lshlrev_b32_e32 v80, 6, v78
	v_and_b32_e32 v79, 0x3ff, v0
	v_add_u32_e32 v82, v80, v79
	s_waitcnt lgkmcnt(0)
	s_ashr_i32 s19, s4, 31
	v_cmp_le_i32_e32 vcc, s5, v82
	v_and_b32_e32 v81, 15, v79
	s_and_saveexec_b64 s[6:7], vcc
	s_xor_b64 s[6:7], exec, s[6:7]
; %bb.1:
	v_and_b32_e32 v81, 15, v79
                                        ; implicit-def: $vgpr82
; %bb.2:
	s_or_saveexec_b64 s[24:25], s[6:7]
	s_load_dwordx8 s[8:15], s[0:1], 0x40
	s_load_dwordx2 s[6:7], s[0:1], 0x18
	s_lshl_b32 s2, s2, 6
	v_mov_b32_e32 v1, 0
	v_accvgpr_write_b32 a0, 0
	v_accvgpr_write_b32 a1, 0
	;; [unrolled: 1-line block ×16, first 2 shown]
	s_xor_b64 exec, exec, s[24:25]
	s_cbranch_execz .LBB83_6
; %bb.3:
	s_waitcnt lgkmcnt(0)
	s_abs_i32 s26, s8
	v_cvt_f32_u32_e32 v0, s26
	s_abs_i32 s27, s12
	v_cvt_f32_u32_e32 v2, s27
	s_sub_i32 s20, 0, s26
	v_rcp_iflag_f32_e32 v0, v0
	s_abs_i32 s28, s3
	v_rcp_iflag_f32_e32 v2, v2
	s_sub_i32 s21, 0, s27
	v_mul_f32_e32 v0, 0x4f7ffffe, v0
	v_cvt_u32_f32_e32 v0, v0
	v_mul_f32_e32 v2, 0x4f7ffffe, v2
	v_cvt_u32_f32_e32 v2, v2
	s_abs_i32 s29, s4
	v_mul_lo_u32 v3, s20, v0
	v_mul_hi_u32 v3, v0, v3
	v_add_u32_e32 v0, v0, v3
	v_mul_hi_u32 v0, s28, v0
	v_mul_lo_u32 v4, s21, v2
	v_mul_lo_u32 v3, v0, s26
	v_mul_hi_u32 v4, v2, v4
	v_sub_u32_e32 v3, s28, v3
	v_add_u32_e32 v2, v2, v4
	v_subrev_u32_e32 v5, s26, v3
	v_cmp_le_u32_e32 vcc, s26, v3
	v_mul_hi_u32 v2, s29, v2
	v_add_u32_e32 v4, 1, v0
	v_cndmask_b32_e32 v3, v3, v5, vcc
	v_cndmask_b32_e32 v0, v0, v4, vcc
	v_cmp_le_u32_e32 vcc, s26, v3
	v_mul_lo_u32 v3, v2, s27
	s_load_dwordx4 s[20:23], s[0:1], 0x0
	s_ashr_i32 s0, s3, 31
	s_ashr_i32 s1, s8, 31
	v_add_u32_e32 v4, 1, v0
	v_sub_u32_e32 v3, s29, v3
	s_xor_b32 s0, s0, s1
	v_cndmask_b32_e32 v0, v0, v4, vcc
	v_add_u32_e32 v4, 1, v2
	v_subrev_u32_e32 v5, s27, v3
	v_cmp_le_u32_e32 vcc, s27, v3
	v_xor_b32_e32 v0, s0, v0
	s_ashr_i32 s8, s12, 31
	v_cndmask_b32_e32 v2, v2, v4, vcc
	v_cndmask_b32_e32 v3, v3, v5, vcc
	v_subrev_u32_e32 v0, s0, v0
	v_add_u32_e32 v4, 1, v2
	v_cmp_le_u32_e32 vcc, s27, v3
	s_xor_b32 s0, s19, s8
	s_mul_i32 s8, s14, s4
	v_cndmask_b32_e32 v2, v2, v4, vcc
	v_mul_lo_u32 v4, v0, s9
	s_mul_hi_i32 s9, s14, s4
	v_xor_b32_e32 v2, s0, v2
	s_lshl_b64 s[8:9], s[8:9], 2
	v_subrev_u32_e32 v2, s0, v2
	s_mul_i32 s0, s16, s2
	s_mul_i32 s26, s10, s3
	s_waitcnt lgkmcnt(0)
	s_add_u32 s10, s22, s8
	s_addc_u32 s14, s23, s9
	s_ashr_i32 s1, s0, 31
	s_ashr_i32 s27, s26, 31
	v_mul_hi_i32 v3, v2, s13
	v_mul_lo_u32 v2, v2, s13
	s_lshl_b64 s[12:13], s[0:1], 2
	s_lshl_b64 s[26:27], s[26:27], 2
	s_add_u32 s0, s10, s26
	s_addc_u32 s1, s14, s27
	s_movk_i32 s10, 0x1080
	s_ashr_i32 s31, s16, 31
	s_mov_b32 s30, s16
	s_ashr_i32 s29, s17, 31
	s_mov_b32 s28, s17
	v_ashrrev_i32_e32 v5, 31, v4
	v_lshlrev_b64 v[8:9], 2, v[2:3]
	v_mad_u32_u24 v6, v78, s10, 0
	s_add_i32 s10, s16, s16
	s_add_i32 s14, s17, s17
	s_lshl_b32 s33, s17, 2
	s_lshl_b32 s37, s17, 3
	;; [unrolled: 1-line block ×6, first 2 shown]
	s_lshl_b64 s[30:31], s[30:31], 2
	s_lshl_b64 s[72:73], s[28:29], 2
	v_lshl_add_u64 v[2:3], s[20:21], 0, v[8:9]
	v_lshlrev_b64 v[4:5], 2, v[4:5]
	v_lshrrev_b32_e32 v10, 1, v79
	s_add_u32 s76, s22, s26
	v_lshl_add_u64 v[2:3], v[2:3], 0, v[4:5]
	v_lshlrev_b32_e32 v0, 2, v79
	v_mul_u32_u24_e32 v7, 0x108, v81
	v_and_b32_e32 v10, 0x1f8, v10
	s_addc_u32 s77, s23, s27
	v_lshl_add_u64 v[4:5], s[20:21], 0, v[4:5]
	v_lshlrev_b32_e32 v14, 8, v78
	v_mov_b32_e32 v15, v1
	v_add_u32_e32 v83, v6, v0
	v_add3_u32 v84, v6, v7, v10
	v_lshl_add_u64 v[10:11], v[4:5], 0, s[12:13]
	v_lshl_add_u64 v[6:7], s[8:9], 0, v[14:15]
	s_add_u32 s8, s76, s72
	v_lshl_add_u64 v[12:13], v[10:11], 0, s[30:31]
	s_addc_u32 s9, s77, s73
	v_lshl_add_u64 v[14:15], v[8:9], 0, v[14:15]
	v_lshl_add_u64 v[2:3], v[2:3], 0, s[12:13]
	s_mul_i32 s19, s17, 3
	s_mul_i32 s34, s17, 5
	;; [unrolled: 1-line block ×47, first 2 shown]
	v_lshl_add_u64 v[4:5], s[8:9], 0, v[6:7]
	s_mul_i32 s74, s16, 46
	s_mul_i32 s75, s16, 47
	v_lshl_add_u64 v[6:7], s[76:77], 0, v[6:7]
	s_mul_i32 s76, s16, 48
	s_mul_i32 s77, s16, 49
	v_accvgpr_write_b32 a15, 0
	v_accvgpr_write_b32 a14, 0
	;; [unrolled: 1-line block ×16, first 2 shown]
	v_lshl_add_u64 v[8:9], v[12:13], 0, v[14:15]
	v_lshl_add_u64 v[10:11], v[10:11], 0, v[14:15]
	s_mul_i32 s78, s16, 50
	s_mul_i32 s79, s16, 51
	;; [unrolled: 1-line block ×14, first 2 shown]
	s_mov_b64 s[8:9], 0
	s_mov_b64 s[12:13], 0x300
.LBB83_4:                               ; =>This Inner Loop Header: Depth=1
	v_add_u32_e32 v52, s10, v82
	v_add_u32_e32 v56, s41, v82
	;; [unrolled: 1-line block ×9, first 2 shown]
	v_lshl_add_u64 v[58:59], v[10:11], 0, v[0:1]
	v_add_u32_e32 v54, s43, v82
	v_add_u32_e32 v50, s45, v82
	;; [unrolled: 1-line block ×7, first 2 shown]
	v_lshl_add_u64 v[90:91], v[6:7], 0, v[0:1]
	v_ashrrev_i32_e32 v53, 31, v52
	v_ashrrev_i32_e32 v57, 31, v56
	v_ashrrev_i32_e32 v49, 31, v48
	v_ashrrev_i32_e32 v45, 31, v44
	v_ashrrev_i32_e32 v41, 31, v40
	v_ashrrev_i32_e32 v37, 31, v36
	v_ashrrev_i32_e32 v31, 31, v30
	v_ashrrev_i32_e32 v25, 31, v24
	v_ashrrev_i32_e32 v33, 31, v32
	v_lshl_add_u64 v[60:61], v[8:9], 0, v[0:1]
	v_add_u32_e32 v20, s56, v82
	v_add_u32_e32 v28, s57, v82
	v_lshl_add_u64 v[92:93], v[4:5], 0, v[0:1]
	global_load_dword v87, v[58:59], off
	global_load_dword v88, v[60:61], off
	;; [unrolled: 1-line block ×4, first 2 shown]
	v_lshl_add_u64 v[52:53], v[52:53], 2, v[2:3]
	v_lshl_add_u64 v[90:91], v[56:57], 2, v[2:3]
	v_ashrrev_i32_e32 v55, 31, v54
	v_lshl_add_u64 v[48:49], v[48:49], 2, v[2:3]
	v_ashrrev_i32_e32 v51, 31, v50
	;; [unrolled: 2-line block ×5, first 2 shown]
	v_lshl_add_u64 v[30:31], v[30:31], 2, v[2:3]
	v_lshl_add_u64 v[24:25], v[24:25], 2, v[2:3]
	;; [unrolled: 1-line block ×3, first 2 shown]
	v_ashrrev_i32_e32 v27, 31, v26
	v_ashrrev_i32_e32 v35, 31, v34
	v_add_u32_e32 v16, s58, v82
	v_add_u32_e32 v22, s59, v82
	global_load_dword v56, v[52:53], off
	global_load_dword v57, v[90:91], off
	v_lshl_add_u64 v[90:91], v[54:55], 2, v[2:3]
	global_load_dword v54, v[48:49], off
	global_load_dword v55, v[90:91], off
	v_lshl_add_u64 v[50:51], v[50:51], 2, v[2:3]
	global_load_dword v44, v[44:45], off
	s_nop 0
	global_load_dword v45, v[50:51], off
	v_lshl_add_u64 v[46:47], v[46:47], 2, v[2:3]
	global_load_dword v40, v[40:41], off
	s_nop 0
	;; [unrolled: 4-line block ×4, first 2 shown]
	global_load_dword v31, v[38:39], off
	s_nop 0
	global_load_dword v24, v[24:25], off
	s_nop 0
	global_load_dword v25, v[32:33], off
	v_lshl_add_u64 v[26:27], v[26:27], 2, v[2:3]
	v_lshl_add_u64 v[32:33], v[34:35], 2, v[2:3]
	v_ashrrev_i32_e32 v21, 31, v20
	v_ashrrev_i32_e32 v29, 31, v28
	v_add_u32_e32 v14, s60, v82
	v_add_u32_e32 v18, s61, v82
	;; [unrolled: 1-line block ×4, first 2 shown]
	global_load_dword v26, v[26:27], off
	s_nop 0
	global_load_dword v27, v[32:33], off
	v_lshl_add_u64 v[20:21], v[20:21], 2, v[2:3]
	v_lshl_add_u64 v[32:33], v[28:29], 2, v[2:3]
	v_ashrrev_i32_e32 v17, 31, v16
	v_ashrrev_i32_e32 v23, 31, v22
	v_add_u32_e32 v68, s64, v82
	v_add_u32_e32 v74, s65, v82
	global_load_dword v28, v[20:21], off
	global_load_dword v29, v[32:33], off
	v_lshl_add_u64 v[16:17], v[16:17], 2, v[2:3]
	v_lshl_add_u64 v[32:33], v[22:23], 2, v[2:3]
	v_ashrrev_i32_e32 v15, 31, v14
	v_ashrrev_i32_e32 v19, 31, v18
	;; [unrolled: 1-line block ×4, first 2 shown]
	v_add_u32_e32 v66, s66, v82
	v_add_u32_e32 v72, s67, v82
	global_load_dword v22, v[16:17], off
	global_load_dword v23, v[32:33], off
	v_lshl_add_u64 v[14:15], v[14:15], 2, v[2:3]
	v_lshl_add_u64 v[18:19], v[18:19], 2, v[2:3]
	;; [unrolled: 1-line block ×4, first 2 shown]
	v_ashrrev_i32_e32 v69, 31, v68
	v_ashrrev_i32_e32 v75, 31, v74
	v_add_u32_e32 v64, s68, v82
	v_add_u32_e32 v70, s69, v82
	global_load_dword v14, v[14:15], off
	s_nop 0
	global_load_dword v15, v[18:19], off
	s_nop 0
	global_load_dword v18, v[12:13], off
	global_load_dword v19, v[32:33], off
	v_lshl_add_u64 v[32:33], v[68:69], 2, v[2:3]
	v_lshl_add_u64 v[38:39], v[74:75], 2, v[2:3]
	v_ashrrev_i32_e32 v67, 31, v66
	v_ashrrev_i32_e32 v73, 31, v72
	v_add_u32_e32 v62, s70, v82
	v_add_u32_e32 v60, s71, v82
	global_load_dword v32, v[32:33], off
	s_nop 0
	global_load_dword v33, v[38:39], off
	v_lshl_add_u64 v[38:39], v[66:67], 2, v[2:3]
	v_lshl_add_u64 v[42:43], v[72:73], 2, v[2:3]
	v_ashrrev_i32_e32 v65, 31, v64
	v_ashrrev_i32_e32 v71, 31, v70
	v_add_u32_e32 v58, s22, v82
	v_add_u32_e32 v48, s20, v82
	;; [unrolled: 1-line block ×3, first 2 shown]
	global_load_dword v38, v[38:39], off
	s_nop 0
	global_load_dword v39, v[42:43], off
	v_lshl_add_u64 v[42:43], v[64:65], 2, v[2:3]
	v_lshl_add_u64 v[46:47], v[70:71], 2, v[2:3]
	v_ashrrev_i32_e32 v63, 31, v62
	v_ashrrev_i32_e32 v61, 31, v60
	v_add_u32_e32 v52, s23, v82
	v_add_u32_e32 v92, s26, v82
	;; [unrolled: 1-line block ×3, first 2 shown]
	global_load_dword v42, v[42:43], off
	s_nop 0
	global_load_dword v43, v[46:47], off
	v_lshl_add_u64 v[46:47], v[62:63], 2, v[2:3]
	v_lshl_add_u64 v[50:51], v[60:61], 2, v[2:3]
	v_ashrrev_i32_e32 v59, 31, v58
	v_ashrrev_i32_e32 v49, 31, v48
	;; [unrolled: 1-line block ×3, first 2 shown]
	v_add_u32_e32 v96, s28, v82
	v_add_u32_e32 v34, s30, v82
	global_load_dword v46, v[46:47], off
	s_nop 0
	global_load_dword v47, v[50:51], off
	v_ashrrev_i32_e32 v53, 31, v52
	v_lshl_add_u64 v[50:51], v[58:59], 2, v[2:3]
	v_lshl_add_u64 v[48:49], v[48:49], 2, v[2:3]
	;; [unrolled: 1-line block ×3, first 2 shown]
	v_ashrrev_i32_e32 v93, 31, v92
	v_ashrrev_i32_e32 v95, 31, v94
	v_add_u32_e32 v98, s29, v82
	v_add_u32_e32 v20, s31, v82
	;; [unrolled: 1-line block ×4, first 2 shown]
	v_lshl_add_u64 v[52:53], v[52:53], 2, v[2:3]
	global_load_dword v50, v[50:51], off
	s_nop 0
	global_load_dword v51, v[52:53], off
	global_load_dword v72, v[48:49], off
	;; [unrolled: 1-line block ×3, first 2 shown]
	v_lshl_add_u64 v[58:59], v[92:93], 2, v[2:3]
	v_lshl_add_u64 v[62:63], v[94:95], 2, v[2:3]
	v_ashrrev_i32_e32 v97, 31, v96
	v_ashrrev_i32_e32 v35, 31, v34
	v_add_u32_e32 v12, s74, v82
	v_add_u32_e32 v68, s75, v82
	global_load_dword v74, v[58:59], off
	global_load_dword v75, v[62:63], off
	v_ashrrev_i32_e32 v99, 31, v98
	v_lshl_add_u64 v[62:63], v[96:97], 2, v[2:3]
	v_ashrrev_i32_e32 v21, 31, v20
	v_lshl_add_u64 v[34:35], v[34:35], 2, v[2:3]
	v_ashrrev_i32_e32 v17, 31, v16
	v_ashrrev_i32_e32 v101, 31, v100
	v_add_u32_e32 v66, s76, v82
	v_add_u32_e32 v64, s77, v82
	v_lshl_add_u64 v[70:71], v[98:99], 2, v[2:3]
	global_load_dword v76, v[62:63], off
	global_load_dword v77, v[70:71], off
	v_lshl_add_u64 v[20:21], v[20:21], 2, v[2:3]
	global_load_dword v89, v[34:35], off
	global_load_dword v90, v[20:21], off
	v_lshl_add_u64 v[16:17], v[16:17], 2, v[2:3]
	v_lshl_add_u64 v[34:35], v[100:101], 2, v[2:3]
	v_ashrrev_i32_e32 v13, 31, v12
	v_ashrrev_i32_e32 v69, 31, v68
	v_add_u32_e32 v60, s78, v82
	v_add_u32_e32 v52, s79, v82
	;; [unrolled: 1-line block ×4, first 2 shown]
	global_load_dword v91, v[16:17], off
	global_load_dword v92, v[34:35], off
	v_lshl_add_u64 v[12:13], v[12:13], 2, v[2:3]
	v_lshl_add_u64 v[34:35], v[68:69], 2, v[2:3]
	v_ashrrev_i32_e32 v67, 31, v66
	v_ashrrev_i32_e32 v65, 31, v64
	v_add_u32_e32 v62, s82, v82
	v_add_u32_e32 v20, s83, v82
	;; [unrolled: 1-line block ×3, first 2 shown]
	global_load_dword v68, v[12:13], off
	global_load_dword v69, v[34:35], off
	v_add_u32_e32 v12, s85, v82
	v_lshl_add_u64 v[34:35], v[66:67], 2, v[2:3]
	v_lshl_add_u64 v[64:65], v[64:65], 2, v[2:3]
	v_ashrrev_i32_e32 v61, 31, v60
	v_ashrrev_i32_e32 v53, 31, v52
	;; [unrolled: 1-line block ×4, first 2 shown]
	global_load_dword v93, v[34:35], off
	s_nop 0
	global_load_dword v64, v[64:65], off
	v_add_u32_e32 v34, s86, v82
	v_lshl_add_u64 v[60:61], v[60:61], 2, v[2:3]
	v_lshl_add_u64 v[52:53], v[52:53], 2, v[2:3]
	;; [unrolled: 1-line block ×4, first 2 shown]
	v_ashrrev_i32_e32 v63, 31, v62
	v_ashrrev_i32_e32 v21, 31, v20
	;; [unrolled: 1-line block ×4, first 2 shown]
	global_load_dword v65, v[60:61], off
	global_load_dword v94, v[52:53], off
	v_add_u32_e32 v52, s87, v82
	global_load_dword v95, v[48:49], off
	global_load_dword v96, v[58:59], off
	v_lshl_add_u64 v[58:59], v[62:63], 2, v[2:3]
	v_lshl_add_u64 v[20:21], v[20:21], 2, v[2:3]
	v_lshl_add_u64 v[16:17], v[16:17], 2, v[2:3]
	v_lshl_add_u64 v[12:13], v[12:13], 2, v[2:3]
	v_ashrrev_i32_e32 v35, 31, v34
	v_add_u32_e32 v48, s88, v82
	global_load_dword v97, v[58:59], off
	global_load_dword v98, v[20:21], off
	v_add_u32_e32 v20, s89, v82
	global_load_dword v99, v[16:17], off
	global_load_dword v100, v[12:13], off
	v_add_u32_e32 v12, s90, v82
	v_ashrrev_i32_e32 v53, 31, v52
	v_lshl_add_u64 v[16:17], v[34:35], 2, v[2:3]
	v_lshl_add_u64 v[34:35], v[52:53], 2, v[2:3]
	global_load_dword v52, v[16:17], off
	global_load_dword v53, v[34:35], off
	v_add_u32_e32 v16, s16, v82
	v_ashrrev_i32_e32 v49, 31, v48
	v_ashrrev_i32_e32 v21, 31, v20
	;; [unrolled: 1-line block ×3, first 2 shown]
	v_lshl_add_u64 v[34:35], v[48:49], 2, v[2:3]
	v_lshl_add_u64 v[20:21], v[20:21], 2, v[2:3]
	v_ashrrev_i32_e32 v17, 31, v16
	v_lshl_add_u64 v[12:13], v[12:13], 2, v[2:3]
	global_load_dword v101, v[34:35], off
	global_load_dword v102, v[20:21], off
	v_add_u32_e32 v20, s14, v82
	v_lshl_add_u64 v[16:17], v[16:17], 2, v[2:3]
	global_load_dword v103, v[12:13], off
	global_load_dword v104, v[16:17], off
	v_add_u32_e32 v12, s19, v82
	v_ashrrev_i32_e32 v21, 31, v20
	v_ashrrev_i32_e32 v13, 31, v12
	v_lshl_add_u64 v[16:17], v[20:21], 2, s[0:1]
	v_lshl_add_u64 v[12:13], v[12:13], 2, s[0:1]
	global_load_dword v105, v[16:17], off
	global_load_dword v106, v[12:13], off
	v_add_u32_e32 v12, s33, v82
	v_ashrrev_i32_e32 v13, 31, v12
	v_lshl_add_u64 v[12:13], v[12:13], 2, s[0:1]
	global_load_dword v107, v[12:13], off
	v_add_u32_e32 v12, s34, v82
	v_ashrrev_i32_e32 v13, 31, v12
	v_lshl_add_u64 v[12:13], v[12:13], 2, s[0:1]
	;; [unrolled: 4-line block ×9, first 2 shown]
	global_load_dword v115, v[12:13], off
	s_waitcnt vmcnt(62)
	ds_write_b32 v83, v87
	ds_write_b32 v83, v88 offset:264
	ds_write_b32 v83, v56 offset:528
	;; [unrolled: 1-line block ×12, first 2 shown]
	s_waitcnt vmcnt(61)
	ds_write_b32 v83, v31 offset:3432
	s_waitcnt vmcnt(60)
	ds_write_b32 v83, v24 offset:3696
	s_waitcnt vmcnt(59)
	ds_write_b32 v83, v25 offset:3960
	ds_read_b64 v[66:67], v84
	ds_read_b64 v[54:55], v84 offset:32
	ds_read_b64 v[48:49], v84 offset:64
	ds_read_b64 v[34:35], v84 offset:96
	ds_read_b64 v[30:31], v84 offset:128
	ds_read_b64 v[20:21], v84 offset:160
	ds_read_b64 v[16:17], v84 offset:192
	ds_read_b64 v[12:13], v84 offset:224
	s_waitcnt vmcnt(58)
	ds_write_b32 v83, v26
	s_waitcnt vmcnt(57)
	ds_write_b32 v83, v27 offset:264
	s_waitcnt vmcnt(56)
	ds_write_b32 v83, v28 offset:528
	s_waitcnt vmcnt(55)
	ds_write_b32 v83, v29 offset:792
	s_waitcnt vmcnt(54)
	ds_write_b32 v83, v22 offset:1056
	s_waitcnt vmcnt(53)
	ds_write_b32 v83, v23 offset:1320
	s_waitcnt vmcnt(52)
	ds_write_b32 v83, v14 offset:1584
	s_waitcnt vmcnt(51)
	ds_write_b32 v83, v15 offset:1848
	s_waitcnt vmcnt(50)
	ds_write_b32 v83, v18 offset:2112
	s_waitcnt vmcnt(49)
	ds_write_b32 v83, v19 offset:2376
	s_waitcnt vmcnt(48)
	ds_write_b32 v83, v32 offset:2640
	s_waitcnt vmcnt(47)
	ds_write_b32 v83, v33 offset:2904
	s_waitcnt vmcnt(46)
	ds_write_b32 v83, v38 offset:3168
	s_waitcnt vmcnt(45)
	ds_write_b32 v83, v39 offset:3432
	s_waitcnt vmcnt(44)
	ds_write_b32 v83, v42 offset:3696
	s_waitcnt vmcnt(43)
	ds_write_b32 v83, v43 offset:3960
	ds_read_b64 v[70:71], v84
	ds_read_b64 v[58:59], v84 offset:32
	ds_read_b64 v[56:57], v84 offset:64
	ds_read_b64 v[42:43], v84 offset:96
	ds_read_b64 v[38:39], v84 offset:128
	ds_read_b64 v[26:27], v84 offset:160
	ds_read_b64 v[24:25], v84 offset:192
	ds_read_b64 v[14:15], v84 offset:224
	s_waitcnt vmcnt(42)
	ds_write_b32 v83, v46
	s_waitcnt vmcnt(41)
	ds_write_b32 v83, v47 offset:264
	s_waitcnt vmcnt(40)
	ds_write_b32 v83, v50 offset:528
	s_waitcnt vmcnt(39)
	ds_write_b32 v83, v51 offset:792
	s_waitcnt vmcnt(38)
	ds_write_b32 v83, v72 offset:1056
	s_waitcnt vmcnt(37)
	ds_write_b32 v83, v73 offset:1320
	s_waitcnt vmcnt(36)
	ds_write_b32 v83, v74 offset:1584
	s_waitcnt vmcnt(35)
	ds_write_b32 v83, v75 offset:1848
	s_waitcnt vmcnt(34)
	ds_write_b32 v83, v76 offset:2112
	s_waitcnt vmcnt(33)
	ds_write_b32 v83, v77 offset:2376
	s_waitcnt vmcnt(32)
	ds_write_b32 v83, v89 offset:2640
	s_waitcnt vmcnt(31)
	ds_write_b32 v83, v90 offset:2904
	s_waitcnt vmcnt(30)
	ds_write_b32 v83, v91 offset:3168
	;; [unrolled: 40-line block ×3, first 2 shown]
	s_waitcnt vmcnt(13)
	ds_write_b32 v83, v102 offset:3432
	s_waitcnt vmcnt(12)
	ds_write_b32 v83, v103 offset:3696
	;; [unrolled: 2-line block ×3, first 2 shown]
	ds_read_b64 v[74:75], v84
	ds_read_b64 v[68:69], v84 offset:32
	ds_read_b64 v[64:65], v84 offset:64
	;; [unrolled: 1-line block ×7, first 2 shown]
	ds_write_b32 v83, v85
	ds_write_b32 v83, v86 offset:264
	s_waitcnt vmcnt(10)
	ds_write_b32 v83, v105 offset:528
	s_waitcnt vmcnt(9)
	;; [unrolled: 2-line block ×11, first 2 shown]
	ds_write_b32 v83, v115 offset:3168
	ds_write_b32 v83, v1 offset:3432
	;; [unrolled: 1-line block ×4, first 2 shown]
	ds_read_b64 v[76:77], v84
	s_waitcnt lgkmcnt(0)
	v_mfma_f32_16x16x4_f32 a[12:15], v66, v76, a[12:15]
	v_add_u32_e32 v82, 0xc0, v82
	v_cmp_le_i32_e32 vcc, s5, v82
	v_lshl_add_u64 v[8:9], v[8:9], 0, s[12:13]
	v_lshl_add_u64 v[10:11], v[10:11], 0, s[12:13]
	;; [unrolled: 1-line block ×3, first 2 shown]
	s_or_b64 s[8:9], vcc, s[8:9]
	v_lshl_add_u64 v[6:7], v[6:7], 0, s[12:13]
	v_mfma_f32_16x16x4_f32 a[8:11], v70, v76, a[8:11]
	v_mfma_f32_16x16x4_f32 a[4:7], v72, v76, a[4:7]
	v_mfma_f32_16x16x4_f32 a[0:3], v74, v76, a[0:3]
	v_mfma_f32_16x16x4_f32 a[12:15], v67, v77, a[12:15]
	ds_read_b64 v[66:67], v84 offset:32
	v_mfma_f32_16x16x4_f32 a[8:11], v71, v77, a[8:11]
	v_mfma_f32_16x16x4_f32 a[4:7], v73, v77, a[4:7]
	v_mfma_f32_16x16x4_f32 a[0:3], v75, v77, a[0:3]
	s_waitcnt lgkmcnt(0)
	v_mfma_f32_16x16x4_f32 a[12:15], v54, v66, a[12:15]
	v_mfma_f32_16x16x4_f32 a[8:11], v58, v66, a[8:11]
	v_mfma_f32_16x16x4_f32 a[4:7], v62, v66, a[4:7]
	v_mfma_f32_16x16x4_f32 a[0:3], v68, v66, a[0:3]
	v_mfma_f32_16x16x4_f32 a[12:15], v55, v67, a[12:15]
	ds_read_b64 v[54:55], v84 offset:64
	v_mfma_f32_16x16x4_f32 a[8:11], v59, v67, a[8:11]
	v_mfma_f32_16x16x4_f32 a[4:7], v63, v67, a[4:7]
	v_mfma_f32_16x16x4_f32 a[0:3], v69, v67, a[0:3]
	s_waitcnt lgkmcnt(0)
	v_mfma_f32_16x16x4_f32 a[12:15], v48, v54, a[12:15]
	;; [unrolled: 10-line block ×7, first 2 shown]
	v_mfma_f32_16x16x4_f32 a[8:11], v14, v16, a[8:11]
	v_mfma_f32_16x16x4_f32 a[4:7], v18, v16, a[4:7]
	;; [unrolled: 1-line block ×7, first 2 shown]
	s_andn2_b64 exec, exec, s[8:9]
	s_cbranch_execnz .LBB83_4
; %bb.5:
	s_or_b64 exec, exec, s[8:9]
.LBB83_6:
	s_or_b64 exec, exec, s[24:25]
	v_lshl_add_u32 v0, v80, 2, 0
	v_mul_u32_u24_e32 v1, 0x308, v81
	v_and_b32_e32 v2, 0x3f0, v79
	v_add3_u32 v0, v0, v1, v2
	v_accvgpr_read_b32 v1, a13
	v_accvgpr_read_b32 v2, a12
	s_waitcnt lgkmcnt(0)
	s_barrier
	ds_write2_b32 v0, v2, v1 offset1:1
	v_accvgpr_read_b32 v1, a15
	v_accvgpr_read_b32 v2, a14
	ds_write2_b32 v0, v2, v1 offset0:2 offset1:3
	v_accvgpr_read_b32 v1, a9
	v_accvgpr_read_b32 v2, a8
	s_mul_hi_i32 s1, s15, s4
	s_mul_i32 s0, s15, s4
	ds_write2_b32 v0, v2, v1 offset0:16 offset1:17
	v_accvgpr_read_b32 v1, a11
	v_accvgpr_read_b32 v2, a10
	s_lshl_b64 s[0:1], s[0:1], 2
	ds_write2_b32 v0, v2, v1 offset0:18 offset1:19
	v_accvgpr_read_b32 v1, a5
	v_accvgpr_read_b32 v2, a4
	s_mul_i32 s4, s11, s3
	s_add_u32 s3, s6, s0
	ds_write2_b32 v0, v2, v1 offset0:32 offset1:33
	v_accvgpr_read_b32 v1, a7
	v_accvgpr_read_b32 v2, a6
	s_addc_u32 s6, s7, s1
	s_ashr_i32 s5, s4, 31
	ds_write2_b32 v0, v2, v1 offset0:34 offset1:35
	v_accvgpr_read_b32 v1, a1
	v_accvgpr_read_b32 v2, a0
	s_lshl_b64 s[0:1], s[4:5], 2
	ds_write2_b32 v0, v2, v1 offset0:48 offset1:49
	v_accvgpr_read_b32 v1, a3
	v_accvgpr_read_b32 v2, a2
	s_add_u32 s0, s3, s0
	s_movk_i32 s3, 0x308
	ds_write2_b32 v0, v2, v1 offset0:50 offset1:51
	v_lshl_add_u32 v1, v79, 2, 0
	v_mad_u32_u24 v8, v78, s3, v1
	s_waitcnt lgkmcnt(0)
	s_barrier
	ds_read2st64_b32 v[2:3], v8 offset1:1
	ds_read_b32 v4, v8 offset:512
	ds_read_b32 v9, v8 offset:2840
	;; [unrolled: 1-line block ×4, first 2 shown]
	s_waitcnt lgkmcnt(4)
	v_add_f32_e32 v2, 0, v2
	v_add_f32_e32 v2, v2, v3
	s_waitcnt lgkmcnt(3)
	v_add_f32_e32 v12, v2, v4
	v_add_u32_e32 v2, 24, v8
	ds_read2st64_b32 v[4:5], v2 offset0:9 offset1:10
	v_add_u32_e32 v0, s2, v79
	v_mad_u64_u32 v[2:3], s[2:3], v78, s18, v[0:1]
	s_addc_u32 s1, s6, s1
	s_waitcnt lgkmcnt(0)
	v_add_f32_e32 v4, 0, v4
	v_add_f32_e32 v4, v4, v5
	;; [unrolled: 1-line block ×3, first 2 shown]
	v_add_u32_e32 v4, 48, v8
	ds_read2st64_b32 v[4:5], v4 offset0:18 offset1:19
	v_mov_b32_e32 v3, 0
	s_mul_i32 s2, s18, 3
	v_lshl_add_u64 v[6:7], v[2:3], 2, s[0:1]
	v_add_u32_e32 v2, s2, v2
	global_store_dword v[6:7], v12, off
	v_lshl_add_u64 v[6:7], v[2:3], 2, s[0:1]
	s_waitcnt lgkmcnt(0)
	v_add_f32_e32 v4, 0, v4
	global_store_dword v[6:7], v9, off
	v_add_f32_e32 v6, v4, v5
	v_add_u32_e32 v4, 0x48, v8
	ds_read2st64_b32 v[4:5], v4 offset0:27 offset1:28
	v_add_u32_e32 v2, s2, v2
	v_add_f32_e32 v8, v6, v10
	v_lshl_add_u64 v[6:7], v[2:3], 2, s[0:1]
	v_add_u32_e32 v2, s2, v2
	s_waitcnt lgkmcnt(0)
	v_add_f32_e32 v4, 0, v4
	v_add_f32_e32 v4, v4, v5
	global_store_dword v[6:7], v8, off
	v_add_f32_e32 v6, v4, v11
	v_lshl_add_u64 v[4:5], v[2:3], 2, s[0:1]
	v_cmp_eq_u32_e32 vcc, 0, v78
	global_store_dword v[4:5], v6, off
	s_and_saveexec_b64 s[2:3], vcc
	s_cbranch_execz .LBB83_8
; %bb.7:
	v_add_u32_e32 v2, 0x60, v1
	ds_read2st64_b32 v[4:5], v2 offset0:36 offset1:37
	ds_read_b32 v2, v1 offset:9824
	v_mad_u64_u32 v[0:1], s[2:3], s18, 12, v[0:1]
	v_mov_b32_e32 v1, v3
	s_waitcnt lgkmcnt(1)
	v_add_f32_e32 v3, 0, v4
	v_add_f32_e32 v3, v3, v5
	s_waitcnt lgkmcnt(0)
	v_add_f32_e32 v2, v3, v2
	v_lshl_add_u64 v[0:1], v[0:1], 2, s[0:1]
	global_store_dword v[0:1], v2, off
.LBB83_8:
	s_endpgm
	.section	.rodata,"a",@progbits
	.p2align	6, 0x0
	.amdhsa_kernel _ZL9mul_mat_fIfLi64ELi13ELi3ELb0EEvPKT_PKfPKiPfiiiiiiiiiiiiiiii
		.amdhsa_group_segment_fixed_size 0
		.amdhsa_private_segment_fixed_size 0
		.amdhsa_kernarg_size 96
		.amdhsa_user_sgpr_count 2
		.amdhsa_user_sgpr_dispatch_ptr 0
		.amdhsa_user_sgpr_queue_ptr 0
		.amdhsa_user_sgpr_kernarg_segment_ptr 1
		.amdhsa_user_sgpr_dispatch_id 0
		.amdhsa_user_sgpr_kernarg_preload_length 0
		.amdhsa_user_sgpr_kernarg_preload_offset 0
		.amdhsa_user_sgpr_private_segment_size 0
		.amdhsa_uses_dynamic_stack 0
		.amdhsa_enable_private_segment 0
		.amdhsa_system_sgpr_workgroup_id_x 1
		.amdhsa_system_sgpr_workgroup_id_y 1
		.amdhsa_system_sgpr_workgroup_id_z 1
		.amdhsa_system_sgpr_workgroup_info 0
		.amdhsa_system_vgpr_workitem_id 1
		.amdhsa_next_free_vgpr 132
		.amdhsa_next_free_sgpr 91
		.amdhsa_accum_offset 116
		.amdhsa_reserve_vcc 1
		.amdhsa_float_round_mode_32 0
		.amdhsa_float_round_mode_16_64 0
		.amdhsa_float_denorm_mode_32 3
		.amdhsa_float_denorm_mode_16_64 3
		.amdhsa_dx10_clamp 1
		.amdhsa_ieee_mode 1
		.amdhsa_fp16_overflow 0
		.amdhsa_tg_split 0
		.amdhsa_exception_fp_ieee_invalid_op 0
		.amdhsa_exception_fp_denorm_src 0
		.amdhsa_exception_fp_ieee_div_zero 0
		.amdhsa_exception_fp_ieee_overflow 0
		.amdhsa_exception_fp_ieee_underflow 0
		.amdhsa_exception_fp_ieee_inexact 0
		.amdhsa_exception_int_div_zero 0
	.end_amdhsa_kernel
	.section	.text._ZL9mul_mat_fIfLi64ELi13ELi3ELb0EEvPKT_PKfPKiPfiiiiiiiiiiiiiiii,"axG",@progbits,_ZL9mul_mat_fIfLi64ELi13ELi3ELb0EEvPKT_PKfPKiPfiiiiiiiiiiiiiiii,comdat
.Lfunc_end83:
	.size	_ZL9mul_mat_fIfLi64ELi13ELi3ELb0EEvPKT_PKfPKiPfiiiiiiiiiiiiiiii, .Lfunc_end83-_ZL9mul_mat_fIfLi64ELi13ELi3ELb0EEvPKT_PKfPKiPfiiiiiiiiiiiiiiii
                                        ; -- End function
	.set _ZL9mul_mat_fIfLi64ELi13ELi3ELb0EEvPKT_PKfPKiPfiiiiiiiiiiiiiiii.num_vgpr, 116
	.set _ZL9mul_mat_fIfLi64ELi13ELi3ELb0EEvPKT_PKfPKiPfiiiiiiiiiiiiiiii.num_agpr, 16
	.set _ZL9mul_mat_fIfLi64ELi13ELi3ELb0EEvPKT_PKfPKiPfiiiiiiiiiiiiiiii.numbered_sgpr, 91
	.set _ZL9mul_mat_fIfLi64ELi13ELi3ELb0EEvPKT_PKfPKiPfiiiiiiiiiiiiiiii.num_named_barrier, 0
	.set _ZL9mul_mat_fIfLi64ELi13ELi3ELb0EEvPKT_PKfPKiPfiiiiiiiiiiiiiiii.private_seg_size, 0
	.set _ZL9mul_mat_fIfLi64ELi13ELi3ELb0EEvPKT_PKfPKiPfiiiiiiiiiiiiiiii.uses_vcc, 1
	.set _ZL9mul_mat_fIfLi64ELi13ELi3ELb0EEvPKT_PKfPKiPfiiiiiiiiiiiiiiii.uses_flat_scratch, 0
	.set _ZL9mul_mat_fIfLi64ELi13ELi3ELb0EEvPKT_PKfPKiPfiiiiiiiiiiiiiiii.has_dyn_sized_stack, 0
	.set _ZL9mul_mat_fIfLi64ELi13ELi3ELb0EEvPKT_PKfPKiPfiiiiiiiiiiiiiiii.has_recursion, 0
	.set _ZL9mul_mat_fIfLi64ELi13ELi3ELb0EEvPKT_PKfPKiPfiiiiiiiiiiiiiiii.has_indirect_call, 0
	.section	.AMDGPU.csdata,"",@progbits
; Kernel info:
; codeLenInByte = 5540
; TotalNumSgprs: 97
; NumVgprs: 116
; NumAgprs: 16
; TotalNumVgprs: 132
; ScratchSize: 0
; MemoryBound: 0
; FloatMode: 240
; IeeeMode: 1
; LDSByteSize: 0 bytes/workgroup (compile time only)
; SGPRBlocks: 12
; VGPRBlocks: 16
; NumSGPRsForWavesPerEU: 97
; NumVGPRsForWavesPerEU: 132
; AccumOffset: 116
; Occupancy: 3
; WaveLimiterHint : 0
; COMPUTE_PGM_RSRC2:SCRATCH_EN: 0
; COMPUTE_PGM_RSRC2:USER_SGPR: 2
; COMPUTE_PGM_RSRC2:TRAP_HANDLER: 0
; COMPUTE_PGM_RSRC2:TGID_X_EN: 1
; COMPUTE_PGM_RSRC2:TGID_Y_EN: 1
; COMPUTE_PGM_RSRC2:TGID_Z_EN: 1
; COMPUTE_PGM_RSRC2:TIDIG_COMP_CNT: 1
; COMPUTE_PGM_RSRC3_GFX90A:ACCUM_OFFSET: 28
; COMPUTE_PGM_RSRC3_GFX90A:TG_SPLIT: 0
	.section	.text._ZL13mul_mat_f_idsIfLi64ELi13ELi4EEvPKT_PKfPKiS6_S6_Pfiiiiiiiiiiiiii15HIP_vector_typeIjLj3EES9_,"axG",@progbits,_ZL13mul_mat_f_idsIfLi64ELi13ELi4EEvPKT_PKfPKiS6_S6_Pfiiiiiiiiiiiiii15HIP_vector_typeIjLj3EES9_,comdat
	.globl	_ZL13mul_mat_f_idsIfLi64ELi13ELi4EEvPKT_PKfPKiS6_S6_Pfiiiiiiiiiiiiii15HIP_vector_typeIjLj3EES9_ ; -- Begin function _ZL13mul_mat_f_idsIfLi64ELi13ELi4EEvPKT_PKfPKiS6_S6_Pfiiiiiiiiiiiiii15HIP_vector_typeIjLj3EES9_
	.p2align	8
	.type	_ZL13mul_mat_f_idsIfLi64ELi13ELi4EEvPKT_PKfPKiS6_S6_Pfiiiiiiiiiiiiii15HIP_vector_typeIjLj3EES9_,@function
_ZL13mul_mat_f_idsIfLi64ELi13ELi4EEvPKT_PKfPKiS6_S6_Pfiiiiiiiiiiiiii15HIP_vector_typeIjLj3EES9_: ; @_ZL13mul_mat_f_idsIfLi64ELi13ELi4EEvPKT_PKfPKiS6_S6_Pfiiiiiiiiiiiiii15HIP_vector_typeIjLj3EES9_
; %bb.0:
	s_load_dwordx2 s[6:7], s[0:1], 0x20
	s_mov_b32 s34, s3
	s_ashr_i32 s35, s3, 31
	s_lshl_b64 s[8:9], s[34:35], 2
	s_waitcnt lgkmcnt(0)
	s_add_u32 s6, s6, s8
	s_addc_u32 s7, s7, s9
	s_load_dwordx2 s[30:31], s[6:7], 0x0
	s_waitcnt lgkmcnt(0)
	s_sub_i32 s26, s31, s30
	s_add_i32 s3, s26, 12
	s_mul_hi_i32 s3, s3, 0x4ec4ec4f
	s_lshr_b32 s5, s3, 31
	s_ashr_i32 s3, s3, 2
	s_add_i32 s3, s3, s5
	s_cmp_ge_i32 s4, s3
	s_cbranch_scc1 .LBB84_59
; %bb.1:
	v_bfe_u32 v2, v0, 10, 10
	v_lshlrev_b32_e32 v70, 6, v2
	v_and_b32_e32 v3, 0x3ff, v0
	s_load_dwordx4 s[12:15], s[0:1], 0x30
	s_load_dwordx2 s[20:21], s[0:1], 0x40
	s_load_dwordx4 s[8:11], s[0:1], 0x4c
	s_load_dwordx4 s[16:19], s[0:1], 0x68
	s_load_dwordx2 s[24:25], s[0:1], 0x78
	v_add_u32_e32 v72, v70, v3
	s_ashr_i32 s31, s30, 31
	s_waitcnt lgkmcnt(0)
	v_cmp_le_i32_e32 vcc, s12, v72
	v_and_b32_e32 v71, 15, v3
	s_and_saveexec_b64 s[6:7], vcc
	s_xor_b64 s[6:7], exec, s[6:7]
; %bb.2:
	v_and_b32_e32 v71, 15, v3
                                        ; implicit-def: $vgpr72
; %bb.3:
	s_or_saveexec_b64 s[36:37], s[6:7]
	s_load_dwordx2 s[22:23], s[0:1], 0x18
	s_load_dwordx2 s[6:7], s[0:1], 0x28
                                        ; implicit-def: $vgpr90 : SGPR spill to VGPR lane
	s_lshl_b32 s11, s2, 6
	s_mul_i32 s28, s4, 13
	v_mov_b32_e32 v1, 0
	v_accvgpr_write_b32 a0, 0
	s_waitcnt lgkmcnt(0)
	v_writelane_b32 v90, s6, 0
	v_accvgpr_write_b32 a1, 0
	v_accvgpr_write_b32 a2, 0
	v_accvgpr_write_b32 a3, 0
	v_accvgpr_write_b32 a4, 0
	v_accvgpr_write_b32 a5, 0
	v_accvgpr_write_b32 a6, 0
	v_accvgpr_write_b32 a7, 0
	v_accvgpr_write_b32 a8, 0
	v_accvgpr_write_b32 a9, 0
	v_accvgpr_write_b32 a10, 0
	v_accvgpr_write_b32 a11, 0
	v_accvgpr_write_b32 a12, 0
	v_accvgpr_write_b32 a13, 0
	v_accvgpr_write_b32 a14, 0
	v_accvgpr_write_b32 a15, 0
	v_writelane_b32 v90, s7, 1
	s_xor_b64 exec, exec, s[36:37]
	s_cbranch_execz .LBB84_46
; %bb.4:
	s_load_dwordx4 s[4:7], s[0:1], 0x0
	s_load_dwordx2 s[2:3], s[0:1], 0x10
	v_writelane_b32 v90, s36, 2
	s_mul_i32 s0, s8, s34
	s_ashr_i32 s1, s0, 31
	v_writelane_b32 v90, s37, 3
	v_writelane_b32 v90, s22, 4
	s_lshl_b64 s[64:65], s[0:1], 2
	s_waitcnt lgkmcnt(0)
	s_add_u32 s0, s4, s64
	v_writelane_b32 v90, s23, 5
	s_mul_i32 s22, s15, s11
	v_writelane_b32 v90, s24, 6
	s_addc_u32 s1, s5, s65
	s_ashr_i32 s23, s22, 31
	v_writelane_b32 v90, s25, 7
	s_lshl_b64 s[66:67], s[22:23], 2
	v_writelane_b32 v90, s11, 8
	s_add_u32 s0, s0, s66
	s_addc_u32 s1, s1, s67
	v_writelane_b32 v90, s30, 9
	s_lshl_b64 s[22:23], s[30:31], 2
	s_add_u32 s8, s2, s22
	s_addc_u32 s11, s3, s23
	s_movk_i32 s2, 0x1080
	s_cmp_lt_i32 s28, s26
	v_writelane_b32 v90, s31, 10
	v_mad_u32_u24 v0, v2, s2, 0
	s_cselect_b64 s[2:3], -1, 0
	v_writelane_b32 v90, s2, 11
	s_ashr_i32 s29, s28, 31
	s_mov_b32 s22, s15
	v_writelane_b32 v90, s3, 12
	s_lshl_b64 s[2:3], s[28:29], 2
	s_add_u32 s36, s8, s2
	s_addc_u32 s37, s11, s3
	s_add_i32 s2, s28, 1
	s_cmp_lt_i32 s2, s26
	s_cselect_b64 s[2:3], -1, 0
	v_writelane_b32 v90, s2, 13
	v_lshrrev_b32_e32 v6, 1, v3
	v_lshlrev_b32_e32 v4, 2, v3
	v_writelane_b32 v90, s3, 14
	s_add_i32 s2, s28, 2
	s_cmp_lt_i32 s2, s26
	s_cselect_b64 s[2:3], -1, 0
	v_writelane_b32 v90, s2, 15
	v_mul_u32_u24_e32 v5, 0x108, v71
	v_and_b32_e32 v6, 0x1f8, v6
	v_writelane_b32 v90, s3, 16
	s_add_i32 s2, s28, 3
	s_cmp_lt_i32 s2, s26
	s_cselect_b64 s[2:3], -1, 0
	v_writelane_b32 v90, s2, 17
	v_add_u32_e32 v73, v0, v4
	v_add3_u32 v74, v0, v5, v6
	v_writelane_b32 v90, s3, 18
	s_add_i32 s2, s28, 4
	s_cmp_lt_i32 s2, s26
	s_cselect_b64 s[2:3], -1, 0
	v_writelane_b32 v90, s2, 19
	v_lshlrev_b32_e32 v0, 8, v2
	v_mov_b32_e32 v5, v1
	v_writelane_b32 v90, s3, 20
	s_add_i32 s2, s28, 5
	s_cmp_lt_i32 s2, s26
	s_cselect_b64 s[2:3], -1, 0
	v_writelane_b32 v90, s2, 21
	s_mul_i32 s8, s15, 3
	s_mul_i32 s69, s15, 5
	v_writelane_b32 v90, s3, 22
	s_add_i32 s2, s28, 6
	s_cmp_lt_i32 s2, s26
	s_cselect_b64 s[48:49], -1, 0
	s_add_i32 s2, s28, 7
	s_cmp_lt_i32 s2, s26
	s_cselect_b64 s[50:51], -1, 0
	;; [unrolled: 3-line block ×5, first 2 shown]
	s_add_i32 s2, s28, 11
	s_cmp_lt_i32 s2, s26
	s_mov_b32 s2, s28
	v_writelane_b32 v90, s2, 23
	s_cselect_b64 s[58:59], -1, 0
	s_mul_i32 s70, s15, 6
	v_writelane_b32 v90, s3, 24
	s_add_i32 s2, s28, 12
	s_cmp_lt_i32 s2, s26
	s_cselect_b64 s[60:61], -1, 0
	s_ashr_i32 s23, s15, 31
	s_add_i32 s3, s15, s15
	s_lshl_b32 s68, s15, 2
	s_lshl_b32 s72, s15, 3
	;; [unrolled: 1-line block ×4, first 2 shown]
	s_lshl_b64 s[62:63], s[22:23], 2
	s_add_u32 s22, s64, s66
	s_addc_u32 s23, s65, s67
	v_lshl_add_u64 v[6:7], s[22:23], 0, v[0:1]
	v_lshl_add_u64 v[4:5], v[6:7], 0, v[4:5]
	v_writelane_b32 v90, s26, 25
	s_mul_i32 s71, s15, 7
	s_mul_i32 s73, s15, 9
	s_mul_i32 s74, s15, 10
	s_mul_i32 s75, s15, 11
	s_mul_i32 s76, s15, 12
	s_mul_i32 s77, s15, 13
	s_mul_i32 s78, s15, 14
	s_mul_i32 s79, s15, 15
	s_mul_i32 s81, s15, 17
	s_mul_i32 s82, s15, 18
	s_mul_i32 s83, s15, 19
	s_mul_i32 s84, s15, 20
	s_mul_i32 s64, s15, 21
	s_mul_i32 s65, s15, 22
	s_mul_i32 s66, s15, 23
	s_mul_i32 s67, s15, 24
	s_mul_i32 s86, s15, 25
	s_mul_i32 s87, s15, 26
	s_mul_i32 s88, s15, 27
	s_mul_i32 s89, s15, 28
	v_accvgpr_write_b32 a15, 0
	v_accvgpr_write_b32 a14, 0
	;; [unrolled: 1-line block ×16, first 2 shown]
	v_lshl_add_u64 v[4:5], s[4:5], 0, v[4:5]
	s_mul_i32 s90, s15, 29
	s_mul_i32 s91, s15, 30
	;; [unrolled: 1-line block ×34, first 2 shown]
	s_mov_b64 s[4:5], 0
	s_branch .LBB84_6
.LBB84_5:                               ;   in Loop: Header=BB84_6 Depth=1
	s_waitcnt vmcnt(0)
	ds_write2_b32 v73, v0, v76 offset1:66
	ds_write2_b32 v73, v75, v78 offset0:132 offset1:198
	v_add_u32_e32 v0, 0x400, v73
	ds_write2_b32 v0, v77, v80 offset0:8 offset1:74
	ds_write2_b32 v0, v79, v82 offset0:140 offset1:206
	v_add_u32_e32 v0, 0x800, v73
	ds_write2_b32 v0, v81, v84 offset0:16 offset1:82
	;; [unrolled: 3-line block ×3, first 2 shown]
	ds_write2_b32 v0, v1, v1 offset0:156 offset1:222
	ds_read2_b64 v[76:79], v74 offset1:4
	v_add_u32_e32 v72, 0x100, v72
	s_waitcnt lgkmcnt(0)
	v_mfma_f32_16x16x4_f32 a[12:15], v12, v76, a[12:15]
	s_mov_b64 vcc, 0x400
	v_lshl_add_u64 v[4:5], v[4:5], 0, vcc
	v_cmp_le_i32_e32 vcc, s12, v72
	s_or_b64 s[4:5], vcc, s[4:5]
	v_mfma_f32_16x16x4_f32 a[8:11], v46, v76, a[8:11]
	v_mfma_f32_16x16x4_f32 a[4:7], v56, v76, a[4:7]
	;; [unrolled: 1-line block ×12, first 2 shown]
	ds_read2_b64 v[10:13], v74 offset0:8 offset1:12
	v_mfma_f32_16x16x4_f32 a[8:11], v43, v79, a[8:11]
	v_mfma_f32_16x16x4_f32 a[4:7], v53, v79, a[4:7]
	v_mfma_f32_16x16x4_f32 a[0:3], v67, v79, a[0:3]
	s_waitcnt lgkmcnt(0)
	v_mfma_f32_16x16x4_f32 a[12:15], v8, v10, a[12:15]
	v_mfma_f32_16x16x4_f32 a[8:11], v38, v10, a[8:11]
	;; [unrolled: 1-line block ×13, first 2 shown]
	ds_read2_b64 v[6:9], v74 offset0:16 offset1:20
	v_mfma_f32_16x16x4_f32 a[8:11], v35, v13, a[8:11]
	v_mfma_f32_16x16x4_f32 a[4:7], v45, v13, a[4:7]
	;; [unrolled: 1-line block ×3, first 2 shown]
	s_waitcnt lgkmcnt(0)
	v_mfma_f32_16x16x4_f32 a[12:15], v22, v6, a[12:15]
	v_mfma_f32_16x16x4_f32 a[8:11], v30, v6, a[8:11]
	;; [unrolled: 1-line block ×16, first 2 shown]
	ds_read2_b64 v[6:9], v74 offset0:24 offset1:28
	s_waitcnt lgkmcnt(0)
	v_mfma_f32_16x16x4_f32 a[12:15], v16, v6, a[12:15]
	v_mfma_f32_16x16x4_f32 a[8:11], v24, v6, a[8:11]
	;; [unrolled: 1-line block ×16, first 2 shown]
	s_andn2_b64 exec, exec, s[4:5]
	s_cbranch_execz .LBB84_45
.LBB84_6:                               ; =>This Inner Loop Header: Depth=1
	v_lshl_add_u64 v[6:7], v[4:5], 0, s[62:63]
	global_load_dword v0, v[4:5], off
	global_load_dword v22, v[6:7], off
	v_add_u32_e32 v6, s3, v72
	v_add_u32_e32 v10, s68, v72
	;; [unrolled: 1-line block ×4, first 2 shown]
	v_ashrrev_i32_e32 v7, 31, v6
	v_add_u32_e32 v8, s8, v72
	v_ashrrev_i32_e32 v11, 31, v10
	v_ashrrev_i32_e32 v13, 31, v12
	v_add_u32_e32 v14, s70, v72
	v_add_u32_e32 v16, s71, v72
	v_ashrrev_i32_e32 v19, 31, v18
	v_add_u32_e32 v20, s73, v72
	v_lshl_add_u64 v[6:7], v[6:7], 2, s[0:1]
	v_ashrrev_i32_e32 v9, 31, v8
	v_lshl_add_u64 v[10:11], v[10:11], 2, s[0:1]
	v_lshl_add_u64 v[12:13], v[12:13], 2, s[0:1]
	v_ashrrev_i32_e32 v15, 31, v14
	v_ashrrev_i32_e32 v17, 31, v16
	v_lshl_add_u64 v[18:19], v[18:19], 2, s[0:1]
	v_ashrrev_i32_e32 v21, 31, v20
	v_lshl_add_u64 v[8:9], v[8:9], 2, s[0:1]
	v_lshl_add_u64 v[14:15], v[14:15], 2, s[0:1]
	;; [unrolled: 1-line block ×4, first 2 shown]
	global_load_dword v23, v[6:7], off
	global_load_dword v24, v[8:9], off
	;; [unrolled: 1-line block ×6, first 2 shown]
	s_nop 0
	global_load_dword v18, v[18:19], off
	s_nop 0
	global_load_dword v19, v[20:21], off
	v_add_u32_e32 v6, s74, v72
	v_add_u32_e32 v10, s76, v72
	;; [unrolled: 1-line block ×3, first 2 shown]
	v_ashrrev_i32_e32 v7, 31, v6
	v_add_u32_e32 v8, s75, v72
	v_ashrrev_i32_e32 v11, 31, v10
	v_ashrrev_i32_e32 v13, 31, v12
	v_add_u32_e32 v14, s78, v72
	v_add_u32_e32 v16, s79, v72
	v_lshl_add_u64 v[6:7], v[6:7], 2, s[0:1]
	v_ashrrev_i32_e32 v9, 31, v8
	v_lshl_add_u64 v[10:11], v[10:11], 2, s[0:1]
	v_lshl_add_u64 v[12:13], v[12:13], 2, s[0:1]
	v_ashrrev_i32_e32 v15, 31, v14
	v_ashrrev_i32_e32 v17, 31, v16
	v_lshl_add_u64 v[8:9], v[8:9], 2, s[0:1]
	v_lshl_add_u64 v[14:15], v[14:15], 2, s[0:1]
	;; [unrolled: 1-line block ×3, first 2 shown]
	global_load_dword v20, v[6:7], off
	global_load_dword v21, v[8:9], off
	s_nop 0
	global_load_dword v10, v[10:11], off
	s_nop 0
	;; [unrolled: 2-line block ×3, first 2 shown]
	global_load_dword v12, v[14:15], off
	global_load_dword v13, v[16:17], off
	v_add_u32_e32 v6, s80, v72
	v_add_u32_e32 v8, s81, v72
	v_ashrrev_i32_e32 v7, 31, v6
	v_ashrrev_i32_e32 v9, 31, v8
	v_lshl_add_u64 v[6:7], v[6:7], 2, s[0:1]
	v_add_u32_e32 v14, s82, v72
	v_lshl_add_u64 v[8:9], v[8:9], 2, s[0:1]
	global_load_dword v30, v[6:7], off
	global_load_dword v31, v[8:9], off
	v_ashrrev_i32_e32 v15, 31, v14
	v_add_u32_e32 v16, s83, v72
	v_lshl_add_u64 v[14:15], v[14:15], 2, s[0:1]
	v_ashrrev_i32_e32 v17, 31, v16
	v_lshl_add_u64 v[16:17], v[16:17], 2, s[0:1]
	v_readlane_b32 s46, v90, 11
	v_readlane_b32 s47, v90, 12
	s_andn2_b64 vcc, exec, s[46:47]
	s_waitcnt vmcnt(17)
	ds_write_b32 v73, v0
	s_waitcnt vmcnt(16)
	ds_write_b32 v73, v22 offset:264
	s_waitcnt vmcnt(15)
	ds_write_b32 v73, v23 offset:528
	;; [unrolled: 2-line block ×15, first 2 shown]
	v_add_u32_e32 v18, s84, v72
	v_add_u32_e32 v20, s64, v72
	;; [unrolled: 1-line block ×6, first 2 shown]
	v_ashrrev_i32_e32 v19, 31, v18
	v_ashrrev_i32_e32 v21, 31, v20
	;; [unrolled: 1-line block ×6, first 2 shown]
	ds_read_b64 v[12:13], v74
	ds_read_b64 v[10:11], v74 offset:32
	ds_read_b64 v[8:9], v74 offset:64
	;; [unrolled: 1-line block ×3, first 2 shown]
	v_lshl_add_u64 v[18:19], v[18:19], 2, s[0:1]
	v_lshl_add_u64 v[20:21], v[20:21], 2, s[0:1]
	v_lshl_add_u64 v[22:23], v[22:23], 2, s[0:1]
	v_lshl_add_u64 v[24:25], v[24:25], 2, s[0:1]
	v_lshl_add_u64 v[26:27], v[26:27], 2, s[0:1]
	v_lshl_add_u64 v[28:29], v[28:29], 2, s[0:1]
	global_load_dword v0, v[14:15], off
	global_load_dword v32, v[16:17], off
	global_load_dword v33, v[18:19], off
	global_load_dword v34, v[20:21], off
	global_load_dword v35, v[22:23], off
	global_load_dword v36, v[24:25], off
	global_load_dword v37, v[26:27], off
	global_load_dword v38, v[28:29], off
	v_add_u32_e32 v14, s87, v72
	v_ashrrev_i32_e32 v15, 31, v14
	v_add_u32_e32 v16, s88, v72
	v_add_u32_e32 v18, s89, v72
	v_add_u32_e32 v20, s90, v72
	v_add_u32_e32 v22, s91, v72
	v_add_u32_e32 v24, s92, v72
	v_add_u32_e32 v26, s85, v72
	v_add_u32_e32 v28, s93, v72
	v_lshl_add_u64 v[14:15], v[14:15], 2, s[0:1]
	v_ashrrev_i32_e32 v17, 31, v16
	v_ashrrev_i32_e32 v19, 31, v18
	v_ashrrev_i32_e32 v21, 31, v20
	v_ashrrev_i32_e32 v23, 31, v22
	v_ashrrev_i32_e32 v25, 31, v24
	v_ashrrev_i32_e32 v27, 31, v26
	v_ashrrev_i32_e32 v29, 31, v28
	v_lshl_add_u64 v[16:17], v[16:17], 2, s[0:1]
	v_lshl_add_u64 v[18:19], v[18:19], 2, s[0:1]
	v_lshl_add_u64 v[20:21], v[20:21], 2, s[0:1]
	v_lshl_add_u64 v[22:23], v[22:23], 2, s[0:1]
	v_lshl_add_u64 v[24:25], v[24:25], 2, s[0:1]
	v_lshl_add_u64 v[26:27], v[26:27], 2, s[0:1]
	v_lshl_add_u64 v[28:29], v[28:29], 2, s[0:1]
	global_load_dword v39, v[14:15], off
	global_load_dword v40, v[16:17], off
	global_load_dword v41, v[18:19], off
	global_load_dword v42, v[20:21], off
	global_load_dword v43, v[22:23], off
	global_load_dword v44, v[24:25], off
	global_load_dword v45, v[26:27], off
	global_load_dword v48, v[28:29], off
	v_add_u32_e32 v14, s94, v72
	v_ashrrev_i32_e32 v15, 31, v14
	v_add_u32_e32 v16, s95, v72
	v_add_u32_e32 v18, s96, v72
	v_add_u32_e32 v20, s97, v72
	v_add_u32_e32 v22, s98, v72
	v_add_u32_e32 v24, s99, v72
	v_add_u32_e32 v26, s24, v72
	v_add_u32_e32 v28, s25, v72
	v_lshl_add_u64 v[14:15], v[14:15], 2, s[0:1]
	v_ashrrev_i32_e32 v17, 31, v16
	v_ashrrev_i32_e32 v19, 31, v18
	v_ashrrev_i32_e32 v21, 31, v20
	v_ashrrev_i32_e32 v23, 31, v22
	v_ashrrev_i32_e32 v25, 31, v24
	v_ashrrev_i32_e32 v27, 31, v26
	v_ashrrev_i32_e32 v29, 31, v28
	v_lshl_add_u64 v[16:17], v[16:17], 2, s[0:1]
	v_lshl_add_u64 v[18:19], v[18:19], 2, s[0:1]
	v_lshl_add_u64 v[20:21], v[20:21], 2, s[0:1]
	v_lshl_add_u64 v[22:23], v[22:23], 2, s[0:1]
	v_lshl_add_u64 v[24:25], v[24:25], 2, s[0:1]
	v_lshl_add_u64 v[26:27], v[26:27], 2, s[0:1]
	v_lshl_add_u64 v[28:29], v[28:29], 2, s[0:1]
	global_load_dword v49, v[14:15], off
	global_load_dword v50, v[16:17], off
	global_load_dword v51, v[18:19], off
	global_load_dword v52, v[20:21], off
	global_load_dword v53, v[22:23], off
	global_load_dword v54, v[24:25], off
	global_load_dword v55, v[26:27], off
	global_load_dword v56, v[28:29], off
	v_add_u32_e32 v14, s11, v72
	v_ashrrev_i32_e32 v15, 31, v14
	v_add_u32_e32 v16, s28, v72
	v_add_u32_e32 v18, s29, v72
	v_add_u32_e32 v20, s30, v72
	v_add_u32_e32 v22, s31, v72
	v_add_u32_e32 v24, s22, v72
	v_add_u32_e32 v26, s23, v72
	v_add_u32_e32 v28, s26, v72
	v_lshl_add_u64 v[14:15], v[14:15], 2, s[0:1]
	v_ashrrev_i32_e32 v17, 31, v16
	v_ashrrev_i32_e32 v19, 31, v18
	v_ashrrev_i32_e32 v21, 31, v20
	v_ashrrev_i32_e32 v23, 31, v22
	v_ashrrev_i32_e32 v25, 31, v24
	v_ashrrev_i32_e32 v27, 31, v26
	v_ashrrev_i32_e32 v29, 31, v28
	v_lshl_add_u64 v[16:17], v[16:17], 2, s[0:1]
	v_lshl_add_u64 v[18:19], v[18:19], 2, s[0:1]
	v_lshl_add_u64 v[20:21], v[20:21], 2, s[0:1]
	v_lshl_add_u64 v[22:23], v[22:23], 2, s[0:1]
	v_lshl_add_u64 v[24:25], v[24:25], 2, s[0:1]
	v_lshl_add_u64 v[26:27], v[26:27], 2, s[0:1]
	v_lshl_add_u64 v[28:29], v[28:29], 2, s[0:1]
	global_load_dword v57, v[14:15], off
	global_load_dword v58, v[16:17], off
	global_load_dword v59, v[18:19], off
	global_load_dword v60, v[20:21], off
	global_load_dword v61, v[22:23], off
	global_load_dword v62, v[24:25], off
	global_load_dword v63, v[26:27], off
	global_load_dword v64, v[28:29], off
	v_add_u32_e32 v14, s27, v72
	v_ashrrev_i32_e32 v15, 31, v14
	v_add_u32_e32 v16, s33, v72
	v_add_u32_e32 v18, s2, v72
	v_add_u32_e32 v20, s34, v72
	v_add_u32_e32 v22, s35, v72
	v_add_u32_e32 v24, s38, v72
	v_add_u32_e32 v26, s39, v72
	v_add_u32_e32 v28, s40, v72
	v_lshl_add_u64 v[14:15], v[14:15], 2, s[0:1]
	v_ashrrev_i32_e32 v17, 31, v16
	v_ashrrev_i32_e32 v19, 31, v18
	v_ashrrev_i32_e32 v21, 31, v20
	v_ashrrev_i32_e32 v23, 31, v22
	v_ashrrev_i32_e32 v25, 31, v24
	v_ashrrev_i32_e32 v27, 31, v26
	v_ashrrev_i32_e32 v29, 31, v28
	v_lshl_add_u64 v[16:17], v[16:17], 2, s[0:1]
	v_lshl_add_u64 v[18:19], v[18:19], 2, s[0:1]
	v_lshl_add_u64 v[20:21], v[20:21], 2, s[0:1]
	;; [unrolled: 1-line block ×6, first 2 shown]
	global_load_dword v65, v[14:15], off
	global_load_dword v66, v[16:17], off
	;; [unrolled: 1-line block ×8, first 2 shown]
	v_add_u32_e32 v14, s41, v72
	v_ashrrev_i32_e32 v15, 31, v14
	v_add_u32_e32 v16, s42, v72
	v_add_u32_e32 v18, s43, v72
	;; [unrolled: 1-line block ×5, first 2 shown]
	v_lshl_add_u64 v[14:15], v[14:15], 2, s[0:1]
	v_ashrrev_i32_e32 v17, 31, v16
	v_ashrrev_i32_e32 v19, 31, v18
	;; [unrolled: 1-line block ×5, first 2 shown]
	v_lshl_add_u64 v[16:17], v[16:17], 2, s[0:1]
	v_lshl_add_u64 v[18:19], v[18:19], 2, s[0:1]
	;; [unrolled: 1-line block ×5, first 2 shown]
	global_load_dword v78, v[14:15], off
	global_load_dword v79, v[16:17], off
	;; [unrolled: 1-line block ×6, first 2 shown]
	ds_read_b64 v[22:23], v74 offset:128
	ds_read_b64 v[18:19], v74 offset:160
	ds_read_b64 v[16:17], v74 offset:192
	ds_read_b64 v[14:15], v74 offset:224
	s_waitcnt vmcnt(47)
	ds_write_b32 v73, v30
	s_waitcnt vmcnt(46)
	ds_write_b32 v73, v31 offset:264
	s_waitcnt vmcnt(45)
	ds_write_b32 v73, v0 offset:528
	s_waitcnt vmcnt(44)
	ds_write_b32 v73, v32 offset:792
	s_waitcnt vmcnt(43)
	ds_write_b32 v73, v33 offset:1056
	s_waitcnt vmcnt(42)
	ds_write_b32 v73, v34 offset:1320
	s_waitcnt vmcnt(41)
	ds_write_b32 v73, v35 offset:1584
	s_waitcnt vmcnt(40)
	ds_write_b32 v73, v36 offset:1848
	s_waitcnt vmcnt(39)
	ds_write_b32 v73, v37 offset:2112
	s_waitcnt vmcnt(38)
	ds_write_b32 v73, v38 offset:2376
	s_waitcnt vmcnt(37)
	ds_write_b32 v73, v39 offset:2640
	s_waitcnt vmcnt(36)
	ds_write_b32 v73, v40 offset:2904
	s_waitcnt vmcnt(35)
	ds_write_b32 v73, v41 offset:3168
	s_waitcnt vmcnt(34)
	ds_write_b32 v73, v42 offset:3432
	s_waitcnt vmcnt(33)
	ds_write_b32 v73, v43 offset:3696
	s_waitcnt vmcnt(32)
	ds_write_b32 v73, v44 offset:3960
	ds_read_b64 v[46:47], v74
	ds_read_b64 v[42:43], v74 offset:32
	ds_read_b64 v[38:39], v74 offset:64
	ds_read_b64 v[34:35], v74 offset:96
	ds_read_b64 v[30:31], v74 offset:128
	ds_read_b64 v[26:27], v74 offset:160
	ds_read_b64 v[24:25], v74 offset:192
	ds_read_b64 v[20:21], v74 offset:224
	s_waitcnt vmcnt(31)
	ds_write_b32 v73, v45
	s_waitcnt vmcnt(30)
	ds_write_b32 v73, v48 offset:264
	s_waitcnt vmcnt(29)
	ds_write_b32 v73, v49 offset:528
	s_waitcnt vmcnt(28)
	ds_write_b32 v73, v50 offset:792
	s_waitcnt vmcnt(27)
	ds_write_b32 v73, v51 offset:1056
	s_waitcnt vmcnt(26)
	ds_write_b32 v73, v52 offset:1320
	s_waitcnt vmcnt(25)
	ds_write_b32 v73, v53 offset:1584
	s_waitcnt vmcnt(24)
	ds_write_b32 v73, v54 offset:1848
	s_waitcnt vmcnt(23)
	ds_write_b32 v73, v55 offset:2112
	s_waitcnt vmcnt(22)
	ds_write_b32 v73, v56 offset:2376
	s_waitcnt vmcnt(21)
	ds_write_b32 v73, v57 offset:2640
	s_waitcnt vmcnt(20)
	ds_write_b32 v73, v58 offset:2904
	s_waitcnt vmcnt(19)
	ds_write_b32 v73, v59 offset:3168
	s_waitcnt vmcnt(18)
	ds_write_b32 v73, v60 offset:3432
	s_waitcnt vmcnt(17)
	ds_write_b32 v73, v61 offset:3696
	s_waitcnt vmcnt(16)
	ds_write_b32 v73, v62 offset:3960
	ds_read_b64 v[56:57], v74
	ds_read_b64 v[52:53], v74 offset:32
	ds_read_b64 v[50:51], v74 offset:64
	ds_read_b64 v[44:45], v74 offset:96
	;; [unrolled: 40-line block ×3, first 2 shown]
	ds_read_b64 v[60:61], v74 offset:128
	ds_read_b64 v[58:59], v74 offset:160
	;; [unrolled: 1-line block ×4, first 2 shown]
	v_mov_b32_e32 v0, 0
	s_cbranch_vccnz .LBB84_9
; %bb.7:                                ;   in Loop: Header=BB84_6 Depth=1
	s_load_dword vcc_lo, s[36:37], 0x0
	v_mov_b32_e32 v0, 0
	s_waitcnt lgkmcnt(0)
	s_mul_hi_u32 vcc_hi, vcc_lo, s16
	s_add_i32 vcc_hi, vcc_lo, vcc_hi
	s_lshr_b32 s46, vcc_hi, s17
	s_cmp_ge_i32 s46, s13
	s_cbranch_scc1 .LBB84_9
; %bb.8:                                ;   in Loop: Header=BB84_6 Depth=1
	s_mul_i32 vcc_hi, s46, s18
	s_sub_i32 s47, vcc_lo, vcc_hi
	s_mul_i32 s47, s47, s9
	s_mul_i32 s46, s46, s20
	s_add_i32 s46, s46, s47
	v_add_u32_e32 v76, s46, v72
	v_ashrrev_i32_e32 v77, 31, v76
	v_lshl_add_u64 v[76:77], v[76:77], 2, s[6:7]
	global_load_dword v0, v[76:77], off
.LBB84_9:                               ;   in Loop: Header=BB84_6 Depth=1
	v_readlane_b32 s46, v90, 13
	v_readlane_b32 s47, v90, 14
	v_mov_b32_e32 v75, 0
	s_andn2_b64 vcc, exec, s[46:47]
	v_mov_b32_e32 v76, 0
	s_cbranch_vccnz .LBB84_12
; %bb.10:                               ;   in Loop: Header=BB84_6 Depth=1
	s_load_dword vcc_lo, s[36:37], 0x4
	v_mov_b32_e32 v76, 0
	s_waitcnt lgkmcnt(0)
	s_mul_hi_u32 s46, vcc_lo, s16
	s_add_i32 s46, vcc_lo, s46
	s_lshr_b32 vcc_hi, s46, s17
	s_cmp_ge_i32 vcc_hi, s13
	s_cbranch_scc1 .LBB84_12
; %bb.11:                               ;   in Loop: Header=BB84_6 Depth=1
	s_mul_i32 s46, vcc_hi, s18
	s_sub_i32 s46, vcc_lo, s46
	s_mul_i32 s46, s46, s9
	s_mul_i32 s47, vcc_hi, s20
	s_add_i32 s47, s47, s46
	v_add_u32_e32 v76, s47, v72
	v_ashrrev_i32_e32 v77, 31, v76
	v_lshl_add_u64 v[76:77], v[76:77], 2, s[6:7]
	global_load_dword v76, v[76:77], off
.LBB84_12:                              ;   in Loop: Header=BB84_6 Depth=1
	v_readlane_b32 s46, v90, 15
	v_readlane_b32 s47, v90, 16
	s_andn2_b64 vcc, exec, s[46:47]
	s_cbranch_vccnz .LBB84_15
; %bb.13:                               ;   in Loop: Header=BB84_6 Depth=1
	s_load_dword vcc_lo, s[36:37], 0x8
	v_mov_b32_e32 v75, 0
	s_waitcnt lgkmcnt(0)
	s_mul_hi_u32 s46, vcc_lo, s16
	s_add_i32 s46, vcc_lo, s46
	s_lshr_b32 vcc_hi, s46, s17
	s_cmp_ge_i32 vcc_hi, s13
	s_cbranch_scc1 .LBB84_15
; %bb.14:                               ;   in Loop: Header=BB84_6 Depth=1
	s_mul_i32 s46, vcc_hi, s18
	s_sub_i32 s46, vcc_lo, s46
	s_mul_i32 s46, s46, s9
	s_mul_i32 s47, vcc_hi, s20
	s_add_i32 s47, s47, s46
	v_add_u32_e32 v78, s47, v72
	v_ashrrev_i32_e32 v79, 31, v78
	v_lshl_add_u64 v[78:79], v[78:79], 2, s[6:7]
	global_load_dword v75, v[78:79], off
.LBB84_15:                              ;   in Loop: Header=BB84_6 Depth=1
	v_readlane_b32 s46, v90, 17
	v_readlane_b32 s47, v90, 18
	v_mov_b32_e32 v77, 0
	s_andn2_b64 vcc, exec, s[46:47]
	v_mov_b32_e32 v78, 0
	s_cbranch_vccnz .LBB84_18
; %bb.16:                               ;   in Loop: Header=BB84_6 Depth=1
	s_load_dword vcc_lo, s[36:37], 0xc
	v_mov_b32_e32 v78, 0
	s_waitcnt lgkmcnt(0)
	s_mul_hi_u32 s46, vcc_lo, s16
	s_add_i32 s46, vcc_lo, s46
	s_lshr_b32 vcc_hi, s46, s17
	s_cmp_ge_i32 vcc_hi, s13
	s_cbranch_scc1 .LBB84_18
; %bb.17:                               ;   in Loop: Header=BB84_6 Depth=1
	s_mul_i32 s46, vcc_hi, s18
	s_sub_i32 s46, vcc_lo, s46
	s_mul_i32 s46, s46, s9
	s_mul_i32 s47, vcc_hi, s20
	s_add_i32 s47, s47, s46
	v_add_u32_e32 v78, s47, v72
	v_ashrrev_i32_e32 v79, 31, v78
	v_lshl_add_u64 v[78:79], v[78:79], 2, s[6:7]
	global_load_dword v78, v[78:79], off
.LBB84_18:                              ;   in Loop: Header=BB84_6 Depth=1
	v_readlane_b32 s46, v90, 19
	v_readlane_b32 s47, v90, 20
	s_andn2_b64 vcc, exec, s[46:47]
	s_cbranch_vccnz .LBB84_21
; %bb.19:                               ;   in Loop: Header=BB84_6 Depth=1
	s_load_dword vcc_lo, s[36:37], 0x10
	v_mov_b32_e32 v77, 0
	s_waitcnt lgkmcnt(0)
	s_mul_hi_u32 s46, vcc_lo, s16
	s_add_i32 s46, vcc_lo, s46
	s_lshr_b32 vcc_hi, s46, s17
	s_cmp_ge_i32 vcc_hi, s13
	s_cbranch_scc1 .LBB84_21
; %bb.20:                               ;   in Loop: Header=BB84_6 Depth=1
	s_mul_i32 s46, vcc_hi, s18
	s_sub_i32 s46, vcc_lo, s46
	s_mul_i32 s46, s46, s9
	s_mul_i32 s47, vcc_hi, s20
	s_add_i32 s47, s47, s46
	v_add_u32_e32 v80, s47, v72
	v_ashrrev_i32_e32 v81, 31, v80
	v_lshl_add_u64 v[80:81], v[80:81], 2, s[6:7]
	global_load_dword v77, v[80:81], off
.LBB84_21:                              ;   in Loop: Header=BB84_6 Depth=1
	v_readlane_b32 s46, v90, 21
	v_readlane_b32 s47, v90, 22
	v_mov_b32_e32 v79, 0
	s_andn2_b64 vcc, exec, s[46:47]
	v_mov_b32_e32 v80, 0
	s_cbranch_vccnz .LBB84_24
; %bb.22:                               ;   in Loop: Header=BB84_6 Depth=1
	s_load_dword vcc_lo, s[36:37], 0x14
	v_mov_b32_e32 v80, 0
	s_waitcnt lgkmcnt(0)
	s_mul_hi_u32 s46, vcc_lo, s16
	s_add_i32 s46, vcc_lo, s46
	s_lshr_b32 vcc_hi, s46, s17
	s_cmp_ge_i32 vcc_hi, s13
	s_cbranch_scc1 .LBB84_24
; %bb.23:                               ;   in Loop: Header=BB84_6 Depth=1
	s_mul_i32 s46, vcc_hi, s18
	s_sub_i32 s46, vcc_lo, s46
	s_mul_i32 s46, s46, s9
	s_mul_i32 s47, vcc_hi, s20
	s_add_i32 s47, s47, s46
	v_add_u32_e32 v80, s47, v72
	v_ashrrev_i32_e32 v81, 31, v80
	v_lshl_add_u64 v[80:81], v[80:81], 2, s[6:7]
	global_load_dword v80, v[80:81], off
.LBB84_24:                              ;   in Loop: Header=BB84_6 Depth=1
	s_andn2_b64 vcc, exec, s[48:49]
	s_cbranch_vccnz .LBB84_27
; %bb.25:                               ;   in Loop: Header=BB84_6 Depth=1
	s_load_dword vcc_lo, s[36:37], 0x18
	v_mov_b32_e32 v79, 0
	s_waitcnt lgkmcnt(0)
	s_mul_hi_u32 s46, vcc_lo, s16
	s_add_i32 s46, vcc_lo, s46
	s_lshr_b32 vcc_hi, s46, s17
	s_cmp_ge_i32 vcc_hi, s13
	s_cbranch_scc1 .LBB84_27
; %bb.26:                               ;   in Loop: Header=BB84_6 Depth=1
	s_mul_i32 s46, vcc_hi, s18
	s_sub_i32 s46, vcc_lo, s46
	s_mul_i32 s46, s46, s9
	s_mul_i32 s47, vcc_hi, s20
	s_add_i32 s47, s47, s46
	v_add_u32_e32 v82, s47, v72
	v_ashrrev_i32_e32 v83, 31, v82
	v_lshl_add_u64 v[82:83], v[82:83], 2, s[6:7]
	global_load_dword v79, v[82:83], off
.LBB84_27:                              ;   in Loop: Header=BB84_6 Depth=1
	v_mov_b32_e32 v81, 0
	s_andn2_b64 vcc, exec, s[50:51]
	v_mov_b32_e32 v82, 0
	s_cbranch_vccnz .LBB84_30
; %bb.28:                               ;   in Loop: Header=BB84_6 Depth=1
	s_load_dword vcc_lo, s[36:37], 0x1c
	v_mov_b32_e32 v82, 0
	s_waitcnt lgkmcnt(0)
	s_mul_hi_u32 s46, vcc_lo, s16
	s_add_i32 s46, vcc_lo, s46
	s_lshr_b32 vcc_hi, s46, s17
	s_cmp_ge_i32 vcc_hi, s13
	s_cbranch_scc1 .LBB84_30
; %bb.29:                               ;   in Loop: Header=BB84_6 Depth=1
	s_mul_i32 s46, vcc_hi, s18
	s_sub_i32 s46, vcc_lo, s46
	s_mul_i32 s46, s46, s9
	s_mul_i32 s47, vcc_hi, s20
	s_add_i32 s47, s47, s46
	v_add_u32_e32 v82, s47, v72
	v_ashrrev_i32_e32 v83, 31, v82
	v_lshl_add_u64 v[82:83], v[82:83], 2, s[6:7]
	global_load_dword v82, v[82:83], off
.LBB84_30:                              ;   in Loop: Header=BB84_6 Depth=1
	s_andn2_b64 vcc, exec, s[52:53]
	s_cbranch_vccnz .LBB84_33
; %bb.31:                               ;   in Loop: Header=BB84_6 Depth=1
	s_load_dword vcc_lo, s[36:37], 0x20
	v_mov_b32_e32 v81, 0
	s_waitcnt lgkmcnt(0)
	s_mul_hi_u32 s46, vcc_lo, s16
	s_add_i32 s46, vcc_lo, s46
	s_lshr_b32 vcc_hi, s46, s17
	s_cmp_ge_i32 vcc_hi, s13
	s_cbranch_scc1 .LBB84_33
; %bb.32:                               ;   in Loop: Header=BB84_6 Depth=1
	s_mul_i32 s46, vcc_hi, s18
	s_sub_i32 s46, vcc_lo, s46
	s_mul_i32 s46, s46, s9
	s_mul_i32 s47, vcc_hi, s20
	s_add_i32 s47, s47, s46
	v_add_u32_e32 v84, s47, v72
	v_ashrrev_i32_e32 v85, 31, v84
	v_lshl_add_u64 v[84:85], v[84:85], 2, s[6:7]
	global_load_dword v81, v[84:85], off
.LBB84_33:                              ;   in Loop: Header=BB84_6 Depth=1
	;; [unrolled: 46-line block ×3, first 2 shown]
	v_mov_b32_e32 v85, 0
	s_andn2_b64 vcc, exec, s[58:59]
	v_mov_b32_e32 v86, 0
	s_cbranch_vccnz .LBB84_42
; %bb.40:                               ;   in Loop: Header=BB84_6 Depth=1
	s_load_dword vcc_lo, s[36:37], 0x2c
	v_mov_b32_e32 v86, 0
	s_waitcnt lgkmcnt(0)
	s_mul_hi_u32 s46, vcc_lo, s16
	s_add_i32 s46, vcc_lo, s46
	s_lshr_b32 vcc_hi, s46, s17
	s_cmp_ge_i32 vcc_hi, s13
	s_cbranch_scc1 .LBB84_42
; %bb.41:                               ;   in Loop: Header=BB84_6 Depth=1
	s_mul_i32 s46, vcc_hi, s18
	s_sub_i32 s46, vcc_lo, s46
	s_mul_i32 s46, s46, s9
	s_mul_i32 s47, vcc_hi, s20
	s_add_i32 s47, s47, s46
	v_add_u32_e32 v86, s47, v72
	v_ashrrev_i32_e32 v87, 31, v86
	v_lshl_add_u64 v[86:87], v[86:87], 2, s[6:7]
	global_load_dword v86, v[86:87], off
.LBB84_42:                              ;   in Loop: Header=BB84_6 Depth=1
	s_andn2_b64 vcc, exec, s[60:61]
	s_cbranch_vccnz .LBB84_5
; %bb.43:                               ;   in Loop: Header=BB84_6 Depth=1
	s_load_dword vcc_lo, s[36:37], 0x30
	v_mov_b32_e32 v85, 0
	s_waitcnt lgkmcnt(0)
	s_mul_hi_u32 s46, vcc_lo, s16
	s_add_i32 s46, vcc_lo, s46
	s_lshr_b32 vcc_hi, s46, s17
	s_cmp_ge_i32 vcc_hi, s13
	s_cbranch_scc1 .LBB84_5
; %bb.44:                               ;   in Loop: Header=BB84_6 Depth=1
	s_mul_i32 s46, vcc_hi, s18
	s_sub_i32 s46, vcc_lo, s46
	s_mul_i32 s46, s46, s9
	s_mul_i32 s47, vcc_hi, s20
	s_add_i32 s47, s47, s46
	v_add_u32_e32 v88, s47, v72
	v_ashrrev_i32_e32 v89, 31, v88
	v_lshl_add_u64 v[88:89], v[88:89], 2, s[6:7]
	global_load_dword v85, v[88:89], off
	s_branch .LBB84_5
.LBB84_45:
	s_or_b64 exec, exec, s[4:5]
	v_readlane_b32 s24, v90, 6
	v_readlane_b32 s30, v90, 9
	;; [unrolled: 1-line block ×12, first 2 shown]
.LBB84_46:
	s_or_b64 exec, exec, s[36:37]
	v_lshl_add_u32 v0, v70, 2, 0
	v_mul_u32_u24_e32 v1, 0x408, v71
	v_and_b32_e32 v4, 0x3f0, v3
	v_add3_u32 v0, v0, v1, v4
	v_accvgpr_read_b32 v1, a13
	v_accvgpr_read_b32 v4, a12
	s_barrier
	ds_write2_b32 v0, v4, v1 offset1:1
	v_accvgpr_read_b32 v1, a15
	v_accvgpr_read_b32 v4, a14
	ds_write2_b32 v0, v4, v1 offset0:2 offset1:3
	v_accvgpr_read_b32 v1, a9
	v_accvgpr_read_b32 v4, a8
	ds_write2_b32 v0, v4, v1 offset0:16 offset1:17
	;; [unrolled: 3-line block ×3, first 2 shown]
	v_accvgpr_read_b32 v1, a5
	v_accvgpr_read_b32 v4, a4
	s_lshl_b64 s[0:1], s[30:31], 2
	ds_write2_b32 v0, v4, v1 offset0:32 offset1:33
	v_accvgpr_read_b32 v1, a7
	v_accvgpr_read_b32 v4, a6
	s_add_u32 s4, s22, s0
	ds_write2_b32 v0, v4, v1 offset0:34 offset1:35
	v_accvgpr_read_b32 v1, a1
	v_accvgpr_read_b32 v4, a0
	s_addc_u32 s5, s23, s1
	ds_write2_b32 v0, v4, v1 offset0:48 offset1:49
	v_accvgpr_read_b32 v1, a3
	v_accvgpr_read_b32 v4, a2
	ds_write2_b32 v0, v4, v1 offset0:50 offset1:51
	s_cmp_gt_i32 s14, 0
	v_add_u32_e32 v0, s28, v2
	s_cselect_b64 s[6:7], -1, 0
	v_cmp_gt_i32_e64 s[0:1], s26, v0
	v_cmp_gt_u32_e32 vcc, 13, v2
	s_and_b64 s[0:1], s[6:7], s[0:1]
	v_lshl_add_u32 v5, v3, 2, 0
	v_add_u32_e32 v4, s11, v3
	v_mul_u32_u24_e32 v6, 0x408, v2
	s_and_b64 s[2:3], vcc, s[0:1]
	s_waitcnt lgkmcnt(0)
	s_barrier
	s_and_saveexec_b64 s[0:1], s[2:3]
	s_cbranch_execz .LBB84_49
; %bb.47:
	v_ashrrev_i32_e32 v1, 31, v0
	v_lshl_add_u64 v[8:9], v[0:1], 2, s[4:5]
	global_load_dword v3, v[8:9], off
	s_waitcnt vmcnt(0)
	v_mul_hi_u32 v1, v3, s19
	v_add_u32_e32 v1, v3, v1
	v_lshrrev_b32_e32 v1, s24, v1
	v_cmp_gt_i32_e32 vcc, s13, v1
	s_and_b64 exec, exec, vcc
	s_cbranch_execz .LBB84_49
; %bb.48:
	v_add_u32_e32 v7, v5, v6
	ds_read2st64_b32 v[8:9], v7 offset1:1
	ds_read2st64_b32 v[10:11], v7 offset0:2 offset1:3
	v_mul_lo_u32 v12, v1, s25
	v_sub_u32_e32 v3, v3, v12
	v_mul_lo_u32 v3, v3, s10
	s_waitcnt lgkmcnt(1)
	v_add_f32_e32 v7, 0, v8
	v_add_f32_e32 v7, v7, v9
	v_mul_lo_u32 v1, v1, s21
	v_readlane_b32 s2, v90, 0
	s_waitcnt lgkmcnt(0)
	v_add_f32_e32 v7, v7, v10
	v_add3_u32 v8, v4, v1, v3
	v_mov_b32_e32 v9, 0
	v_readlane_b32 s3, v90, 1
	v_add_f32_e32 v7, v7, v11
	s_nop 0
	v_lshl_add_u64 v[8:9], v[8:9], 2, s[2:3]
	global_store_dword v[8:9], v7, off
.LBB84_49:
	s_or_b64 exec, exec, s[0:1]
	v_add_u32_e32 v1, 4, v0
	v_cmp_gt_i32_e64 s[0:1], s26, v1
	v_cmp_gt_u32_e32 vcc, 9, v2
	s_and_b64 s[0:1], s[6:7], s[0:1]
	s_and_b64 s[2:3], vcc, s[0:1]
	s_and_saveexec_b64 s[0:1], s[2:3]
	s_cbranch_execz .LBB84_52
; %bb.50:
	s_ashr_i32 s29, s28, 31
	v_mov_b32_e32 v3, 0
	v_lshl_add_u64 v[8:9], v[2:3], 0, s[28:29]
	v_lshl_add_u64 v[8:9], v[8:9], 2, s[4:5]
	global_load_dword v7, v[8:9], off offset:16
	s_waitcnt vmcnt(0)
	v_mul_hi_u32 v1, v7, s19
	v_add_u32_e32 v1, v7, v1
	v_lshrrev_b32_e32 v1, s24, v1
	v_cmp_gt_i32_e32 vcc, s13, v1
	s_and_b64 exec, exec, vcc
	s_cbranch_execz .LBB84_52
; %bb.51:
	v_add_u32_e32 v8, v6, v5
	v_add_u32_e32 v10, 32, v8
	ds_read2st64_b32 v[8:9], v10 offset0:16 offset1:17
	ds_read2st64_b32 v[10:11], v10 offset0:18 offset1:19
	v_mul_lo_u32 v12, v1, s25
	v_sub_u32_e32 v7, v7, v12
	v_mul_lo_u32 v7, v7, s10
	s_waitcnt lgkmcnt(1)
	v_add_f32_e32 v8, 0, v8
	v_add_f32_e32 v8, v8, v9
	s_waitcnt lgkmcnt(0)
	v_add_f32_e32 v8, v8, v10
	v_mul_lo_u32 v1, v1, s21
	v_readlane_b32 s2, v90, 0
	v_add_f32_e32 v10, v8, v11
	v_add3_u32 v8, v4, v1, v7
	v_mov_b32_e32 v9, v3
	v_readlane_b32 s3, v90, 1
	s_nop 1
	v_lshl_add_u64 v[8:9], v[8:9], 2, s[2:3]
	global_store_dword v[8:9], v10, off
.LBB84_52:
	s_or_b64 exec, exec, s[0:1]
	v_add_u32_e32 v0, 8, v0
	v_cmp_gt_i32_e64 s[0:1], s26, v0
	v_cmp_gt_u32_e32 vcc, 5, v2
	s_and_b64 s[0:1], s[6:7], s[0:1]
	s_and_b64 s[2:3], vcc, s[0:1]
	s_and_saveexec_b64 s[0:1], s[2:3]
	s_cbranch_execz .LBB84_55
; %bb.53:
	s_ashr_i32 s29, s28, 31
	v_mov_b32_e32 v3, 0
	v_lshl_add_u64 v[0:1], v[2:3], 0, s[28:29]
	v_lshl_add_u64 v[0:1], v[0:1], 2, s[4:5]
	global_load_dword v1, v[0:1], off offset:32
	s_waitcnt vmcnt(0)
	v_mul_hi_u32 v0, v1, s19
	v_add_u32_e32 v0, v1, v0
	v_lshrrev_b32_e32 v0, s24, v0
	v_cmp_gt_i32_e32 vcc, s13, v0
	s_and_b64 exec, exec, vcc
	s_cbranch_execz .LBB84_55
; %bb.54:
	v_add_u32_e32 v6, v5, v6
	v_add_u32_e32 v8, 64, v6
	ds_read2st64_b32 v[6:7], v8 offset0:32 offset1:33
	ds_read2st64_b32 v[8:9], v8 offset0:34 offset1:35
	v_mul_lo_u32 v10, v0, s25
	v_sub_u32_e32 v1, v1, v10
	v_mul_lo_u32 v1, v1, s10
	s_waitcnt lgkmcnt(1)
	v_add_f32_e32 v6, 0, v6
	v_add_f32_e32 v6, v6, v7
	v_mul_lo_u32 v0, v0, s21
	v_readlane_b32 s2, v90, 0
	s_waitcnt lgkmcnt(0)
	v_add_f32_e32 v6, v6, v8
	v_add3_u32 v0, v4, v0, v1
	v_mov_b32_e32 v1, v3
	v_readlane_b32 s3, v90, 1
	v_add_f32_e32 v6, v6, v9
	s_nop 0
	v_lshl_add_u64 v[0:1], v[0:1], 2, s[2:3]
	global_store_dword v[0:1], v6, off
.LBB84_55:
	s_or_b64 exec, exec, s[0:1]
	v_cmp_eq_u32_e32 vcc, 0, v2
	s_and_saveexec_b64 s[0:1], vcc
	s_cbranch_execz .LBB84_59
; %bb.56:
	s_add_i32 s0, s28, 12
	s_cmp_ge_i32 s0, s26
	s_cselect_b64 s[0:1], -1, 0
	s_xor_b64 s[2:3], s[6:7], -1
	s_or_b64 s[0:1], s[2:3], s[0:1]
	s_and_b64 vcc, exec, s[0:1]
	s_cbranch_vccnz .LBB84_59
; %bb.57:
	s_ashr_i32 s29, s28, 31
	s_lshl_b64 s[0:1], s[28:29], 2
	s_add_u32 s0, s4, s0
	s_addc_u32 s1, s5, s1
	s_load_dword s1, s[0:1], 0x30
	s_waitcnt lgkmcnt(0)
	s_mul_hi_u32 s0, s1, s19
	s_add_i32 s0, s1, s0
	s_lshr_b32 s0, s0, s24
	s_cmp_ge_i32 s0, s13
	s_cbranch_scc1 .LBB84_59
; %bb.58:
	v_add_u32_e32 v2, 0x60, v5
	ds_read2st64_b32 v[0:1], v2 offset0:48 offset1:49
	ds_read2st64_b32 v[2:3], v2 offset0:50 offset1:51
	s_mul_i32 s2, s0, s25
	s_sub_i32 s1, s1, s2
	s_mul_i32 s1, s1, s10
	s_waitcnt lgkmcnt(1)
	v_add_f32_e32 v0, 0, v0
	v_add_f32_e32 v0, v0, v1
	s_mul_i32 s0, s0, s21
	s_waitcnt lgkmcnt(0)
	v_add_f32_e32 v0, v0, v2
	s_add_i32 s1, s1, s0
	v_add_f32_e32 v2, v0, v3
	v_add_u32_e32 v0, s1, v4
	v_readlane_b32 s0, v90, 0
	v_mov_b32_e32 v1, 0
	v_readlane_b32 s1, v90, 1
	s_nop 1
	v_lshl_add_u64 v[0:1], v[0:1], 2, s[0:1]
	global_store_dword v[0:1], v2, off
.LBB84_59:
	s_endpgm
	.section	.rodata,"a",@progbits
	.p2align	6, 0x0
	.amdhsa_kernel _ZL13mul_mat_f_idsIfLi64ELi13ELi4EEvPKT_PKfPKiS6_S6_Pfiiiiiiiiiiiiii15HIP_vector_typeIjLj3EES9_
		.amdhsa_group_segment_fixed_size 0
		.amdhsa_private_segment_fixed_size 0
		.amdhsa_kernarg_size 128
		.amdhsa_user_sgpr_count 2
		.amdhsa_user_sgpr_dispatch_ptr 0
		.amdhsa_user_sgpr_queue_ptr 0
		.amdhsa_user_sgpr_kernarg_segment_ptr 1
		.amdhsa_user_sgpr_dispatch_id 0
		.amdhsa_user_sgpr_kernarg_preload_length 0
		.amdhsa_user_sgpr_kernarg_preload_offset 0
		.amdhsa_user_sgpr_private_segment_size 0
		.amdhsa_uses_dynamic_stack 0
		.amdhsa_enable_private_segment 0
		.amdhsa_system_sgpr_workgroup_id_x 1
		.amdhsa_system_sgpr_workgroup_id_y 1
		.amdhsa_system_sgpr_workgroup_id_z 1
		.amdhsa_system_sgpr_workgroup_info 0
		.amdhsa_system_vgpr_workitem_id 1
		.amdhsa_next_free_vgpr 108
		.amdhsa_next_free_sgpr 100
		.amdhsa_accum_offset 92
		.amdhsa_reserve_vcc 1
		.amdhsa_float_round_mode_32 0
		.amdhsa_float_round_mode_16_64 0
		.amdhsa_float_denorm_mode_32 3
		.amdhsa_float_denorm_mode_16_64 3
		.amdhsa_dx10_clamp 1
		.amdhsa_ieee_mode 1
		.amdhsa_fp16_overflow 0
		.amdhsa_tg_split 0
		.amdhsa_exception_fp_ieee_invalid_op 0
		.amdhsa_exception_fp_denorm_src 0
		.amdhsa_exception_fp_ieee_div_zero 0
		.amdhsa_exception_fp_ieee_overflow 0
		.amdhsa_exception_fp_ieee_underflow 0
		.amdhsa_exception_fp_ieee_inexact 0
		.amdhsa_exception_int_div_zero 0
	.end_amdhsa_kernel
	.section	.text._ZL13mul_mat_f_idsIfLi64ELi13ELi4EEvPKT_PKfPKiS6_S6_Pfiiiiiiiiiiiiii15HIP_vector_typeIjLj3EES9_,"axG",@progbits,_ZL13mul_mat_f_idsIfLi64ELi13ELi4EEvPKT_PKfPKiS6_S6_Pfiiiiiiiiiiiiii15HIP_vector_typeIjLj3EES9_,comdat
.Lfunc_end84:
	.size	_ZL13mul_mat_f_idsIfLi64ELi13ELi4EEvPKT_PKfPKiS6_S6_Pfiiiiiiiiiiiiii15HIP_vector_typeIjLj3EES9_, .Lfunc_end84-_ZL13mul_mat_f_idsIfLi64ELi13ELi4EEvPKT_PKfPKiS6_S6_Pfiiiiiiiiiiiiii15HIP_vector_typeIjLj3EES9_
                                        ; -- End function
	.set _ZL13mul_mat_f_idsIfLi64ELi13ELi4EEvPKT_PKfPKiS6_S6_Pfiiiiiiiiiiiiii15HIP_vector_typeIjLj3EES9_.num_vgpr, 91
	.set _ZL13mul_mat_f_idsIfLi64ELi13ELi4EEvPKT_PKfPKiS6_S6_Pfiiiiiiiiiiiiii15HIP_vector_typeIjLj3EES9_.num_agpr, 16
	.set _ZL13mul_mat_f_idsIfLi64ELi13ELi4EEvPKT_PKfPKiS6_S6_Pfiiiiiiiiiiiiii15HIP_vector_typeIjLj3EES9_.numbered_sgpr, 100
	.set _ZL13mul_mat_f_idsIfLi64ELi13ELi4EEvPKT_PKfPKiS6_S6_Pfiiiiiiiiiiiiii15HIP_vector_typeIjLj3EES9_.num_named_barrier, 0
	.set _ZL13mul_mat_f_idsIfLi64ELi13ELi4EEvPKT_PKfPKiS6_S6_Pfiiiiiiiiiiiiii15HIP_vector_typeIjLj3EES9_.private_seg_size, 0
	.set _ZL13mul_mat_f_idsIfLi64ELi13ELi4EEvPKT_PKfPKiS6_S6_Pfiiiiiiiiiiiiii15HIP_vector_typeIjLj3EES9_.uses_vcc, 1
	.set _ZL13mul_mat_f_idsIfLi64ELi13ELi4EEvPKT_PKfPKiS6_S6_Pfiiiiiiiiiiiiii15HIP_vector_typeIjLj3EES9_.uses_flat_scratch, 0
	.set _ZL13mul_mat_f_idsIfLi64ELi13ELi4EEvPKT_PKfPKiS6_S6_Pfiiiiiiiiiiiiii15HIP_vector_typeIjLj3EES9_.has_dyn_sized_stack, 0
	.set _ZL13mul_mat_f_idsIfLi64ELi13ELi4EEvPKT_PKfPKiS6_S6_Pfiiiiiiiiiiiiii15HIP_vector_typeIjLj3EES9_.has_recursion, 0
	.set _ZL13mul_mat_f_idsIfLi64ELi13ELi4EEvPKT_PKfPKiS6_S6_Pfiiiiiiiiiiiiii15HIP_vector_typeIjLj3EES9_.has_indirect_call, 0
	.section	.AMDGPU.csdata,"",@progbits
; Kernel info:
; codeLenInByte = 7064
; TotalNumSgprs: 106
; NumVgprs: 91
; NumAgprs: 16
; TotalNumVgprs: 108
; ScratchSize: 0
; MemoryBound: 0
; FloatMode: 240
; IeeeMode: 1
; LDSByteSize: 0 bytes/workgroup (compile time only)
; SGPRBlocks: 13
; VGPRBlocks: 13
; NumSGPRsForWavesPerEU: 106
; NumVGPRsForWavesPerEU: 108
; AccumOffset: 92
; Occupancy: 4
; WaveLimiterHint : 1
; COMPUTE_PGM_RSRC2:SCRATCH_EN: 0
; COMPUTE_PGM_RSRC2:USER_SGPR: 2
; COMPUTE_PGM_RSRC2:TRAP_HANDLER: 0
; COMPUTE_PGM_RSRC2:TGID_X_EN: 1
; COMPUTE_PGM_RSRC2:TGID_Y_EN: 1
; COMPUTE_PGM_RSRC2:TGID_Z_EN: 1
; COMPUTE_PGM_RSRC2:TIDIG_COMP_CNT: 1
; COMPUTE_PGM_RSRC3_GFX90A:ACCUM_OFFSET: 22
; COMPUTE_PGM_RSRC3_GFX90A:TG_SPLIT: 0
	.section	.text._ZL9mul_mat_fIfLi64ELi13ELi4ELb1EEvPKT_PKfPKiPfiiiiiiiiiiiiiiii,"axG",@progbits,_ZL9mul_mat_fIfLi64ELi13ELi4ELb1EEvPKT_PKfPKiPfiiiiiiiiiiiiiiii,comdat
	.globl	_ZL9mul_mat_fIfLi64ELi13ELi4ELb1EEvPKT_PKfPKiPfiiiiiiiiiiiiiiii ; -- Begin function _ZL9mul_mat_fIfLi64ELi13ELi4ELb1EEvPKT_PKfPKiPfiiiiiiiiiiiiiiii
	.p2align	8
	.type	_ZL9mul_mat_fIfLi64ELi13ELi4ELb1EEvPKT_PKfPKiPfiiiiiiiiiiiiiiii,@function
_ZL9mul_mat_fIfLi64ELi13ELi4ELb1EEvPKT_PKfPKiPfiiiiiiiiiiiiiiii: ; @_ZL9mul_mat_fIfLi64ELi13ELi4ELb1EEvPKT_PKfPKiPfiiiiiiiiiiiiiiii
; %bb.0:
	s_load_dwordx8 s[44:51], s[0:1], 0x20
	s_mov_b32 s22, s4
	v_bfe_u32 v74, v0, 10, 10
	s_waitcnt lgkmcnt(0)
	s_add_i32 s4, s45, 12
	s_mul_hi_i32 s4, s4, 0x4ec4ec4f
	s_lshr_b32 s5, s4, 31
	s_ashr_i32 s4, s4, 2
	s_add_i32 s4, s4, s5
	v_cvt_f32_u32_e32 v1, s4
	s_load_dword s5, s[0:1], 0x64
	s_add_u32 s12, s0, 0x60
	s_addc_u32 s13, s1, 0
	v_rcp_iflag_f32_e32 v1, v1
	s_sub_i32 s6, 0, s4
	s_load_dwordx4 s[52:55], s[0:1], 0x44
	s_load_dwordx2 s[8:9], s[0:1], 0x10
	v_mul_f32_e32 v1, 0x4f7ffffe, v1
	v_cvt_u32_f32_e32 v1, v1
	v_mul_lo_u32 v2, s6, v1
	v_mul_hi_u32 v2, v1, v2
	v_add_u32_e32 v1, v1, v2
	s_waitcnt lgkmcnt(0)
	v_mul_hi_u32 v1, s5, v1
	v_mul_lo_u32 v2, v1, s4
	v_sub_u32_e32 v2, s5, v2
	v_add_u32_e32 v3, 1, v1
	v_subrev_u32_e32 v4, s4, v2
	v_cmp_le_u32_e32 vcc, s4, v2
	s_nop 1
	v_cndmask_b32_e32 v1, v1, v3, vcc
	v_cndmask_b32_e32 v2, v2, v4, vcc
	v_add_u32_e32 v3, 1, v1
	v_cmp_le_u32_e32 vcc, s4, v2
	s_abs_i32 s4, s55
	s_nop 0
	v_cndmask_b32_e32 v1, v1, v3, vcc
	v_cvt_f32_u32_e32 v2, v1
	v_sub_u32_e32 v4, 0, v1
	v_rcp_iflag_f32_e32 v2, v2
	s_nop 0
	v_mul_f32_e32 v2, 0x4f7ffffe, v2
	v_cvt_u32_f32_e32 v3, v2
	v_and_b32_e32 v2, 0x3ff, v0
	v_cmp_eq_u32_e32 vcc, 0, v2
	v_mul_lo_u32 v4, v4, v3
	v_mul_hi_u32 v4, v3, v4
	v_add_u32_e32 v3, v3, v4
	v_mul_hi_u32 v3, s3, v3
	s_and_saveexec_b64 s[6:7], vcc
; %bb.1:
	v_mov_b32_e32 v4, 0x100
	v_lshl_add_u32 v4, v74, 2, v4
	v_mov_b32_e32 v5, -1
	ds_write_b32 v4, v5
; %bb.2:
	s_or_b64 exec, exec, s[6:7]
	v_mul_lo_u32 v4, v3, v1
	v_sub_u32_e32 v4, s3, v4
	v_add_u32_e32 v5, 1, v3
	v_sub_u32_e32 v6, v4, v1
	v_cmp_ge_u32_e64 s[6:7], v4, v1
	v_cvt_f32_u32_e32 v11, s4
	s_nop 0
	v_cndmask_b32_e64 v3, v3, v5, s[6:7]
	v_cndmask_b32_e64 v4, v4, v6, s[6:7]
	v_add_u32_e32 v5, 1, v3
	v_cmp_ge_u32_e64 s[6:7], v4, v1
	s_nop 1
	v_cndmask_b32_e64 v3, v3, v5, s[6:7]
	v_mul_lo_u32 v1, v3, v1
	v_mul_lo_u32 v3, v3, 13
	v_mul_hi_i32 v5, v3, s51
	v_mul_lo_u32 v4, v3, s51
	v_sub_u32_e32 v10, s3, v1
	v_lshlrev_b64 v[4:5], 2, v[4:5]
	v_add_u32_e32 v1, v74, v3
	v_lshl_add_u64 v[4:5], s[8:9], 0, v[4:5]
	v_cmp_gt_i32_e64 s[8:9], s46, v2
	v_cmp_gt_i32_e64 s[24:25], s45, v1
	v_mov_b32_e32 v1, 0
	s_and_saveexec_b64 s[14:15], s[24:25]
	s_cbranch_execz .LBB85_10
; %bb.3:
	v_mov_b32_e32 v1, 0
	s_and_saveexec_b64 s[16:17], s[8:9]
	s_cbranch_execz .LBB85_9
; %bb.4:
	v_mul_lo_u32 v6, v74, s51
	v_ashrrev_i32_e32 v7, 31, v6
	v_mov_b32_e32 v1, 0x100
	v_lshl_add_u64 v[6:7], v[6:7], 2, v[4:5]
	v_lshl_add_u32 v12, v74, 2, v1
	v_mul_lo_u32 v8, v2, s50
	s_lshl_b32 s3, s50, 6
	v_mov_b32_e32 v1, 0
	s_mov_b64 s[18:19], 0
	v_mov_b32_e32 v13, v2
	s_branch .LBB85_6
.LBB85_5:                               ;   in Loop: Header=BB85_6 Depth=1
	s_or_b64 exec, exec, s[20:21]
	v_add_u32_e32 v13, 64, v13
	v_cmp_le_i32_e64 s[10:11], s46, v13
	s_xor_b64 s[6:7], s[6:7], -1
	s_or_b64 s[6:7], s[6:7], s[10:11]
	s_and_b64 s[6:7], exec, s[6:7]
	s_or_b64 s[18:19], s[6:7], s[18:19]
	v_add_u32_e32 v8, s3, v8
	s_andn2_b64 exec, exec, s[18:19]
	s_cbranch_execz .LBB85_8
.LBB85_6:                               ; =>This Inner Loop Header: Depth=1
	v_ashrrev_i32_e32 v9, 31, v8
	v_lshl_add_u64 v[14:15], v[8:9], 2, v[6:7]
	global_load_dword v9, v[14:15], off
	s_waitcnt vmcnt(0)
	v_cmp_ne_u32_e64 s[6:7], v9, v10
	v_cmp_eq_u32_e64 s[10:11], v9, v10
	s_and_saveexec_b64 s[20:21], s[10:11]
	s_cbranch_execz .LBB85_5
; %bb.7:                                ;   in Loop: Header=BB85_6 Depth=1
	v_mov_b32_e32 v1, 1
	ds_write_b32 v12, v13
	s_branch .LBB85_5
.LBB85_8:
	s_or_b64 exec, exec, s[18:19]
.LBB85_9:
	s_or_b64 exec, exec, s[16:17]
.LBB85_10:
	s_or_b64 exec, exec, s[14:15]
	v_rcp_iflag_f32_e32 v6, v11
	s_and_saveexec_b64 s[6:7], vcc
; %bb.11:
	v_mov_b32_e32 v7, 0x100
	v_lshl_add_u32 v7, v74, 2, v7
	v_mov_b32_e32 v8, -1
	ds_write_b32 v7, v8 offset:16
; %bb.12:
	s_or_b64 exec, exec, s[6:7]
	v_add_u32_e32 v75, 4, v74
	v_mul_f32_e32 v11, 0x4f7ffffe, v6
	v_add_u32_e32 v6, v75, v3
	v_cmp_gt_i32_e64 s[6:7], s45, v6
	s_mov_b64 s[14:15], exec
                                        ; implicit-def: $vgpr92 : SGPR spill to VGPR lane
	s_nop 0
	v_writelane_b32 v92, s6, 0
	s_nop 1
	v_writelane_b32 v92, s7, 1
	s_and_b64 s[6:7], s[14:15], s[6:7]
	s_mov_b64 exec, s[6:7]
	s_cbranch_execz .LBB85_20
; %bb.13:
	s_and_saveexec_b64 s[16:17], s[8:9]
	s_cbranch_execz .LBB85_19
; %bb.14:
	v_mul_lo_u32 v6, v75, s51
	v_ashrrev_i32_e32 v7, 31, v6
	v_mov_b32_e32 v8, 0x100
	v_lshl_add_u64 v[6:7], v[6:7], 2, v[4:5]
	v_lshl_add_u32 v12, v74, 2, v8
	v_mul_lo_u32 v8, v2, s50
	s_lshl_b32 s3, s50, 6
	s_mov_b64 s[18:19], 0
	v_mov_b32_e32 v13, v2
	s_branch .LBB85_16
.LBB85_15:                              ;   in Loop: Header=BB85_16 Depth=1
	s_or_b64 exec, exec, s[20:21]
	v_add_u32_e32 v13, 64, v13
	v_cmp_le_i32_e64 s[10:11], s46, v13
	s_xor_b64 s[6:7], s[6:7], -1
	s_or_b64 s[6:7], s[6:7], s[10:11]
	s_and_b64 s[6:7], exec, s[6:7]
	s_or_b64 s[18:19], s[6:7], s[18:19]
	v_add_u32_e32 v8, s3, v8
	s_andn2_b64 exec, exec, s[18:19]
	s_cbranch_execz .LBB85_18
.LBB85_16:                              ; =>This Inner Loop Header: Depth=1
	v_ashrrev_i32_e32 v9, 31, v8
	v_lshl_add_u64 v[14:15], v[8:9], 2, v[6:7]
	global_load_dword v9, v[14:15], off
	s_waitcnt vmcnt(0)
	v_cmp_ne_u32_e64 s[6:7], v9, v10
	v_cmp_eq_u32_e64 s[10:11], v9, v10
	s_and_saveexec_b64 s[20:21], s[10:11]
	s_cbranch_execz .LBB85_15
; %bb.17:                               ;   in Loop: Header=BB85_16 Depth=1
	v_mov_b32_e32 v1, 1
	ds_write_b32 v12, v13 offset:16
	s_branch .LBB85_15
.LBB85_18:
	s_or_b64 exec, exec, s[18:19]
.LBB85_19:
	s_or_b64 exec, exec, s[16:17]
.LBB85_20:
	s_or_b64 exec, exec, s[14:15]
	v_cvt_u32_f32_e32 v11, v11
	s_sub_i32 s3, 0, s4
	s_and_saveexec_b64 s[6:7], vcc
; %bb.21:
	v_mov_b32_e32 v6, 0x100
	v_lshl_add_u32 v6, v74, 2, v6
	v_mov_b32_e32 v7, -1
	ds_write_b32 v6, v7 offset:32
; %bb.22:
	s_or_b64 exec, exec, s[6:7]
	v_add_u32_e32 v76, 8, v74
	v_mul_lo_u32 v12, s3, v11
	v_add_u32_e32 v6, v76, v3
	v_cmp_gt_i32_e64 s[6:7], s45, v6
	s_mov_b64 s[14:15], exec
	s_nop 0
	v_writelane_b32 v92, s6, 2
	s_nop 1
	v_writelane_b32 v92, s7, 3
	s_and_b64 s[6:7], s[14:15], s[6:7]
	s_mov_b64 exec, s[6:7]
	s_cbranch_execz .LBB85_30
; %bb.23:
	s_and_saveexec_b64 s[16:17], s[8:9]
	s_cbranch_execz .LBB85_29
; %bb.24:
	v_mul_lo_u32 v6, v76, s51
	v_ashrrev_i32_e32 v7, 31, v6
	v_mov_b32_e32 v8, 0x100
	v_lshl_add_u64 v[6:7], v[6:7], 2, v[4:5]
	v_lshl_add_u32 v13, v74, 2, v8
	v_mul_lo_u32 v8, v2, s50
	s_lshl_b32 s3, s50, 6
	s_mov_b64 s[18:19], 0
	v_mov_b32_e32 v14, v2
	s_branch .LBB85_26
.LBB85_25:                              ;   in Loop: Header=BB85_26 Depth=1
	s_or_b64 exec, exec, s[20:21]
	v_add_u32_e32 v14, 64, v14
	v_cmp_le_i32_e64 s[10:11], s46, v14
	s_xor_b64 s[6:7], s[6:7], -1
	s_or_b64 s[6:7], s[6:7], s[10:11]
	s_and_b64 s[6:7], exec, s[6:7]
	s_or_b64 s[18:19], s[6:7], s[18:19]
	v_add_u32_e32 v8, s3, v8
	s_andn2_b64 exec, exec, s[18:19]
	s_cbranch_execz .LBB85_28
.LBB85_26:                              ; =>This Inner Loop Header: Depth=1
	v_ashrrev_i32_e32 v9, 31, v8
	v_lshl_add_u64 v[16:17], v[8:9], 2, v[6:7]
	global_load_dword v9, v[16:17], off
	s_waitcnt vmcnt(0)
	v_cmp_ne_u32_e64 s[6:7], v9, v10
	v_cmp_eq_u32_e64 s[10:11], v9, v10
	s_and_saveexec_b64 s[20:21], s[10:11]
	s_cbranch_execz .LBB85_25
; %bb.27:                               ;   in Loop: Header=BB85_26 Depth=1
	v_mov_b32_e32 v1, 1
	ds_write_b32 v13, v14 offset:32
	s_branch .LBB85_25
.LBB85_28:
	s_or_b64 exec, exec, s[18:19]
.LBB85_29:
	s_or_b64 exec, exec, s[16:17]
.LBB85_30:
	s_or_b64 exec, exec, s[14:15]
	v_mul_hi_u32 v6, v11, v12
	s_and_saveexec_b64 s[6:7], vcc
; %bb.31:
	v_mov_b32_e32 v7, 0x100
	v_lshl_add_u32 v7, v74, 2, v7
	v_mov_b32_e32 v8, -1
	ds_write_b32 v7, v8 offset:48
; %bb.32:
	s_or_b64 exec, exec, s[6:7]
	s_load_dwordx4 s[28:31], s[0:1], 0x54
	v_add_u32_e32 v8, v11, v6
	v_add_u32_e32 v6, 12, v74
	s_abs_i32 s3, s22
	v_add_u32_e32 v7, v6, v3
	v_cmp_gt_i32_e64 s[6:7], s45, v7
	s_mov_b64 s[10:11], exec
	s_nop 0
	v_writelane_b32 v92, s6, 4
	s_nop 1
	v_writelane_b32 v92, s7, 5
	s_and_b64 s[6:7], s[10:11], s[6:7]
	s_mov_b64 exec, s[6:7]
	s_cbranch_execz .LBB85_40
; %bb.33:
	s_and_saveexec_b64 s[14:15], s[8:9]
	s_cbranch_execz .LBB85_39
; %bb.34:
	v_mul_lo_u32 v6, v6, s51
	v_ashrrev_i32_e32 v7, 31, v6
	v_lshl_add_u64 v[4:5], v[6:7], 2, v[4:5]
	v_mov_b32_e32 v6, 0x100
	v_lshl_add_u32 v9, v74, 2, v6
	v_mul_lo_u32 v6, v2, s50
	s_lshl_b32 s5, s50, 6
	s_mov_b64 s[16:17], 0
	v_mov_b32_e32 v11, v2
	s_branch .LBB85_36
.LBB85_35:                              ;   in Loop: Header=BB85_36 Depth=1
	s_or_b64 exec, exec, s[18:19]
	v_add_u32_e32 v11, 64, v11
	v_cmp_le_i32_e64 s[8:9], s46, v11
	s_xor_b64 s[6:7], vcc, -1
	s_or_b64 s[6:7], s[6:7], s[8:9]
	s_and_b64 s[6:7], exec, s[6:7]
	s_or_b64 s[16:17], s[6:7], s[16:17]
	v_add_u32_e32 v6, s5, v6
	s_andn2_b64 exec, exec, s[16:17]
	s_cbranch_execz .LBB85_38
.LBB85_36:                              ; =>This Inner Loop Header: Depth=1
	v_ashrrev_i32_e32 v7, 31, v6
	v_lshl_add_u64 v[12:13], v[6:7], 2, v[4:5]
	global_load_dword v7, v[12:13], off
	s_waitcnt vmcnt(0)
	v_cmp_ne_u32_e32 vcc, v7, v10
	v_cmp_eq_u32_e64 s[8:9], v7, v10
	s_and_saveexec_b64 s[18:19], s[8:9]
	s_cbranch_execz .LBB85_35
; %bb.37:                               ;   in Loop: Header=BB85_36 Depth=1
	v_mov_b32_e32 v1, 1
	ds_write_b32 v9, v11 offset:48
	s_branch .LBB85_35
.LBB85_38:
	s_or_b64 exec, exec, s[16:17]
.LBB85_39:
	s_or_b64 exec, exec, s[14:15]
.LBB85_40:
	s_or_b64 exec, exec, s[10:11]
	s_load_dwordx2 s[6:7], s[12:13], 0xc
	s_load_dwordx2 s[10:11], s[0:1], 0x8
	;; [unrolled: 1-line block ×3, first 2 shown]
	v_or_b32_dpp v1, v1, v1 row_shl:1 row_mask:0xf bank_mask:0xf bound_ctrl:1
	v_mul_hi_u32 v4, s3, v8
	s_waitcnt lgkmcnt(0)
	s_and_b32 s5, s7, 0xffff
	s_lshr_b32 s7, s6, 16
	v_writelane_b32 v92, s8, 6
	s_and_b32 s6, s6, 0xffff
	v_or_b32_dpp v1, v1, v1 row_shl:2 row_mask:0xf bank_mask:0xf bound_ctrl:1
	v_writelane_b32 v92, s9, 7
	s_mul_i32 s8, s7, s6
	v_or_b32_dpp v1, v1, v1 row_shl:4 row_mask:0xf bank_mask:0xf bound_ctrl:1
	s_bfe_i32 s8, s8, 0x180000
	s_mul_i32 s5, s8, s5
	v_or_b32_dpp v1, v1, v1 row_shl:8 row_mask:0xf bank_mask:0xf bound_ctrl:1
	s_add_i32 s8, s5, 63
	s_bitcmp1_b32 exec_hi, 0
	v_mov_b32_dpp v5, v1 wave_shl:1 row_mask:0xf bank_mask:0xf bound_ctrl:1
                                        ; kill: killed $sgpr12 killed $sgpr13
	s_nop 1
	v_or_b32_dpp v1, v5, v1 row_mirror row_mask:0xf bank_mask:0xf bound_ctrl:1
	s_nop 0
	v_readlane_b32 s5, v1, 32
	s_cselect_b32 s5, s5, 0
	v_readlane_b32 s9, v1, 0
	s_or_b32 s5, s5, s9
	s_andn2_b32 s8, s8, 63
	s_cmp_lg_u32 s8, 64
	v_mov_b32_e32 v1, s5
	s_cbranch_scc0 .LBB85_47
; %bb.41:
	v_bfe_u32 v0, v0, 20, 10
	v_mbcnt_lo_u32_b32 v1, -1, 0
	v_mad_u32_u24 v0, v0, s7, v74
	v_mbcnt_hi_u32_b32 v5, -1, v1
	v_mad_u64_u32 v[0:1], s[6:7], v0, s6, v[2:3]
	v_lshrrev_b32_e32 v1, 6, v0
	v_or_b32_e32 v1, v5, v1
	v_cmp_eq_u32_e32 vcc, 0, v1
	s_and_saveexec_b64 s[8:9], vcc
; %bb.42:
	v_mov_b32_e32 v1, 0
	v_mov_b32_e32 v6, s5
	ds_write_b32 v1, v6
; %bb.43:
	s_or_b64 exec, exec, s[8:9]
	v_cmp_eq_u32_e32 vcc, 0, v5
	v_cmp_lt_u32_e64 s[8:9], 63, v0
	s_and_b64 s[6:7], s[8:9], vcc
	s_waitcnt lgkmcnt(0)
	s_barrier
	s_and_saveexec_b64 s[8:9], s[6:7]
	s_cbranch_execz .LBB85_46
; %bb.44:
	v_mbcnt_lo_u32_b32 v0, exec_lo, 0
	v_mbcnt_hi_u32_b32 v0, exec_hi, v0
	v_cmp_eq_u32_e32 vcc, 0, v0
	s_and_b64 exec, exec, vcc
; %bb.45:
	v_mov_b32_e32 v0, 0
	v_mov_b32_e32 v1, s5
	ds_or_b32 v0, v1
.LBB85_46:
	s_or_b64 exec, exec, s[8:9]
	v_mov_b32_e32 v0, 0
	s_waitcnt lgkmcnt(0)
	s_barrier
	ds_read_b32 v1, v0
	s_waitcnt lgkmcnt(0)
	s_barrier
.LBB85_47:
	s_load_dwordx2 s[8:9], s[0:1], 0x0
	v_cmp_ne_u32_e32 vcc, 0, v1
	s_ashr_i32 s5, s22, 31
	s_ashr_i32 s6, s55, 31
	s_cbranch_vccz .LBB85_121
; %bb.48:
	v_lshlrev_b32_e32 v77, 6, v74
	v_add_u32_e32 v79, v77, v2
	v_cmp_le_i32_e32 vcc, s44, v79
	v_and_b32_e32 v78, 15, v2
	s_and_saveexec_b64 s[0:1], vcc
	s_xor_b64 s[0:1], exec, s[0:1]
; %bb.49:
	v_and_b32_e32 v78, 15, v2
                                        ; implicit-def: $vgpr79
                                        ; implicit-def: $vgpr4
                                        ; implicit-def: $vgpr10
; %bb.50:
	s_or_saveexec_b64 s[0:1], s[0:1]
	s_lshl_b32 s7, s2, 6
	v_mov_b32_e32 v1, 0
	v_accvgpr_write_b32 a0, 0
	v_accvgpr_write_b32 a1, 0
	;; [unrolled: 1-line block ×16, first 2 shown]
	v_writelane_b32 v92, s0, 8
	s_nop 1
	v_writelane_b32 v92, s1, 9
	s_xor_b64 exec, exec, s[0:1]
	s_cbranch_execz .LBB85_106
; %bb.51:
	v_mul_lo_u32 v0, v4, s4
	v_sub_u32_e32 v0, s3, v0
	v_add_u32_e32 v5, 1, v4
	v_subrev_u32_e32 v6, s4, v0
	v_cmp_le_u32_e32 vcc, s4, v0
	s_xor_b32 s0, s5, s6
	v_writelane_b32 v92, s24, 10
	v_cndmask_b32_e32 v4, v4, v5, vcc
	v_cndmask_b32_e32 v0, v0, v6, vcc
	v_add_u32_e32 v5, 1, v4
	v_cmp_le_u32_e32 vcc, s4, v0
	v_writelane_b32 v92, s25, 11
	v_writelane_b32 v92, s7, 12
	v_cndmask_b32_e32 v0, v4, v5, vcc
	v_xor_b32_e32 v0, s0, v0
	v_subrev_u32_e32 v0, s0, v0
	s_mul_i32 s0, s47, s7
	s_ashr_i32 s1, s0, 31
	s_lshl_b64 s[2:3], s[0:1], 2
	s_movk_i32 s0, 0x1080
	v_mov_b32_e32 v80, 0x100
	v_writelane_b32 v92, s22, 13
	v_mul_hi_i32 v5, v0, s28
	v_mul_lo_u32 v4, v0, s28
	v_mul_lo_u32 v6, v10, s52
	v_mad_u32_u24 v0, v74, s0, v80
	s_mul_hi_i32 s1, s29, s22
	v_writelane_b32 v92, s28, 14
	s_mul_i32 s0, s29, s22
	v_ashrrev_i32_e32 v7, 31, v6
	s_lshl_b64 s[0:1], s[0:1], 2
	v_lshlrev_b64 v[10:11], 2, v[6:7]
	v_writelane_b32 v92, s29, 15
	v_mul_hi_i32 v7, v3, s48
	v_mul_lo_u32 v6, v3, s48
	s_add_u32 s0, s10, s0
	v_lshlrev_b64 v[8:9], 2, v[4:5]
	v_writelane_b32 v92, s30, 16
	s_addc_u32 s1, s11, s1
	v_lshlrev_b64 v[6:7], 2, v[6:7]
	s_waitcnt lgkmcnt(0)
	v_lshl_add_u64 v[4:5], s[8:9], 0, v[8:9]
	v_writelane_b32 v92, s31, 17
	v_lshl_add_u64 v[6:7], s[0:1], 0, v[6:7]
	v_lshrrev_b32_e32 v13, 1, v2
	s_lshl_b32 s0, s48, 1
	v_lshl_add_u64 v[8:9], v[8:9], 0, s[2:3]
	v_mul_u32_u24_e32 v12, 0x108, v78
	v_and_b32_e32 v13, 0x1f8, v13
	v_writelane_b32 v92, s0, 18
	s_lshl_b32 s0, s48, 2
	v_lshl_add_u64 v[8:9], v[8:9], 0, v[10:11]
	v_lshl_add_u64 v[4:5], v[4:5], 0, v[10:11]
	v_lshl_add_u32 v81, v2, 2, v0
	v_add3_u32 v82, v0, v12, v13
	v_add_u32_e32 v12, 1, v3
	v_add_u32_e32 v13, 2, v3
	;; [unrolled: 1-line block ×4, first 2 shown]
	v_writelane_b32 v92, s0, 19
	v_add_u32_e32 v16, 5, v3
	v_add_u32_e32 v17, 6, v3
	;; [unrolled: 1-line block ×8, first 2 shown]
	s_ashr_i32 s1, s47, 31
	s_mov_b32 s0, s47
	v_lshl_add_u64 v[8:9], s[8:9], 0, v[8:9]
	v_lshlrev_b32_e32 v0, 2, v79
	v_lshl_add_u64 v[4:5], v[4:5], 0, s[2:3]
	s_lshl_b32 s51, s48, 3
	s_add_i32 s52, s47, s47
	s_mul_i32 s55, s47, 3
	s_lshl_b32 s56, s47, 2
	s_mul_i32 s57, s47, 5
	s_mul_i32 s59, s47, 6
	;; [unrolled: 1-line block ×3, first 2 shown]
	s_lshl_b32 s61, s47, 3
	s_mul_i32 s62, s47, 9
	s_mul_i32 s63, s47, 10
	;; [unrolled: 1-line block ×7, first 2 shown]
	s_lshl_b32 s69, s47, 4
	s_mul_i32 s70, s47, 17
	s_mul_i32 s71, s47, 18
	s_mul_i32 s72, s47, 19
	s_mul_i32 s73, s47, 20
	s_mul_i32 s74, s47, 21
	s_mul_i32 s75, s47, 22
	s_mul_i32 s76, s47, 23
	s_mul_i32 s77, s47, 24
	s_mul_i32 s78, s47, 25
	s_mul_i32 s79, s47, 26
	s_mul_i32 s80, s47, 27
	s_mul_i32 s81, s47, 28
	s_mul_i32 s82, s47, 29
	s_mul_i32 s83, s47, 30
	s_mul_i32 s84, s47, 31
	s_lshl_b32 s85, s47, 5
	s_mul_i32 s86, s47, 33
	s_mul_i32 s87, s47, 34
	;; [unrolled: 1-line block ×12, first 2 shown]
	v_cmp_gt_i32_e64 s[8:9], s45, v3
	s_mul_i32 s98, s47, 45
	s_mul_i32 s99, s47, 46
	s_lshl_b64 s[2:3], s[0:1], 2
	v_accvgpr_write_b32 a15, 0
	v_accvgpr_write_b32 a14, 0
	;; [unrolled: 1-line block ×16, first 2 shown]
	v_lshl_add_u64 v[8:9], v[8:9], 0, v[0:1]
	s_mul_i32 s5, s47, 47
	s_mul_i32 s6, s47, 48
	;; [unrolled: 1-line block ×17, first 2 shown]
	v_cmp_gt_i32_e64 s[10:11], s45, v12
	v_cmp_gt_i32_e64 s[12:13], s45, v13
	;; [unrolled: 1-line block ×12, first 2 shown]
	s_mov_b64 s[46:47], 0
	s_branch .LBB85_54
.LBB85_52:                              ;   in Loop: Header=BB85_54 Depth=1
	v_mul_lo_u32 v0, v0, s53
	s_mul_i32 s45, s48, 12
	v_add_u32_e32 v0, s45, v0
	v_add_u32_e32 v84, v0, v79
	v_ashrrev_i32_e32 v85, 31, v84
	v_lshl_add_u64 v[84:85], v[84:85], 2, v[6:7]
	global_load_dword v0, v[84:85], off
.LBB85_53:                              ;   in Loop: Header=BB85_54 Depth=1
	v_add_u32_e32 v83, 0xc00, v81
	s_waitcnt vmcnt(0)
	ds_write2_b32 v83, v0, v1 offset0:40 offset1:106
	ds_write2_b32 v83, v1, v1 offset0:172 offset1:238
	ds_read2_b64 v[84:87], v82 offset0:8 offset1:12
	v_add_u32_e32 v79, 0x100, v79
	s_mov_b64 vcc, 0x400
	v_lshl_add_u64 v[8:9], v[8:9], 0, vcc
	v_cmp_le_i32_e32 vcc, s44, v79
	s_waitcnt lgkmcnt(0)
	v_mfma_f32_16x16x4_f32 a[12:15], v16, v84, a[12:15]
	s_or_b64 s[46:47], vcc, s[46:47]
	v_mfma_f32_16x16x4_f32 a[8:11], v50, v84, a[8:11]
	v_mfma_f32_16x16x4_f32 a[4:7], v60, v84, a[4:7]
	;; [unrolled: 1-line block ×12, first 2 shown]
	ds_read2_b64 v[14:17], v82 offset0:16 offset1:20
	v_mfma_f32_16x16x4_f32 a[8:11], v47, v87, a[8:11]
	v_mfma_f32_16x16x4_f32 a[4:7], v57, v87, a[4:7]
	;; [unrolled: 1-line block ×3, first 2 shown]
	s_waitcnt lgkmcnt(0)
	v_mfma_f32_16x16x4_f32 a[12:15], v12, v14, a[12:15]
	v_mfma_f32_16x16x4_f32 a[8:11], v42, v14, a[8:11]
	;; [unrolled: 1-line block ×13, first 2 shown]
	ds_read2_b64 v[10:13], v82 offset0:24 offset1:28
	v_mfma_f32_16x16x4_f32 a[8:11], v39, v17, a[8:11]
	v_mfma_f32_16x16x4_f32 a[4:7], v49, v17, a[4:7]
	;; [unrolled: 1-line block ×3, first 2 shown]
	s_waitcnt lgkmcnt(0)
	v_mfma_f32_16x16x4_f32 a[12:15], v26, v10, a[12:15]
	v_mfma_f32_16x16x4_f32 a[8:11], v34, v10, a[8:11]
	;; [unrolled: 1-line block ×16, first 2 shown]
	ds_read2_b64 v[10:13], v82 offset0:32 offset1:36
	s_waitcnt lgkmcnt(0)
	v_mfma_f32_16x16x4_f32 a[12:15], v20, v10, a[12:15]
	v_mfma_f32_16x16x4_f32 a[8:11], v28, v10, a[8:11]
	;; [unrolled: 1-line block ×16, first 2 shown]
	s_andn2_b64 exec, exec, s[46:47]
	s_cbranch_execz .LBB85_105
.LBB85_54:                              ; =>This Inner Loop Header: Depth=1
	v_lshl_add_u64 v[10:11], v[8:9], 0, s[2:3]
	global_load_dword v0, v[8:9], off
	global_load_dword v26, v[10:11], off
	v_add_u32_e32 v10, s52, v79
	v_add_u32_e32 v14, s56, v79
	;; [unrolled: 1-line block ×4, first 2 shown]
	v_ashrrev_i32_e32 v11, 31, v10
	v_add_u32_e32 v12, s55, v79
	v_ashrrev_i32_e32 v15, 31, v14
	v_ashrrev_i32_e32 v17, 31, v16
	v_add_u32_e32 v18, s59, v79
	v_add_u32_e32 v20, s60, v79
	v_ashrrev_i32_e32 v23, 31, v22
	v_add_u32_e32 v24, s62, v79
	v_lshl_add_u64 v[10:11], v[10:11], 2, v[4:5]
	v_ashrrev_i32_e32 v13, 31, v12
	v_lshl_add_u64 v[14:15], v[14:15], 2, v[4:5]
	v_lshl_add_u64 v[16:17], v[16:17], 2, v[4:5]
	v_ashrrev_i32_e32 v19, 31, v18
	v_ashrrev_i32_e32 v21, 31, v20
	v_lshl_add_u64 v[22:23], v[22:23], 2, v[4:5]
	v_ashrrev_i32_e32 v25, 31, v24
	v_lshl_add_u64 v[12:13], v[12:13], 2, v[4:5]
	v_lshl_add_u64 v[18:19], v[18:19], 2, v[4:5]
	;; [unrolled: 1-line block ×4, first 2 shown]
	global_load_dword v27, v[10:11], off
	global_load_dword v28, v[12:13], off
	;; [unrolled: 1-line block ×6, first 2 shown]
	s_nop 0
	global_load_dword v22, v[22:23], off
	s_nop 0
	global_load_dword v23, v[24:25], off
	v_add_u32_e32 v10, s63, v79
	v_add_u32_e32 v14, s65, v79
	;; [unrolled: 1-line block ×3, first 2 shown]
	v_ashrrev_i32_e32 v11, 31, v10
	v_add_u32_e32 v12, s64, v79
	v_ashrrev_i32_e32 v15, 31, v14
	v_ashrrev_i32_e32 v17, 31, v16
	v_add_u32_e32 v18, s67, v79
	v_add_u32_e32 v20, s68, v79
	v_lshl_add_u64 v[10:11], v[10:11], 2, v[4:5]
	v_ashrrev_i32_e32 v13, 31, v12
	v_lshl_add_u64 v[14:15], v[14:15], 2, v[4:5]
	v_lshl_add_u64 v[16:17], v[16:17], 2, v[4:5]
	v_ashrrev_i32_e32 v19, 31, v18
	v_ashrrev_i32_e32 v21, 31, v20
	v_lshl_add_u64 v[12:13], v[12:13], 2, v[4:5]
	v_lshl_add_u64 v[18:19], v[18:19], 2, v[4:5]
	;; [unrolled: 1-line block ×3, first 2 shown]
	global_load_dword v24, v[10:11], off
	global_load_dword v25, v[12:13], off
	s_nop 0
	global_load_dword v14, v[14:15], off
	s_nop 0
	;; [unrolled: 2-line block ×3, first 2 shown]
	global_load_dword v16, v[18:19], off
	global_load_dword v17, v[20:21], off
	v_add_u32_e32 v10, s69, v79
	v_add_u32_e32 v12, s70, v79
	v_ashrrev_i32_e32 v11, 31, v10
	v_ashrrev_i32_e32 v13, 31, v12
	v_lshl_add_u64 v[10:11], v[10:11], 2, v[4:5]
	v_add_u32_e32 v18, s71, v79
	v_lshl_add_u64 v[12:13], v[12:13], 2, v[4:5]
	global_load_dword v34, v[10:11], off
	global_load_dword v35, v[12:13], off
	v_ashrrev_i32_e32 v19, 31, v18
	v_add_u32_e32 v20, s72, v79
	v_lshl_add_u64 v[18:19], v[18:19], 2, v[4:5]
	v_ashrrev_i32_e32 v21, 31, v20
	v_lshl_add_u64 v[20:21], v[20:21], 2, v[4:5]
	s_andn2_b64 vcc, exec, s[8:9]
	s_waitcnt vmcnt(17)
	ds_write_b32 v81, v0 offset:64
	s_waitcnt vmcnt(16)
	ds_write_b32 v81, v26 offset:328
	s_waitcnt vmcnt(15)
	ds_write_b32 v81, v27 offset:592
	s_waitcnt vmcnt(14)
	ds_write_b32 v81, v28 offset:856
	s_waitcnt vmcnt(13)
	ds_write_b32 v81, v29 offset:1120
	s_waitcnt vmcnt(12)
	ds_write_b32 v81, v30 offset:1384
	s_waitcnt vmcnt(11)
	ds_write_b32 v81, v31 offset:1648
	s_waitcnt vmcnt(10)
	ds_write_b32 v81, v32 offset:1912
	s_waitcnt vmcnt(9)
	ds_write_b32 v81, v22 offset:2176
	s_waitcnt vmcnt(8)
	ds_write_b32 v81, v23 offset:2440
	s_waitcnt vmcnt(7)
	ds_write_b32 v81, v24 offset:2704
	s_waitcnt vmcnt(6)
	ds_write_b32 v81, v25 offset:2968
	s_waitcnt vmcnt(5)
	ds_write_b32 v81, v14 offset:3232
	s_waitcnt vmcnt(4)
	ds_write_b32 v81, v15 offset:3496
	s_waitcnt vmcnt(3)
	ds_write_b32 v81, v16 offset:3760
	s_waitcnt vmcnt(2)
	ds_write_b32 v81, v17 offset:4024
	v_add_u32_e32 v22, s73, v79
	v_add_u32_e32 v24, s74, v79
	;; [unrolled: 1-line block ×6, first 2 shown]
	v_ashrrev_i32_e32 v23, 31, v22
	v_ashrrev_i32_e32 v25, 31, v24
	;; [unrolled: 1-line block ×6, first 2 shown]
	ds_read_b64 v[16:17], v82 offset:64
	ds_read_b64 v[14:15], v82 offset:96
	ds_read_b64 v[12:13], v82 offset:128
	ds_read_b64 v[10:11], v82 offset:160
	v_lshl_add_u64 v[22:23], v[22:23], 2, v[4:5]
	v_lshl_add_u64 v[24:25], v[24:25], 2, v[4:5]
	v_lshl_add_u64 v[26:27], v[26:27], 2, v[4:5]
	v_lshl_add_u64 v[28:29], v[28:29], 2, v[4:5]
	v_lshl_add_u64 v[30:31], v[30:31], 2, v[4:5]
	v_lshl_add_u64 v[32:33], v[32:33], 2, v[4:5]
	global_load_dword v0, v[18:19], off
	global_load_dword v36, v[20:21], off
	global_load_dword v37, v[22:23], off
	global_load_dword v38, v[24:25], off
	global_load_dword v39, v[26:27], off
	global_load_dword v40, v[28:29], off
	global_load_dword v41, v[30:31], off
	global_load_dword v42, v[32:33], off
	v_add_u32_e32 v18, s79, v79
	v_ashrrev_i32_e32 v19, 31, v18
	v_add_u32_e32 v20, s80, v79
	v_add_u32_e32 v22, s81, v79
	v_add_u32_e32 v24, s82, v79
	v_add_u32_e32 v26, s83, v79
	v_add_u32_e32 v28, s84, v79
	v_add_u32_e32 v30, s85, v79
	v_add_u32_e32 v32, s86, v79
	v_lshl_add_u64 v[18:19], v[18:19], 2, v[4:5]
	v_ashrrev_i32_e32 v21, 31, v20
	v_ashrrev_i32_e32 v23, 31, v22
	v_ashrrev_i32_e32 v25, 31, v24
	v_ashrrev_i32_e32 v27, 31, v26
	v_ashrrev_i32_e32 v29, 31, v28
	v_ashrrev_i32_e32 v31, 31, v30
	v_ashrrev_i32_e32 v33, 31, v32
	v_lshl_add_u64 v[20:21], v[20:21], 2, v[4:5]
	v_lshl_add_u64 v[22:23], v[22:23], 2, v[4:5]
	v_lshl_add_u64 v[24:25], v[24:25], 2, v[4:5]
	v_lshl_add_u64 v[26:27], v[26:27], 2, v[4:5]
	v_lshl_add_u64 v[28:29], v[28:29], 2, v[4:5]
	v_lshl_add_u64 v[30:31], v[30:31], 2, v[4:5]
	v_lshl_add_u64 v[32:33], v[32:33], 2, v[4:5]
	global_load_dword v43, v[18:19], off
	global_load_dword v44, v[20:21], off
	global_load_dword v45, v[22:23], off
	global_load_dword v46, v[24:25], off
	global_load_dword v47, v[26:27], off
	global_load_dword v48, v[28:29], off
	global_load_dword v49, v[30:31], off
	global_load_dword v52, v[32:33], off
	v_add_u32_e32 v18, s87, v79
	v_ashrrev_i32_e32 v19, 31, v18
	v_add_u32_e32 v20, s88, v79
	v_add_u32_e32 v22, s89, v79
	v_add_u32_e32 v24, s90, v79
	v_add_u32_e32 v26, s91, v79
	v_add_u32_e32 v28, s92, v79
	v_add_u32_e32 v30, s93, v79
	v_add_u32_e32 v32, s94, v79
	v_lshl_add_u64 v[18:19], v[18:19], 2, v[4:5]
	v_ashrrev_i32_e32 v21, 31, v20
	v_ashrrev_i32_e32 v23, 31, v22
	v_ashrrev_i32_e32 v25, 31, v24
	v_ashrrev_i32_e32 v27, 31, v26
	v_ashrrev_i32_e32 v29, 31, v28
	v_ashrrev_i32_e32 v31, 31, v30
	v_ashrrev_i32_e32 v33, 31, v32
	v_lshl_add_u64 v[20:21], v[20:21], 2, v[4:5]
	;; [unrolled: 32-line block ×4, first 2 shown]
	v_lshl_add_u64 v[22:23], v[22:23], 2, v[4:5]
	v_lshl_add_u64 v[24:25], v[24:25], 2, v[4:5]
	;; [unrolled: 1-line block ×6, first 2 shown]
	global_load_dword v69, v[18:19], off
	global_load_dword v70, v[20:21], off
	;; [unrolled: 1-line block ×8, first 2 shown]
	v_add_u32_e32 v18, s38, v79
	v_ashrrev_i32_e32 v19, 31, v18
	v_add_u32_e32 v20, s39, v79
	v_add_u32_e32 v22, s58, v79
	;; [unrolled: 1-line block ×5, first 2 shown]
	v_lshl_add_u64 v[18:19], v[18:19], 2, v[4:5]
	v_ashrrev_i32_e32 v21, 31, v20
	v_ashrrev_i32_e32 v23, 31, v22
	;; [unrolled: 1-line block ×5, first 2 shown]
	v_lshl_add_u64 v[20:21], v[20:21], 2, v[4:5]
	v_lshl_add_u64 v[22:23], v[22:23], 2, v[4:5]
	;; [unrolled: 1-line block ×5, first 2 shown]
	global_load_dword v86, v[18:19], off
	global_load_dword v87, v[20:21], off
	;; [unrolled: 1-line block ×6, first 2 shown]
	ds_read_b64 v[26:27], v82 offset:192
	ds_read_b64 v[22:23], v82 offset:224
	ds_read_b64 v[20:21], v82 offset:256
	ds_read_b64 v[18:19], v82 offset:288
	s_waitcnt vmcnt(47)
	ds_write_b32 v81, v34 offset:64
	s_waitcnt vmcnt(46)
	ds_write_b32 v81, v35 offset:328
	s_waitcnt vmcnt(45)
	ds_write_b32 v81, v0 offset:592
	s_waitcnt vmcnt(44)
	ds_write_b32 v81, v36 offset:856
	s_waitcnt vmcnt(43)
	ds_write_b32 v81, v37 offset:1120
	s_waitcnt vmcnt(42)
	ds_write_b32 v81, v38 offset:1384
	s_waitcnt vmcnt(41)
	ds_write_b32 v81, v39 offset:1648
	s_waitcnt vmcnt(40)
	ds_write_b32 v81, v40 offset:1912
	s_waitcnt vmcnt(39)
	ds_write_b32 v81, v41 offset:2176
	s_waitcnt vmcnt(38)
	ds_write_b32 v81, v42 offset:2440
	s_waitcnt vmcnt(37)
	ds_write_b32 v81, v43 offset:2704
	s_waitcnt vmcnt(36)
	ds_write_b32 v81, v44 offset:2968
	s_waitcnt vmcnt(35)
	ds_write_b32 v81, v45 offset:3232
	s_waitcnt vmcnt(34)
	ds_write_b32 v81, v46 offset:3496
	s_waitcnt vmcnt(33)
	ds_write_b32 v81, v47 offset:3760
	s_waitcnt vmcnt(32)
	ds_write_b32 v81, v48 offset:4024
	ds_read_b64 v[50:51], v82 offset:64
	ds_read_b64 v[46:47], v82 offset:96
	ds_read_b64 v[42:43], v82 offset:128
	ds_read_b64 v[38:39], v82 offset:160
	ds_read_b64 v[34:35], v82 offset:192
	ds_read_b64 v[30:31], v82 offset:224
	ds_read_b64 v[28:29], v82 offset:256
	ds_read_b64 v[24:25], v82 offset:288
	s_waitcnt vmcnt(31)
	ds_write_b32 v81, v49 offset:64
	s_waitcnt vmcnt(30)
	ds_write_b32 v81, v52 offset:328
	s_waitcnt vmcnt(29)
	ds_write_b32 v81, v53 offset:592
	s_waitcnt vmcnt(28)
	ds_write_b32 v81, v54 offset:856
	s_waitcnt vmcnt(27)
	ds_write_b32 v81, v55 offset:1120
	s_waitcnt vmcnt(26)
	ds_write_b32 v81, v56 offset:1384
	s_waitcnt vmcnt(25)
	ds_write_b32 v81, v57 offset:1648
	s_waitcnt vmcnt(24)
	ds_write_b32 v81, v58 offset:1912
	s_waitcnt vmcnt(23)
	ds_write_b32 v81, v59 offset:2176
	s_waitcnt vmcnt(22)
	ds_write_b32 v81, v60 offset:2440
	s_waitcnt vmcnt(21)
	ds_write_b32 v81, v61 offset:2704
	s_waitcnt vmcnt(20)
	ds_write_b32 v81, v62 offset:2968
	s_waitcnt vmcnt(19)
	ds_write_b32 v81, v63 offset:3232
	s_waitcnt vmcnt(18)
	ds_write_b32 v81, v64 offset:3496
	s_waitcnt vmcnt(17)
	ds_write_b32 v81, v65 offset:3760
	s_waitcnt vmcnt(16)
	ds_write_b32 v81, v66 offset:4024
	ds_read_b64 v[60:61], v82 offset:64
	ds_read_b64 v[56:57], v82 offset:96
	ds_read_b64 v[54:55], v82 offset:128
	ds_read_b64 v[48:49], v82 offset:160
	;; [unrolled: 40-line block ×3, first 2 shown]
	ds_read_b64 v[64:65], v82 offset:192
	ds_read_b64 v[62:63], v82 offset:224
	ds_read_b64 v[58:59], v82 offset:256
	ds_read_b64 v[52:53], v82 offset:288
	v_mov_b32_e32 v0, 0
	s_cbranch_vccnz .LBB85_58
; %bb.55:                               ;   in Loop: Header=BB85_54 Depth=1
	ds_read_b32 v0, v80
	s_waitcnt lgkmcnt(0)
	v_cmp_gt_i32_e32 vcc, 0, v0
	s_cbranch_vccnz .LBB85_57
; %bb.56:                               ;   in Loop: Header=BB85_54 Depth=1
	v_mul_lo_u32 v0, v0, s53
	v_add_u32_e32 v84, v79, v0
	v_ashrrev_i32_e32 v85, 31, v84
	v_lshl_add_u64 v[84:85], v[84:85], 2, v[6:7]
	global_load_dword v0, v[84:85], off
	s_branch .LBB85_58
.LBB85_57:                              ;   in Loop: Header=BB85_54 Depth=1
	v_mov_b32_e32 v0, 0
.LBB85_58:                              ;   in Loop: Header=BB85_54 Depth=1
	s_waitcnt vmcnt(0)
	ds_write_b32 v81, v0 offset:64
	v_mov_b32_e32 v83, 0
	s_andn2_b64 vcc, exec, s[10:11]
	v_mov_b32_e32 v0, 0
	s_cbranch_vccnz .LBB85_61
; %bb.59:                               ;   in Loop: Header=BB85_54 Depth=1
	ds_read_b32 v0, v80 offset:4
	s_waitcnt lgkmcnt(0)
	v_cmp_gt_i32_e32 vcc, 0, v0
	s_cbranch_vccnz .LBB85_64
; %bb.60:                               ;   in Loop: Header=BB85_54 Depth=1
	v_mul_lo_u32 v0, v0, s53
	v_add_u32_e32 v0, s48, v0
	v_add_u32_e32 v84, v0, v79
	v_ashrrev_i32_e32 v85, 31, v84
	v_lshl_add_u64 v[84:85], v[84:85], 2, v[6:7]
	global_load_dword v0, v[84:85], off
.LBB85_61:                              ;   in Loop: Header=BB85_54 Depth=1
	s_andn2_b64 vcc, exec, s[12:13]
	s_waitcnt vmcnt(0)
	ds_write_b32 v81, v0 offset:328
	s_cbranch_vccnz .LBB85_66
.LBB85_62:                              ;   in Loop: Header=BB85_54 Depth=1
	ds_read_b32 v0, v80 offset:8
	s_waitcnt lgkmcnt(0)
	v_cmp_gt_i32_e32 vcc, 0, v0
	s_cbranch_vccnz .LBB85_65
; %bb.63:                               ;   in Loop: Header=BB85_54 Depth=1
	v_mul_lo_u32 v0, v0, s53
	v_readlane_b32 s45, v92, 18
	s_nop 1
	v_add_u32_e32 v0, s45, v0
	v_add_u32_e32 v84, v0, v79
	v_ashrrev_i32_e32 v85, 31, v84
	v_lshl_add_u64 v[84:85], v[84:85], 2, v[6:7]
	global_load_dword v83, v[84:85], off
	s_branch .LBB85_66
.LBB85_64:                              ;   in Loop: Header=BB85_54 Depth=1
	v_mov_b32_e32 v0, 0
	s_andn2_b64 vcc, exec, s[12:13]
	ds_write_b32 v81, v0 offset:328
	s_cbranch_vccz .LBB85_62
	s_branch .LBB85_66
.LBB85_65:                              ;   in Loop: Header=BB85_54 Depth=1
	v_mov_b32_e32 v83, 0
.LBB85_66:                              ;   in Loop: Header=BB85_54 Depth=1
	s_waitcnt vmcnt(0)
	ds_write_b32 v81, v83 offset:592
	v_mov_b32_e32 v83, 0
	s_andn2_b64 vcc, exec, s[14:15]
	v_mov_b32_e32 v0, 0
	s_cbranch_vccnz .LBB85_69
; %bb.67:                               ;   in Loop: Header=BB85_54 Depth=1
	ds_read_b32 v0, v80 offset:12
	s_waitcnt lgkmcnt(0)
	v_cmp_gt_i32_e32 vcc, 0, v0
	s_cbranch_vccnz .LBB85_72
; %bb.68:                               ;   in Loop: Header=BB85_54 Depth=1
	v_mul_lo_u32 v0, v0, s53
	s_mul_i32 s45, s48, 3
	v_add_u32_e32 v0, s45, v0
	v_add_u32_e32 v84, v0, v79
	v_ashrrev_i32_e32 v85, 31, v84
	v_lshl_add_u64 v[84:85], v[84:85], 2, v[6:7]
	global_load_dword v0, v[84:85], off
.LBB85_69:                              ;   in Loop: Header=BB85_54 Depth=1
	s_andn2_b64 vcc, exec, s[16:17]
	s_waitcnt vmcnt(0)
	ds_write_b32 v81, v0 offset:856
	s_cbranch_vccnz .LBB85_74
.LBB85_70:                              ;   in Loop: Header=BB85_54 Depth=1
	ds_read_b32 v0, v80 offset:16
	s_waitcnt lgkmcnt(0)
	v_cmp_gt_i32_e32 vcc, 0, v0
	s_cbranch_vccnz .LBB85_73
; %bb.71:                               ;   in Loop: Header=BB85_54 Depth=1
	v_mul_lo_u32 v0, v0, s53
	v_readlane_b32 s45, v92, 19
	s_nop 1
	v_add_u32_e32 v0, s45, v0
	v_add_u32_e32 v84, v0, v79
	v_ashrrev_i32_e32 v85, 31, v84
	v_lshl_add_u64 v[84:85], v[84:85], 2, v[6:7]
	global_load_dword v83, v[84:85], off
	s_branch .LBB85_74
.LBB85_72:                              ;   in Loop: Header=BB85_54 Depth=1
	v_mov_b32_e32 v0, 0
	s_andn2_b64 vcc, exec, s[16:17]
	ds_write_b32 v81, v0 offset:856
	s_cbranch_vccz .LBB85_70
	s_branch .LBB85_74
.LBB85_73:                              ;   in Loop: Header=BB85_54 Depth=1
	v_mov_b32_e32 v83, 0
.LBB85_74:                              ;   in Loop: Header=BB85_54 Depth=1
	s_waitcnt vmcnt(0)
	ds_write_b32 v81, v83 offset:1120
	v_mov_b32_e32 v83, 0
	s_andn2_b64 vcc, exec, s[18:19]
	v_mov_b32_e32 v0, 0
	s_cbranch_vccnz .LBB85_77
; %bb.75:                               ;   in Loop: Header=BB85_54 Depth=1
	ds_read_b32 v0, v80 offset:20
	s_waitcnt lgkmcnt(0)
	v_cmp_gt_i32_e32 vcc, 0, v0
	s_cbranch_vccnz .LBB85_80
; %bb.76:                               ;   in Loop: Header=BB85_54 Depth=1
	v_mul_lo_u32 v0, v0, s53
	s_mul_i32 s45, s48, 5
	v_add_u32_e32 v0, s45, v0
	v_add_u32_e32 v84, v0, v79
	v_ashrrev_i32_e32 v85, 31, v84
	v_lshl_add_u64 v[84:85], v[84:85], 2, v[6:7]
	global_load_dword v0, v[84:85], off
.LBB85_77:                              ;   in Loop: Header=BB85_54 Depth=1
	s_andn2_b64 vcc, exec, s[20:21]
	s_waitcnt vmcnt(0)
	ds_write_b32 v81, v0 offset:1384
	s_cbranch_vccnz .LBB85_82
.LBB85_78:                              ;   in Loop: Header=BB85_54 Depth=1
	ds_read_b32 v0, v80 offset:24
	s_waitcnt lgkmcnt(0)
	v_cmp_gt_i32_e32 vcc, 0, v0
	s_cbranch_vccnz .LBB85_81
; %bb.79:                               ;   in Loop: Header=BB85_54 Depth=1
	v_mul_lo_u32 v0, v0, s53
	s_mul_i32 s45, s48, 6
	v_add_u32_e32 v0, s45, v0
	v_add_u32_e32 v84, v0, v79
	v_ashrrev_i32_e32 v85, 31, v84
	v_lshl_add_u64 v[84:85], v[84:85], 2, v[6:7]
	global_load_dword v83, v[84:85], off
	s_branch .LBB85_82
.LBB85_80:                              ;   in Loop: Header=BB85_54 Depth=1
	v_mov_b32_e32 v0, 0
	s_andn2_b64 vcc, exec, s[20:21]
	ds_write_b32 v81, v0 offset:1384
	s_cbranch_vccz .LBB85_78
	s_branch .LBB85_82
.LBB85_81:                              ;   in Loop: Header=BB85_54 Depth=1
	v_mov_b32_e32 v83, 0
.LBB85_82:                              ;   in Loop: Header=BB85_54 Depth=1
	s_waitcnt vmcnt(0)
	ds_write_b32 v81, v83 offset:1648
	v_mov_b32_e32 v83, 0
	s_andn2_b64 vcc, exec, s[22:23]
	v_mov_b32_e32 v0, 0
	s_cbranch_vccnz .LBB85_85
; %bb.83:                               ;   in Loop: Header=BB85_54 Depth=1
	ds_read_b32 v0, v80 offset:28
	s_waitcnt lgkmcnt(0)
	v_cmp_gt_i32_e32 vcc, 0, v0
	s_cbranch_vccnz .LBB85_88
; %bb.84:                               ;   in Loop: Header=BB85_54 Depth=1
	v_mul_lo_u32 v0, v0, s53
	s_mul_i32 s45, s48, 7
	v_add_u32_e32 v0, s45, v0
	v_add_u32_e32 v84, v0, v79
	v_ashrrev_i32_e32 v85, 31, v84
	v_lshl_add_u64 v[84:85], v[84:85], 2, v[6:7]
	global_load_dword v0, v[84:85], off
.LBB85_85:                              ;   in Loop: Header=BB85_54 Depth=1
	s_andn2_b64 vcc, exec, s[24:25]
	s_waitcnt vmcnt(0)
	ds_write_b32 v81, v0 offset:1912
	s_cbranch_vccnz .LBB85_90
.LBB85_86:                              ;   in Loop: Header=BB85_54 Depth=1
	ds_read_b32 v0, v80 offset:32
	s_waitcnt lgkmcnt(0)
	v_cmp_gt_i32_e32 vcc, 0, v0
	s_cbranch_vccnz .LBB85_89
; %bb.87:                               ;   in Loop: Header=BB85_54 Depth=1
	v_mul_lo_u32 v0, v0, s53
	v_add_u32_e32 v0, s51, v0
	v_add_u32_e32 v84, v0, v79
	v_ashrrev_i32_e32 v85, 31, v84
	v_lshl_add_u64 v[84:85], v[84:85], 2, v[6:7]
	global_load_dword v83, v[84:85], off
	s_branch .LBB85_90
.LBB85_88:                              ;   in Loop: Header=BB85_54 Depth=1
	v_mov_b32_e32 v0, 0
	s_andn2_b64 vcc, exec, s[24:25]
	ds_write_b32 v81, v0 offset:1912
	s_cbranch_vccz .LBB85_86
	s_branch .LBB85_90
.LBB85_89:                              ;   in Loop: Header=BB85_54 Depth=1
	v_mov_b32_e32 v83, 0
.LBB85_90:                              ;   in Loop: Header=BB85_54 Depth=1
	s_waitcnt vmcnt(0)
	ds_write_b32 v81, v83 offset:2176
	v_mov_b32_e32 v83, 0
	s_andn2_b64 vcc, exec, s[26:27]
	v_mov_b32_e32 v0, 0
	s_cbranch_vccnz .LBB85_93
; %bb.91:                               ;   in Loop: Header=BB85_54 Depth=1
	ds_read_b32 v0, v80 offset:36
	s_waitcnt lgkmcnt(0)
	v_cmp_gt_i32_e32 vcc, 0, v0
	s_cbranch_vccnz .LBB85_96
; %bb.92:                               ;   in Loop: Header=BB85_54 Depth=1
	v_mul_lo_u32 v0, v0, s53
	s_mul_i32 s45, s48, 9
	v_add_u32_e32 v0, s45, v0
	v_add_u32_e32 v84, v0, v79
	v_ashrrev_i32_e32 v85, 31, v84
	v_lshl_add_u64 v[84:85], v[84:85], 2, v[6:7]
	global_load_dword v0, v[84:85], off
.LBB85_93:                              ;   in Loop: Header=BB85_54 Depth=1
	s_andn2_b64 vcc, exec, s[28:29]
	s_waitcnt vmcnt(0)
	ds_write_b32 v81, v0 offset:2440
	s_cbranch_vccnz .LBB85_98
.LBB85_94:                              ;   in Loop: Header=BB85_54 Depth=1
	ds_read_b32 v0, v80 offset:40
	s_waitcnt lgkmcnt(0)
	v_cmp_gt_i32_e32 vcc, 0, v0
	s_cbranch_vccnz .LBB85_97
; %bb.95:                               ;   in Loop: Header=BB85_54 Depth=1
	v_mul_lo_u32 v0, v0, s53
	s_mul_i32 s45, s48, 10
	v_add_u32_e32 v0, s45, v0
	v_add_u32_e32 v84, v0, v79
	v_ashrrev_i32_e32 v85, 31, v84
	v_lshl_add_u64 v[84:85], v[84:85], 2, v[6:7]
	global_load_dword v83, v[84:85], off
	s_branch .LBB85_98
.LBB85_96:                              ;   in Loop: Header=BB85_54 Depth=1
	v_mov_b32_e32 v0, 0
	s_andn2_b64 vcc, exec, s[28:29]
	ds_write_b32 v81, v0 offset:2440
	s_cbranch_vccz .LBB85_94
	s_branch .LBB85_98
.LBB85_97:                              ;   in Loop: Header=BB85_54 Depth=1
	v_mov_b32_e32 v83, 0
.LBB85_98:                              ;   in Loop: Header=BB85_54 Depth=1
	s_waitcnt vmcnt(0)
	ds_write_b32 v81, v83 offset:2704
	v_mov_b32_e32 v0, 0
	s_andn2_b64 vcc, exec, s[30:31]
	v_mov_b32_e32 v83, 0
	s_cbranch_vccnz .LBB85_101
; %bb.99:                               ;   in Loop: Header=BB85_54 Depth=1
	ds_read_b32 v83, v80 offset:44
	s_waitcnt lgkmcnt(0)
	v_cmp_gt_i32_e32 vcc, 0, v83
	s_cbranch_vccnz .LBB85_104
; %bb.100:                              ;   in Loop: Header=BB85_54 Depth=1
	v_mul_lo_u32 v83, v83, s53
	s_mul_i32 s45, s48, 11
	v_add_u32_e32 v83, s45, v83
	v_add_u32_e32 v84, v83, v79
	v_ashrrev_i32_e32 v85, 31, v84
	v_lshl_add_u64 v[84:85], v[84:85], 2, v[6:7]
	global_load_dword v83, v[84:85], off
.LBB85_101:                             ;   in Loop: Header=BB85_54 Depth=1
	s_andn2_b64 vcc, exec, s[34:35]
	s_waitcnt vmcnt(0)
	ds_write_b32 v81, v83 offset:2968
	s_cbranch_vccnz .LBB85_53
.LBB85_102:                             ;   in Loop: Header=BB85_54 Depth=1
	ds_read_b32 v0, v80 offset:48
	s_waitcnt lgkmcnt(0)
	v_cmp_gt_i32_e32 vcc, 0, v0
	s_cbranch_vccz .LBB85_52
; %bb.103:                              ;   in Loop: Header=BB85_54 Depth=1
	v_mov_b32_e32 v0, 0
	s_branch .LBB85_53
.LBB85_104:                             ;   in Loop: Header=BB85_54 Depth=1
	v_mov_b32_e32 v83, 0
	s_andn2_b64 vcc, exec, s[34:35]
	ds_write_b32 v81, v83 offset:2968
	s_cbranch_vccnz .LBB85_53
	s_branch .LBB85_102
.LBB85_105:
	s_or_b64 exec, exec, s[46:47]
	v_readlane_b32 s24, v92, 10
	v_readlane_b32 s28, v92, 14
	;; [unrolled: 1-line block ×8, first 2 shown]
.LBB85_106:
	v_readlane_b32 s0, v92, 8
	v_readlane_b32 s1, v92, 9
	s_or_b64 exec, exec, s[0:1]
	v_mov_b32_e32 v1, 0x100
	v_lshl_add_u32 v0, v77, 2, v1
	v_mul_u32_u24_e32 v4, 0x408, v78
	v_and_b32_e32 v5, 0x3f0, v2
	v_add3_u32 v4, v0, v4, v5
	v_accvgpr_read_b32 v5, a13
	v_accvgpr_read_b32 v6, a12
	s_waitcnt lgkmcnt(0)
	s_barrier
	ds_write2_b32 v4, v6, v5 offset0:16 offset1:17
	v_accvgpr_read_b32 v5, a15
	v_accvgpr_read_b32 v6, a14
	ds_write2_b32 v4, v6, v5 offset0:18 offset1:19
	v_accvgpr_read_b32 v5, a9
	v_accvgpr_read_b32 v6, a8
	;; [unrolled: 3-line block ×5, first 2 shown]
	s_movk_i32 s0, 0x408
	ds_write2_b32 v4, v6, v5 offset0:50 offset1:51
	v_accvgpr_read_b32 v5, a1
	v_accvgpr_read_b32 v6, a0
	v_lshl_add_u32 v8, v2, 2, v1
	ds_write2_b32 v4, v6, v5 offset0:64 offset1:65
	v_accvgpr_read_b32 v5, a3
	v_accvgpr_read_b32 v6, a2
	v_mad_u32_u24 v1, v74, s0, v8
	ds_write2_b32 v4, v6, v5 offset0:66 offset1:67
	s_waitcnt lgkmcnt(0)
	s_barrier
	ds_read2_b32 v[6:7], v1 offset0:16 offset1:80
	ds_read2_b32 v[4:5], v1 offset0:144 offset1:208
	v_cmp_gt_u32_e32 vcc, 13, v74
	v_mov_b32_e32 v10, -1
	s_and_saveexec_b64 s[0:1], vcc
; %bb.107:
	s_movk_i32 s2, 0xff04
	v_mad_i32_i24 v0, v74, s2, v0
	ds_read_b32 v10, v0
; %bb.108:
	s_or_b64 exec, exec, s[0:1]
	s_mul_hi_i32 s1, s30, s22
	s_mul_i32 s0, s30, s22
	s_lshl_b64 s[0:1], s[0:1], 2
	v_readlane_b32 s2, v92, 6
	v_mul_hi_i32 v1, v3, s49
	v_mul_lo_u32 v0, v3, s49
	v_readlane_b32 s3, v92, 7
	s_add_u32 s0, s2, s0
	s_addc_u32 s1, s3, s1
	v_lshlrev_b64 v[0:1], 2, v[0:1]
	s_waitcnt lgkmcnt(0)
	v_cmp_lt_i32_e32 vcc, -1, v10
	v_mul_u32_u24_e32 v11, 0x408, v74
	v_add_u32_e32 v9, s7, v2
	v_lshl_add_u64 v[0:1], s[0:1], 0, v[0:1]
	s_and_b64 s[2:3], vcc, s[24:25]
	s_and_saveexec_b64 s[0:1], s[2:3]
	s_cbranch_execz .LBB85_110
; %bb.109:
	v_add_f32_e32 v2, 0, v6
	v_add_f32_e32 v2, v2, v7
	;; [unrolled: 1-line block ×4, first 2 shown]
	v_mul_lo_u32 v2, v10, s54
	v_mul_lo_u32 v3, v74, s49
	v_add3_u32 v2, v9, v3, v2
	v_mov_b32_e32 v3, 0
	v_lshl_add_u64 v[2:3], v[2:3], 2, v[0:1]
	global_store_dword v[2:3], v4, off
.LBB85_110:
	s_or_b64 exec, exec, s[0:1]
	v_add_u32_e32 v6, v11, v8
	v_add_u32_e32 v2, 0x60, v6
	ds_read2st64_b32 v[4:5], v2 offset0:16 offset1:17
	ds_read2st64_b32 v[2:3], v2 offset0:18 offset1:19
	v_cmp_gt_u32_e32 vcc, 9, v74
	v_mov_b32_e32 v7, -1
	s_and_saveexec_b64 s[0:1], vcc
; %bb.111:
	v_mov_b32_e32 v7, 0x100
	v_lshl_add_u32 v7, v74, 2, v7
	ds_read_b32 v7, v7 offset:16
; %bb.112:
	s_or_b64 exec, exec, s[0:1]
	v_readlane_b32 s0, v92, 0
	s_waitcnt lgkmcnt(0)
	v_cmp_lt_i32_e32 vcc, -1, v7
	v_readlane_b32 s1, v92, 1
	s_and_b64 s[2:3], vcc, s[0:1]
	s_and_saveexec_b64 s[0:1], s[2:3]
	s_cbranch_execz .LBB85_114
; %bb.113:
	v_add_f32_e32 v4, 0, v4
	v_add_f32_e32 v4, v4, v5
	;; [unrolled: 1-line block ×4, first 2 shown]
	v_mul_lo_u32 v2, v7, s54
	v_mul_lo_u32 v3, v75, s49
	v_add3_u32 v2, v9, v3, v2
	v_mov_b32_e32 v3, 0
	v_lshl_add_u64 v[2:3], v[2:3], 2, v[0:1]
	global_store_dword v[2:3], v4, off
.LBB85_114:
	s_or_b64 exec, exec, s[0:1]
	v_add_u32_e32 v2, 0x80, v6
	ds_read2st64_b32 v[4:5], v2 offset0:32 offset1:33
	ds_read2st64_b32 v[2:3], v2 offset0:34 offset1:35
	v_cmp_gt_u32_e32 vcc, 5, v74
	v_mov_b32_e32 v6, -1
	s_and_saveexec_b64 s[0:1], vcc
; %bb.115:
	v_mov_b32_e32 v6, 0x100
	v_lshl_add_u32 v6, v74, 2, v6
	ds_read_b32 v6, v6 offset:32
; %bb.116:
	s_or_b64 exec, exec, s[0:1]
	v_readlane_b32 s0, v92, 2
	s_waitcnt lgkmcnt(0)
	v_cmp_lt_i32_e32 vcc, -1, v6
	v_readlane_b32 s1, v92, 3
	s_and_b64 s[2:3], vcc, s[0:1]
	s_and_saveexec_b64 s[0:1], s[2:3]
	s_cbranch_execz .LBB85_118
; %bb.117:
	v_add_f32_e32 v4, 0, v4
	v_add_f32_e32 v4, v4, v5
	;; [unrolled: 1-line block ×4, first 2 shown]
	v_mul_lo_u32 v2, v6, s54
	v_mul_lo_u32 v3, v76, s49
	v_add3_u32 v2, v9, v3, v2
	v_mov_b32_e32 v3, 0
	v_lshl_add_u64 v[2:3], v[2:3], 2, v[0:1]
	global_store_dword v[2:3], v4, off
.LBB85_118:
	s_or_b64 exec, exec, s[0:1]
	v_cmp_eq_u32_e32 vcc, 0, v74
	s_and_saveexec_b64 s[0:1], vcc
	s_cbranch_execz .LBB85_121
; %bb.119:
	v_mov_b32_e32 v2, 0x100
	ds_read_b32 v2, v2 offset:48
	v_readlane_b32 s2, v92, 4
	v_readlane_b32 s3, v92, 5
	s_waitcnt lgkmcnt(0)
	v_readfirstlane_b32 s0, v2
	s_cmp_gt_i32 s0, -1
	s_cselect_b64 s[0:1], -1, 0
	s_and_b64 s[0:1], s[0:1], s[2:3]
	s_and_b64 exec, exec, s[0:1]
	s_cbranch_execz .LBB85_121
; %bb.120:
	v_add_u32_e32 v3, 0xa0, v8
	ds_read2st64_b32 v[4:5], v3 offset0:48 offset1:49
	v_mul_lo_u32 v6, v2, s54
	ds_read2st64_b32 v[2:3], v3 offset0:50 offset1:51
	s_mul_i32 s0, s49, 12
	v_add_u32_e32 v6, s0, v6
	s_waitcnt lgkmcnt(1)
	v_add_f32_e32 v4, 0, v4
	v_add_f32_e32 v4, v4, v5
	s_waitcnt lgkmcnt(0)
	v_add_f32_e32 v2, v4, v2
	v_add_f32_e32 v4, v2, v3
	v_add_u32_e32 v2, v6, v9
	v_mov_b32_e32 v3, 0
	v_lshl_add_u64 v[0:1], v[2:3], 2, v[0:1]
	global_store_dword v[0:1], v4, off
.LBB85_121:
	s_endpgm
	.section	.rodata,"a",@progbits
	.p2align	6, 0x0
	.amdhsa_kernel _ZL9mul_mat_fIfLi64ELi13ELi4ELb1EEvPKT_PKfPKiPfiiiiiiiiiiiiiiii
		.amdhsa_group_segment_fixed_size 256
		.amdhsa_private_segment_fixed_size 0
		.amdhsa_kernarg_size 352
		.amdhsa_user_sgpr_count 2
		.amdhsa_user_sgpr_dispatch_ptr 0
		.amdhsa_user_sgpr_queue_ptr 0
		.amdhsa_user_sgpr_kernarg_segment_ptr 1
		.amdhsa_user_sgpr_dispatch_id 0
		.amdhsa_user_sgpr_kernarg_preload_length 0
		.amdhsa_user_sgpr_kernarg_preload_offset 0
		.amdhsa_user_sgpr_private_segment_size 0
		.amdhsa_uses_dynamic_stack 0
		.amdhsa_enable_private_segment 0
		.amdhsa_system_sgpr_workgroup_id_x 1
		.amdhsa_system_sgpr_workgroup_id_y 1
		.amdhsa_system_sgpr_workgroup_id_z 1
		.amdhsa_system_sgpr_workgroup_info 0
		.amdhsa_system_vgpr_workitem_id 2
		.amdhsa_next_free_vgpr 112
		.amdhsa_next_free_sgpr 100
		.amdhsa_accum_offset 96
		.amdhsa_reserve_vcc 1
		.amdhsa_float_round_mode_32 0
		.amdhsa_float_round_mode_16_64 0
		.amdhsa_float_denorm_mode_32 3
		.amdhsa_float_denorm_mode_16_64 3
		.amdhsa_dx10_clamp 1
		.amdhsa_ieee_mode 1
		.amdhsa_fp16_overflow 0
		.amdhsa_tg_split 0
		.amdhsa_exception_fp_ieee_invalid_op 0
		.amdhsa_exception_fp_denorm_src 0
		.amdhsa_exception_fp_ieee_div_zero 0
		.amdhsa_exception_fp_ieee_overflow 0
		.amdhsa_exception_fp_ieee_underflow 0
		.amdhsa_exception_fp_ieee_inexact 0
		.amdhsa_exception_int_div_zero 0
	.end_amdhsa_kernel
	.section	.text._ZL9mul_mat_fIfLi64ELi13ELi4ELb1EEvPKT_PKfPKiPfiiiiiiiiiiiiiiii,"axG",@progbits,_ZL9mul_mat_fIfLi64ELi13ELi4ELb1EEvPKT_PKfPKiPfiiiiiiiiiiiiiiii,comdat
.Lfunc_end85:
	.size	_ZL9mul_mat_fIfLi64ELi13ELi4ELb1EEvPKT_PKfPKiPfiiiiiiiiiiiiiiii, .Lfunc_end85-_ZL9mul_mat_fIfLi64ELi13ELi4ELb1EEvPKT_PKfPKiPfiiiiiiiiiiiiiiii
                                        ; -- End function
	.set _ZL9mul_mat_fIfLi64ELi13ELi4ELb1EEvPKT_PKfPKiPfiiiiiiiiiiiiiiii.num_vgpr, 93
	.set _ZL9mul_mat_fIfLi64ELi13ELi4ELb1EEvPKT_PKfPKiPfiiiiiiiiiiiiiiii.num_agpr, 16
	.set _ZL9mul_mat_fIfLi64ELi13ELi4ELb1EEvPKT_PKfPKiPfiiiiiiiiiiiiiiii.numbered_sgpr, 100
	.set _ZL9mul_mat_fIfLi64ELi13ELi4ELb1EEvPKT_PKfPKiPfiiiiiiiiiiiiiiii.num_named_barrier, 0
	.set _ZL9mul_mat_fIfLi64ELi13ELi4ELb1EEvPKT_PKfPKiPfiiiiiiiiiiiiiiii.private_seg_size, 0
	.set _ZL9mul_mat_fIfLi64ELi13ELi4ELb1EEvPKT_PKfPKiPfiiiiiiiiiiiiiiii.uses_vcc, 1
	.set _ZL9mul_mat_fIfLi64ELi13ELi4ELb1EEvPKT_PKfPKiPfiiiiiiiiiiiiiiii.uses_flat_scratch, 0
	.set _ZL9mul_mat_fIfLi64ELi13ELi4ELb1EEvPKT_PKfPKiPfiiiiiiiiiiiiiiii.has_dyn_sized_stack, 0
	.set _ZL9mul_mat_fIfLi64ELi13ELi4ELb1EEvPKT_PKfPKiPfiiiiiiiiiiiiiiii.has_recursion, 0
	.set _ZL9mul_mat_fIfLi64ELi13ELi4ELb1EEvPKT_PKfPKiPfiiiiiiiiiiiiiiii.has_indirect_call, 0
	.section	.AMDGPU.csdata,"",@progbits
; Kernel info:
; codeLenInByte = 8592
; TotalNumSgprs: 106
; NumVgprs: 93
; NumAgprs: 16
; TotalNumVgprs: 112
; ScratchSize: 0
; MemoryBound: 0
; FloatMode: 240
; IeeeMode: 1
; LDSByteSize: 256 bytes/workgroup (compile time only)
; SGPRBlocks: 13
; VGPRBlocks: 13
; NumSGPRsForWavesPerEU: 106
; NumVGPRsForWavesPerEU: 112
; AccumOffset: 96
; Occupancy: 4
; WaveLimiterHint : 0
; COMPUTE_PGM_RSRC2:SCRATCH_EN: 0
; COMPUTE_PGM_RSRC2:USER_SGPR: 2
; COMPUTE_PGM_RSRC2:TRAP_HANDLER: 0
; COMPUTE_PGM_RSRC2:TGID_X_EN: 1
; COMPUTE_PGM_RSRC2:TGID_Y_EN: 1
; COMPUTE_PGM_RSRC2:TGID_Z_EN: 1
; COMPUTE_PGM_RSRC2:TIDIG_COMP_CNT: 2
; COMPUTE_PGM_RSRC3_GFX90A:ACCUM_OFFSET: 23
; COMPUTE_PGM_RSRC3_GFX90A:TG_SPLIT: 0
	.section	.text._ZL9mul_mat_fIfLi64ELi13ELi4ELb0EEvPKT_PKfPKiPfiiiiiiiiiiiiiiii,"axG",@progbits,_ZL9mul_mat_fIfLi64ELi13ELi4ELb0EEvPKT_PKfPKiPfiiiiiiiiiiiiiiii,comdat
	.globl	_ZL9mul_mat_fIfLi64ELi13ELi4ELb0EEvPKT_PKfPKiPfiiiiiiiiiiiiiiii ; -- Begin function _ZL9mul_mat_fIfLi64ELi13ELi4ELb0EEvPKT_PKfPKiPfiiiiiiiiiiiiiiii
	.p2align	8
	.type	_ZL9mul_mat_fIfLi64ELi13ELi4ELb0EEvPKT_PKfPKiPfiiiiiiiiiiiiiiii,@function
_ZL9mul_mat_fIfLi64ELi13ELi4ELb0EEvPKT_PKfPKiPfiiiiiiiiiiiiiiii: ; @_ZL9mul_mat_fIfLi64ELi13ELi4ELb0EEvPKT_PKfPKiPfiiiiiiiiiiiiiiii
; %bb.0:
	s_load_dword s5, s[0:1], 0x20
	s_load_dwordx4 s[16:19], s[0:1], 0x2c
	v_bfe_u32 v78, v0, 10, 10
	v_lshlrev_b32_e32 v80, 6, v78
	v_and_b32_e32 v79, 0x3ff, v0
	v_add_u32_e32 v82, v80, v79
	s_waitcnt lgkmcnt(0)
	s_ashr_i32 s19, s4, 31
	v_cmp_le_i32_e32 vcc, s5, v82
	v_and_b32_e32 v81, 15, v79
	s_and_saveexec_b64 s[6:7], vcc
	s_xor_b64 s[6:7], exec, s[6:7]
; %bb.1:
	v_and_b32_e32 v81, 15, v79
                                        ; implicit-def: $vgpr82
; %bb.2:
	s_or_saveexec_b64 s[24:25], s[6:7]
	s_load_dwordx8 s[8:15], s[0:1], 0x40
	s_load_dwordx2 s[6:7], s[0:1], 0x18
	s_lshl_b32 s2, s2, 6
	v_mov_b32_e32 v1, 0
	v_accvgpr_write_b32 a0, 0
	v_accvgpr_write_b32 a1, 0
	;; [unrolled: 1-line block ×16, first 2 shown]
	s_xor_b64 exec, exec, s[24:25]
	s_cbranch_execz .LBB86_6
; %bb.3:
	s_waitcnt lgkmcnt(0)
	s_abs_i32 s26, s8
	v_cvt_f32_u32_e32 v0, s26
	s_abs_i32 s27, s12
	v_cvt_f32_u32_e32 v2, s27
	s_sub_i32 s20, 0, s26
	v_rcp_iflag_f32_e32 v0, v0
	s_abs_i32 s28, s3
	v_rcp_iflag_f32_e32 v2, v2
	s_sub_i32 s21, 0, s27
	v_mul_f32_e32 v0, 0x4f7ffffe, v0
	v_cvt_u32_f32_e32 v0, v0
	v_mul_f32_e32 v2, 0x4f7ffffe, v2
	v_cvt_u32_f32_e32 v2, v2
	s_abs_i32 s29, s4
	v_mul_lo_u32 v3, s20, v0
	v_mul_hi_u32 v3, v0, v3
	v_add_u32_e32 v0, v0, v3
	v_mul_hi_u32 v0, s28, v0
	v_mul_lo_u32 v4, s21, v2
	v_mul_lo_u32 v3, v0, s26
	v_mul_hi_u32 v4, v2, v4
	v_sub_u32_e32 v3, s28, v3
	v_add_u32_e32 v2, v2, v4
	v_subrev_u32_e32 v5, s26, v3
	v_cmp_le_u32_e32 vcc, s26, v3
	v_mul_hi_u32 v2, s29, v2
	v_add_u32_e32 v4, 1, v0
	v_cndmask_b32_e32 v3, v3, v5, vcc
	v_cndmask_b32_e32 v0, v0, v4, vcc
	v_cmp_le_u32_e32 vcc, s26, v3
	v_mul_lo_u32 v3, v2, s27
	s_load_dwordx4 s[20:23], s[0:1], 0x0
	s_ashr_i32 s0, s3, 31
	s_ashr_i32 s1, s8, 31
	v_add_u32_e32 v4, 1, v0
	v_sub_u32_e32 v3, s29, v3
	s_xor_b32 s0, s0, s1
	v_cndmask_b32_e32 v0, v0, v4, vcc
	v_add_u32_e32 v4, 1, v2
	v_subrev_u32_e32 v5, s27, v3
	v_cmp_le_u32_e32 vcc, s27, v3
	v_xor_b32_e32 v0, s0, v0
	s_ashr_i32 s8, s12, 31
	v_cndmask_b32_e32 v2, v2, v4, vcc
	v_cndmask_b32_e32 v3, v3, v5, vcc
	v_subrev_u32_e32 v0, s0, v0
	v_add_u32_e32 v4, 1, v2
	v_cmp_le_u32_e32 vcc, s27, v3
	s_xor_b32 s0, s19, s8
	s_mul_i32 s8, s14, s4
	v_cndmask_b32_e32 v2, v2, v4, vcc
	v_mul_lo_u32 v4, v0, s9
	s_mul_hi_i32 s9, s14, s4
	v_xor_b32_e32 v2, s0, v2
	s_lshl_b64 s[8:9], s[8:9], 2
	v_subrev_u32_e32 v2, s0, v2
	s_mul_i32 s0, s16, s2
	s_mul_i32 s26, s10, s3
	s_waitcnt lgkmcnt(0)
	s_add_u32 s10, s22, s8
	s_addc_u32 s14, s23, s9
	s_ashr_i32 s1, s0, 31
	s_ashr_i32 s27, s26, 31
	v_mul_hi_i32 v3, v2, s13
	v_mul_lo_u32 v2, v2, s13
	s_lshl_b64 s[12:13], s[0:1], 2
	s_lshl_b64 s[26:27], s[26:27], 2
	s_add_u32 s0, s10, s26
	s_addc_u32 s1, s14, s27
	s_movk_i32 s10, 0x1080
	s_ashr_i32 s31, s16, 31
	s_mov_b32 s30, s16
	s_ashr_i32 s29, s17, 31
	s_mov_b32 s28, s17
	v_ashrrev_i32_e32 v5, 31, v4
	v_lshlrev_b64 v[8:9], 2, v[2:3]
	v_mad_u32_u24 v6, v78, s10, 0
	s_add_i32 s10, s16, s16
	s_add_i32 s14, s17, s17
	s_lshl_b32 s33, s17, 2
	s_lshl_b32 s37, s17, 3
	;; [unrolled: 1-line block ×6, first 2 shown]
	s_lshl_b64 s[30:31], s[30:31], 2
	s_lshl_b64 s[72:73], s[28:29], 2
	v_lshl_add_u64 v[2:3], s[20:21], 0, v[8:9]
	v_lshlrev_b64 v[4:5], 2, v[4:5]
	v_lshrrev_b32_e32 v10, 1, v79
	s_add_u32 s76, s22, s26
	v_lshl_add_u64 v[2:3], v[2:3], 0, v[4:5]
	v_lshlrev_b32_e32 v0, 2, v79
	v_mul_u32_u24_e32 v7, 0x108, v81
	v_and_b32_e32 v10, 0x1f8, v10
	s_addc_u32 s77, s23, s27
	v_lshl_add_u64 v[4:5], s[20:21], 0, v[4:5]
	v_lshlrev_b32_e32 v14, 8, v78
	v_mov_b32_e32 v15, v1
	v_add_u32_e32 v83, v6, v0
	v_add3_u32 v84, v6, v7, v10
	v_lshl_add_u64 v[10:11], v[4:5], 0, s[12:13]
	v_lshl_add_u64 v[6:7], s[8:9], 0, v[14:15]
	s_add_u32 s8, s76, s72
	v_lshl_add_u64 v[12:13], v[10:11], 0, s[30:31]
	s_addc_u32 s9, s77, s73
	v_lshl_add_u64 v[14:15], v[8:9], 0, v[14:15]
	v_lshl_add_u64 v[2:3], v[2:3], 0, s[12:13]
	s_mul_i32 s19, s17, 3
	s_mul_i32 s34, s17, 5
	;; [unrolled: 1-line block ×47, first 2 shown]
	v_lshl_add_u64 v[4:5], s[8:9], 0, v[6:7]
	s_mul_i32 s74, s16, 46
	s_mul_i32 s75, s16, 47
	v_lshl_add_u64 v[6:7], s[76:77], 0, v[6:7]
	s_mul_i32 s76, s16, 48
	s_mul_i32 s77, s16, 49
	v_accvgpr_write_b32 a15, 0
	v_accvgpr_write_b32 a14, 0
	;; [unrolled: 1-line block ×16, first 2 shown]
	v_lshl_add_u64 v[8:9], v[12:13], 0, v[14:15]
	v_lshl_add_u64 v[10:11], v[10:11], 0, v[14:15]
	s_mul_i32 s78, s16, 50
	s_mul_i32 s79, s16, 51
	;; [unrolled: 1-line block ×14, first 2 shown]
	s_mov_b64 s[8:9], 0
	s_mov_b64 s[12:13], 0x400
.LBB86_4:                               ; =>This Inner Loop Header: Depth=1
	v_add_u32_e32 v52, s10, v82
	v_add_u32_e32 v56, s41, v82
	;; [unrolled: 1-line block ×9, first 2 shown]
	v_lshl_add_u64 v[58:59], v[10:11], 0, v[0:1]
	v_add_u32_e32 v54, s43, v82
	v_add_u32_e32 v50, s45, v82
	;; [unrolled: 1-line block ×7, first 2 shown]
	v_lshl_add_u64 v[90:91], v[6:7], 0, v[0:1]
	v_ashrrev_i32_e32 v53, 31, v52
	v_ashrrev_i32_e32 v57, 31, v56
	;; [unrolled: 1-line block ×9, first 2 shown]
	v_lshl_add_u64 v[60:61], v[8:9], 0, v[0:1]
	v_add_u32_e32 v20, s56, v82
	v_add_u32_e32 v28, s57, v82
	v_lshl_add_u64 v[92:93], v[4:5], 0, v[0:1]
	global_load_dword v87, v[58:59], off
	global_load_dword v88, v[60:61], off
	;; [unrolled: 1-line block ×4, first 2 shown]
	v_lshl_add_u64 v[52:53], v[52:53], 2, v[2:3]
	v_lshl_add_u64 v[90:91], v[56:57], 2, v[2:3]
	v_ashrrev_i32_e32 v55, 31, v54
	v_lshl_add_u64 v[48:49], v[48:49], 2, v[2:3]
	v_ashrrev_i32_e32 v51, 31, v50
	;; [unrolled: 2-line block ×5, first 2 shown]
	v_lshl_add_u64 v[30:31], v[30:31], 2, v[2:3]
	v_lshl_add_u64 v[24:25], v[24:25], 2, v[2:3]
	;; [unrolled: 1-line block ×3, first 2 shown]
	v_ashrrev_i32_e32 v27, 31, v26
	v_ashrrev_i32_e32 v35, 31, v34
	v_add_u32_e32 v16, s58, v82
	v_add_u32_e32 v22, s59, v82
	global_load_dword v56, v[52:53], off
	global_load_dword v57, v[90:91], off
	v_lshl_add_u64 v[90:91], v[54:55], 2, v[2:3]
	global_load_dword v54, v[48:49], off
	global_load_dword v55, v[90:91], off
	v_lshl_add_u64 v[50:51], v[50:51], 2, v[2:3]
	global_load_dword v44, v[44:45], off
	s_nop 0
	global_load_dword v45, v[50:51], off
	v_lshl_add_u64 v[46:47], v[46:47], 2, v[2:3]
	global_load_dword v40, v[40:41], off
	s_nop 0
	;; [unrolled: 4-line block ×4, first 2 shown]
	global_load_dword v31, v[38:39], off
	s_nop 0
	global_load_dword v24, v[24:25], off
	s_nop 0
	global_load_dword v25, v[32:33], off
	v_lshl_add_u64 v[26:27], v[26:27], 2, v[2:3]
	v_lshl_add_u64 v[32:33], v[34:35], 2, v[2:3]
	v_ashrrev_i32_e32 v21, 31, v20
	v_ashrrev_i32_e32 v29, 31, v28
	v_add_u32_e32 v14, s60, v82
	v_add_u32_e32 v18, s61, v82
	;; [unrolled: 1-line block ×4, first 2 shown]
	global_load_dword v26, v[26:27], off
	s_nop 0
	global_load_dword v27, v[32:33], off
	v_lshl_add_u64 v[20:21], v[20:21], 2, v[2:3]
	v_lshl_add_u64 v[32:33], v[28:29], 2, v[2:3]
	v_ashrrev_i32_e32 v17, 31, v16
	v_ashrrev_i32_e32 v23, 31, v22
	v_add_u32_e32 v68, s64, v82
	v_add_u32_e32 v74, s65, v82
	global_load_dword v28, v[20:21], off
	global_load_dword v29, v[32:33], off
	v_lshl_add_u64 v[16:17], v[16:17], 2, v[2:3]
	v_lshl_add_u64 v[32:33], v[22:23], 2, v[2:3]
	v_ashrrev_i32_e32 v15, 31, v14
	v_ashrrev_i32_e32 v19, 31, v18
	;; [unrolled: 1-line block ×4, first 2 shown]
	v_add_u32_e32 v66, s66, v82
	v_add_u32_e32 v72, s67, v82
	global_load_dword v22, v[16:17], off
	global_load_dword v23, v[32:33], off
	v_lshl_add_u64 v[14:15], v[14:15], 2, v[2:3]
	v_lshl_add_u64 v[18:19], v[18:19], 2, v[2:3]
	;; [unrolled: 1-line block ×4, first 2 shown]
	v_ashrrev_i32_e32 v69, 31, v68
	v_ashrrev_i32_e32 v75, 31, v74
	v_add_u32_e32 v64, s68, v82
	v_add_u32_e32 v70, s69, v82
	global_load_dword v14, v[14:15], off
	s_nop 0
	global_load_dword v15, v[18:19], off
	s_nop 0
	global_load_dword v18, v[12:13], off
	global_load_dword v19, v[32:33], off
	v_lshl_add_u64 v[32:33], v[68:69], 2, v[2:3]
	v_lshl_add_u64 v[38:39], v[74:75], 2, v[2:3]
	v_ashrrev_i32_e32 v67, 31, v66
	v_ashrrev_i32_e32 v73, 31, v72
	v_add_u32_e32 v62, s70, v82
	v_add_u32_e32 v60, s71, v82
	global_load_dword v32, v[32:33], off
	s_nop 0
	global_load_dword v33, v[38:39], off
	v_lshl_add_u64 v[38:39], v[66:67], 2, v[2:3]
	v_lshl_add_u64 v[42:43], v[72:73], 2, v[2:3]
	v_ashrrev_i32_e32 v65, 31, v64
	v_ashrrev_i32_e32 v71, 31, v70
	v_add_u32_e32 v58, s22, v82
	v_add_u32_e32 v48, s20, v82
	;; [unrolled: 1-line block ×3, first 2 shown]
	global_load_dword v38, v[38:39], off
	s_nop 0
	global_load_dword v39, v[42:43], off
	v_lshl_add_u64 v[42:43], v[64:65], 2, v[2:3]
	v_lshl_add_u64 v[46:47], v[70:71], 2, v[2:3]
	v_ashrrev_i32_e32 v63, 31, v62
	v_ashrrev_i32_e32 v61, 31, v60
	v_add_u32_e32 v52, s23, v82
	v_add_u32_e32 v92, s26, v82
	;; [unrolled: 1-line block ×3, first 2 shown]
	global_load_dword v42, v[42:43], off
	s_nop 0
	global_load_dword v43, v[46:47], off
	v_lshl_add_u64 v[46:47], v[62:63], 2, v[2:3]
	v_lshl_add_u64 v[50:51], v[60:61], 2, v[2:3]
	v_ashrrev_i32_e32 v59, 31, v58
	v_ashrrev_i32_e32 v49, 31, v48
	;; [unrolled: 1-line block ×3, first 2 shown]
	v_add_u32_e32 v96, s28, v82
	v_add_u32_e32 v34, s30, v82
	global_load_dword v46, v[46:47], off
	s_nop 0
	global_load_dword v47, v[50:51], off
	v_ashrrev_i32_e32 v53, 31, v52
	v_lshl_add_u64 v[50:51], v[58:59], 2, v[2:3]
	v_lshl_add_u64 v[48:49], v[48:49], 2, v[2:3]
	;; [unrolled: 1-line block ×3, first 2 shown]
	v_ashrrev_i32_e32 v93, 31, v92
	v_ashrrev_i32_e32 v95, 31, v94
	v_add_u32_e32 v98, s29, v82
	v_add_u32_e32 v20, s31, v82
	;; [unrolled: 1-line block ×4, first 2 shown]
	v_lshl_add_u64 v[52:53], v[52:53], 2, v[2:3]
	global_load_dword v50, v[50:51], off
	s_nop 0
	global_load_dword v51, v[52:53], off
	global_load_dword v72, v[48:49], off
	;; [unrolled: 1-line block ×3, first 2 shown]
	v_lshl_add_u64 v[58:59], v[92:93], 2, v[2:3]
	v_lshl_add_u64 v[62:63], v[94:95], 2, v[2:3]
	v_ashrrev_i32_e32 v97, 31, v96
	v_ashrrev_i32_e32 v35, 31, v34
	v_add_u32_e32 v12, s74, v82
	v_add_u32_e32 v68, s75, v82
	global_load_dword v74, v[58:59], off
	global_load_dword v75, v[62:63], off
	v_ashrrev_i32_e32 v99, 31, v98
	v_lshl_add_u64 v[62:63], v[96:97], 2, v[2:3]
	v_ashrrev_i32_e32 v21, 31, v20
	v_lshl_add_u64 v[34:35], v[34:35], 2, v[2:3]
	v_ashrrev_i32_e32 v17, 31, v16
	v_ashrrev_i32_e32 v101, 31, v100
	v_add_u32_e32 v66, s76, v82
	v_add_u32_e32 v64, s77, v82
	v_lshl_add_u64 v[70:71], v[98:99], 2, v[2:3]
	global_load_dword v76, v[62:63], off
	global_load_dword v77, v[70:71], off
	v_lshl_add_u64 v[20:21], v[20:21], 2, v[2:3]
	global_load_dword v89, v[34:35], off
	global_load_dword v90, v[20:21], off
	v_lshl_add_u64 v[16:17], v[16:17], 2, v[2:3]
	v_lshl_add_u64 v[34:35], v[100:101], 2, v[2:3]
	v_ashrrev_i32_e32 v13, 31, v12
	v_ashrrev_i32_e32 v69, 31, v68
	v_add_u32_e32 v60, s78, v82
	v_add_u32_e32 v52, s79, v82
	;; [unrolled: 1-line block ×4, first 2 shown]
	global_load_dword v91, v[16:17], off
	global_load_dword v92, v[34:35], off
	v_lshl_add_u64 v[12:13], v[12:13], 2, v[2:3]
	v_lshl_add_u64 v[34:35], v[68:69], 2, v[2:3]
	v_ashrrev_i32_e32 v67, 31, v66
	v_ashrrev_i32_e32 v65, 31, v64
	v_add_u32_e32 v62, s82, v82
	v_add_u32_e32 v20, s83, v82
	v_add_u32_e32 v16, s84, v82
	global_load_dword v68, v[12:13], off
	global_load_dword v69, v[34:35], off
	v_add_u32_e32 v12, s85, v82
	v_lshl_add_u64 v[34:35], v[66:67], 2, v[2:3]
	v_lshl_add_u64 v[64:65], v[64:65], 2, v[2:3]
	v_ashrrev_i32_e32 v61, 31, v60
	v_ashrrev_i32_e32 v53, 31, v52
	;; [unrolled: 1-line block ×4, first 2 shown]
	global_load_dword v93, v[34:35], off
	s_nop 0
	global_load_dword v64, v[64:65], off
	v_add_u32_e32 v34, s86, v82
	v_lshl_add_u64 v[60:61], v[60:61], 2, v[2:3]
	v_lshl_add_u64 v[52:53], v[52:53], 2, v[2:3]
	;; [unrolled: 1-line block ×4, first 2 shown]
	v_ashrrev_i32_e32 v63, 31, v62
	v_ashrrev_i32_e32 v21, 31, v20
	;; [unrolled: 1-line block ×4, first 2 shown]
	global_load_dword v65, v[60:61], off
	global_load_dword v94, v[52:53], off
	v_add_u32_e32 v52, s87, v82
	global_load_dword v95, v[48:49], off
	global_load_dword v96, v[58:59], off
	v_lshl_add_u64 v[58:59], v[62:63], 2, v[2:3]
	v_lshl_add_u64 v[20:21], v[20:21], 2, v[2:3]
	v_lshl_add_u64 v[16:17], v[16:17], 2, v[2:3]
	v_lshl_add_u64 v[12:13], v[12:13], 2, v[2:3]
	v_ashrrev_i32_e32 v35, 31, v34
	v_add_u32_e32 v48, s88, v82
	global_load_dword v97, v[58:59], off
	global_load_dword v98, v[20:21], off
	v_add_u32_e32 v20, s89, v82
	global_load_dword v99, v[16:17], off
	global_load_dword v100, v[12:13], off
	v_add_u32_e32 v12, s90, v82
	v_ashrrev_i32_e32 v53, 31, v52
	v_lshl_add_u64 v[16:17], v[34:35], 2, v[2:3]
	v_lshl_add_u64 v[34:35], v[52:53], 2, v[2:3]
	global_load_dword v52, v[16:17], off
	global_load_dword v53, v[34:35], off
	v_add_u32_e32 v16, s16, v82
	v_ashrrev_i32_e32 v49, 31, v48
	v_ashrrev_i32_e32 v21, 31, v20
	;; [unrolled: 1-line block ×3, first 2 shown]
	v_lshl_add_u64 v[34:35], v[48:49], 2, v[2:3]
	v_lshl_add_u64 v[20:21], v[20:21], 2, v[2:3]
	v_ashrrev_i32_e32 v17, 31, v16
	v_lshl_add_u64 v[12:13], v[12:13], 2, v[2:3]
	global_load_dword v101, v[34:35], off
	global_load_dword v102, v[20:21], off
	v_add_u32_e32 v20, s14, v82
	v_lshl_add_u64 v[16:17], v[16:17], 2, v[2:3]
	global_load_dword v103, v[12:13], off
	global_load_dword v104, v[16:17], off
	v_add_u32_e32 v12, s19, v82
	v_ashrrev_i32_e32 v21, 31, v20
	v_ashrrev_i32_e32 v13, 31, v12
	v_lshl_add_u64 v[16:17], v[20:21], 2, s[0:1]
	v_lshl_add_u64 v[12:13], v[12:13], 2, s[0:1]
	global_load_dword v105, v[16:17], off
	global_load_dword v106, v[12:13], off
	v_add_u32_e32 v12, s33, v82
	v_ashrrev_i32_e32 v13, 31, v12
	v_lshl_add_u64 v[12:13], v[12:13], 2, s[0:1]
	global_load_dword v107, v[12:13], off
	v_add_u32_e32 v12, s34, v82
	v_ashrrev_i32_e32 v13, 31, v12
	v_lshl_add_u64 v[12:13], v[12:13], 2, s[0:1]
	;; [unrolled: 4-line block ×9, first 2 shown]
	global_load_dword v115, v[12:13], off
	s_waitcnt vmcnt(62)
	ds_write_b32 v83, v87
	ds_write_b32 v83, v88 offset:264
	ds_write_b32 v83, v56 offset:528
	;; [unrolled: 1-line block ×12, first 2 shown]
	s_waitcnt vmcnt(61)
	ds_write_b32 v83, v31 offset:3432
	s_waitcnt vmcnt(60)
	ds_write_b32 v83, v24 offset:3696
	s_waitcnt vmcnt(59)
	ds_write_b32 v83, v25 offset:3960
	ds_read_b64 v[66:67], v84
	ds_read_b64 v[54:55], v84 offset:32
	ds_read_b64 v[48:49], v84 offset:64
	ds_read_b64 v[34:35], v84 offset:96
	ds_read_b64 v[30:31], v84 offset:128
	ds_read_b64 v[20:21], v84 offset:160
	ds_read_b64 v[16:17], v84 offset:192
	ds_read_b64 v[12:13], v84 offset:224
	s_waitcnt vmcnt(58)
	ds_write_b32 v83, v26
	s_waitcnt vmcnt(57)
	ds_write_b32 v83, v27 offset:264
	s_waitcnt vmcnt(56)
	ds_write_b32 v83, v28 offset:528
	s_waitcnt vmcnt(55)
	ds_write_b32 v83, v29 offset:792
	s_waitcnt vmcnt(54)
	ds_write_b32 v83, v22 offset:1056
	s_waitcnt vmcnt(53)
	ds_write_b32 v83, v23 offset:1320
	s_waitcnt vmcnt(52)
	ds_write_b32 v83, v14 offset:1584
	s_waitcnt vmcnt(51)
	ds_write_b32 v83, v15 offset:1848
	s_waitcnt vmcnt(50)
	ds_write_b32 v83, v18 offset:2112
	s_waitcnt vmcnt(49)
	ds_write_b32 v83, v19 offset:2376
	s_waitcnt vmcnt(48)
	ds_write_b32 v83, v32 offset:2640
	s_waitcnt vmcnt(47)
	ds_write_b32 v83, v33 offset:2904
	s_waitcnt vmcnt(46)
	ds_write_b32 v83, v38 offset:3168
	s_waitcnt vmcnt(45)
	ds_write_b32 v83, v39 offset:3432
	s_waitcnt vmcnt(44)
	ds_write_b32 v83, v42 offset:3696
	s_waitcnt vmcnt(43)
	ds_write_b32 v83, v43 offset:3960
	ds_read_b64 v[70:71], v84
	ds_read_b64 v[58:59], v84 offset:32
	ds_read_b64 v[56:57], v84 offset:64
	ds_read_b64 v[42:43], v84 offset:96
	ds_read_b64 v[38:39], v84 offset:128
	ds_read_b64 v[26:27], v84 offset:160
	ds_read_b64 v[24:25], v84 offset:192
	ds_read_b64 v[14:15], v84 offset:224
	s_waitcnt vmcnt(42)
	ds_write_b32 v83, v46
	s_waitcnt vmcnt(41)
	ds_write_b32 v83, v47 offset:264
	s_waitcnt vmcnt(40)
	ds_write_b32 v83, v50 offset:528
	s_waitcnt vmcnt(39)
	ds_write_b32 v83, v51 offset:792
	s_waitcnt vmcnt(38)
	ds_write_b32 v83, v72 offset:1056
	s_waitcnt vmcnt(37)
	ds_write_b32 v83, v73 offset:1320
	s_waitcnt vmcnt(36)
	ds_write_b32 v83, v74 offset:1584
	s_waitcnt vmcnt(35)
	ds_write_b32 v83, v75 offset:1848
	s_waitcnt vmcnt(34)
	ds_write_b32 v83, v76 offset:2112
	s_waitcnt vmcnt(33)
	ds_write_b32 v83, v77 offset:2376
	s_waitcnt vmcnt(32)
	ds_write_b32 v83, v89 offset:2640
	s_waitcnt vmcnt(31)
	ds_write_b32 v83, v90 offset:2904
	s_waitcnt vmcnt(30)
	ds_write_b32 v83, v91 offset:3168
	;; [unrolled: 40-line block ×3, first 2 shown]
	s_waitcnt vmcnt(13)
	ds_write_b32 v83, v102 offset:3432
	s_waitcnt vmcnt(12)
	ds_write_b32 v83, v103 offset:3696
	;; [unrolled: 2-line block ×3, first 2 shown]
	ds_read_b64 v[74:75], v84
	ds_read_b64 v[68:69], v84 offset:32
	ds_read_b64 v[64:65], v84 offset:64
	;; [unrolled: 1-line block ×7, first 2 shown]
	ds_write_b32 v83, v85
	ds_write_b32 v83, v86 offset:264
	s_waitcnt vmcnt(10)
	ds_write_b32 v83, v105 offset:528
	s_waitcnt vmcnt(9)
	;; [unrolled: 2-line block ×11, first 2 shown]
	ds_write_b32 v83, v115 offset:3168
	ds_write_b32 v83, v1 offset:3432
	;; [unrolled: 1-line block ×4, first 2 shown]
	ds_read_b64 v[76:77], v84
	s_waitcnt lgkmcnt(0)
	v_mfma_f32_16x16x4_f32 a[12:15], v66, v76, a[12:15]
	v_add_u32_e32 v82, 0x100, v82
	v_cmp_le_i32_e32 vcc, s5, v82
	v_lshl_add_u64 v[8:9], v[8:9], 0, s[12:13]
	v_lshl_add_u64 v[10:11], v[10:11], 0, s[12:13]
	;; [unrolled: 1-line block ×3, first 2 shown]
	s_or_b64 s[8:9], vcc, s[8:9]
	v_lshl_add_u64 v[6:7], v[6:7], 0, s[12:13]
	v_mfma_f32_16x16x4_f32 a[8:11], v70, v76, a[8:11]
	v_mfma_f32_16x16x4_f32 a[4:7], v72, v76, a[4:7]
	v_mfma_f32_16x16x4_f32 a[0:3], v74, v76, a[0:3]
	v_mfma_f32_16x16x4_f32 a[12:15], v67, v77, a[12:15]
	ds_read_b64 v[66:67], v84 offset:32
	v_mfma_f32_16x16x4_f32 a[8:11], v71, v77, a[8:11]
	v_mfma_f32_16x16x4_f32 a[4:7], v73, v77, a[4:7]
	v_mfma_f32_16x16x4_f32 a[0:3], v75, v77, a[0:3]
	s_waitcnt lgkmcnt(0)
	v_mfma_f32_16x16x4_f32 a[12:15], v54, v66, a[12:15]
	v_mfma_f32_16x16x4_f32 a[8:11], v58, v66, a[8:11]
	v_mfma_f32_16x16x4_f32 a[4:7], v62, v66, a[4:7]
	v_mfma_f32_16x16x4_f32 a[0:3], v68, v66, a[0:3]
	v_mfma_f32_16x16x4_f32 a[12:15], v55, v67, a[12:15]
	ds_read_b64 v[54:55], v84 offset:64
	v_mfma_f32_16x16x4_f32 a[8:11], v59, v67, a[8:11]
	v_mfma_f32_16x16x4_f32 a[4:7], v63, v67, a[4:7]
	v_mfma_f32_16x16x4_f32 a[0:3], v69, v67, a[0:3]
	s_waitcnt lgkmcnt(0)
	v_mfma_f32_16x16x4_f32 a[12:15], v48, v54, a[12:15]
	;; [unrolled: 10-line block ×7, first 2 shown]
	v_mfma_f32_16x16x4_f32 a[8:11], v14, v16, a[8:11]
	v_mfma_f32_16x16x4_f32 a[4:7], v18, v16, a[4:7]
	;; [unrolled: 1-line block ×7, first 2 shown]
	s_andn2_b64 exec, exec, s[8:9]
	s_cbranch_execnz .LBB86_4
; %bb.5:
	s_or_b64 exec, exec, s[8:9]
.LBB86_6:
	s_or_b64 exec, exec, s[24:25]
	v_lshl_add_u32 v0, v80, 2, 0
	v_mul_u32_u24_e32 v1, 0x408, v81
	v_and_b32_e32 v2, 0x3f0, v79
	v_add3_u32 v0, v0, v1, v2
	v_accvgpr_read_b32 v1, a13
	v_accvgpr_read_b32 v2, a12
	s_waitcnt lgkmcnt(0)
	s_barrier
	ds_write2_b32 v0, v2, v1 offset1:1
	v_accvgpr_read_b32 v1, a15
	v_accvgpr_read_b32 v2, a14
	ds_write2_b32 v0, v2, v1 offset0:2 offset1:3
	v_accvgpr_read_b32 v1, a9
	v_accvgpr_read_b32 v2, a8
	ds_write2_b32 v0, v2, v1 offset0:16 offset1:17
	v_accvgpr_read_b32 v1, a11
	v_accvgpr_read_b32 v2, a10
	s_mul_hi_i32 s1, s15, s4
	s_mul_i32 s0, s15, s4
	ds_write2_b32 v0, v2, v1 offset0:18 offset1:19
	v_accvgpr_read_b32 v1, a5
	v_accvgpr_read_b32 v2, a4
	s_lshl_b64 s[0:1], s[0:1], 2
	ds_write2_b32 v0, v2, v1 offset0:32 offset1:33
	v_accvgpr_read_b32 v1, a7
	v_accvgpr_read_b32 v2, a6
	s_mul_i32 s4, s11, s3
	s_add_u32 s3, s6, s0
	ds_write2_b32 v0, v2, v1 offset0:34 offset1:35
	v_accvgpr_read_b32 v1, a1
	v_accvgpr_read_b32 v2, a0
	s_addc_u32 s6, s7, s1
	s_ashr_i32 s5, s4, 31
	ds_write2_b32 v0, v2, v1 offset0:48 offset1:49
	v_accvgpr_read_b32 v1, a3
	v_accvgpr_read_b32 v2, a2
	s_lshl_b64 s[0:1], s[4:5], 2
	s_movk_i32 s4, 0x408
	ds_write2_b32 v0, v2, v1 offset0:50 offset1:51
	v_lshl_add_u32 v1, v79, 2, 0
	v_mad_u32_u24 v10, v78, s4, v1
	s_waitcnt lgkmcnt(0)
	s_barrier
	ds_read2st64_b32 v[2:3], v10 offset1:1
	ds_read2st64_b32 v[4:5], v10 offset0:2 offset1:3
	v_add_u32_e32 v6, 32, v10
	v_add_u32_e32 v0, s2, v79
	s_add_u32 s0, s3, s0
	s_waitcnt lgkmcnt(1)
	v_add_f32_e32 v2, 0, v2
	v_add_f32_e32 v2, v2, v3
	s_waitcnt lgkmcnt(0)
	v_add_f32_e32 v2, v2, v4
	v_add_f32_e32 v11, v2, v5
	ds_read2st64_b32 v[4:5], v6 offset0:16 offset1:17
	ds_read2st64_b32 v[6:7], v6 offset0:18 offset1:19
	v_mad_u64_u32 v[2:3], s[2:3], v78, s18, v[0:1]
	s_addc_u32 s1, s6, s1
	s_waitcnt lgkmcnt(1)
	v_add_f32_e32 v4, 0, v4
	v_mov_b32_e32 v3, 0
	v_add_f32_e32 v4, v4, v5
	v_lshl_add_u64 v[8:9], v[2:3], 2, s[0:1]
	s_waitcnt lgkmcnt(0)
	v_add_f32_e32 v4, v4, v6
	v_add_u32_e32 v6, 64, v10
	global_store_dword v[8:9], v11, off
	v_add_f32_e32 v11, v4, v7
	ds_read2st64_b32 v[4:5], v6 offset0:32 offset1:33
	ds_read2st64_b32 v[6:7], v6 offset0:34 offset1:35
	s_lshl_b32 s2, s18, 2
	v_add_u32_e32 v2, s2, v2
	v_lshl_add_u64 v[8:9], v[2:3], 2, s[0:1]
	s_waitcnt lgkmcnt(1)
	v_add_f32_e32 v4, 0, v4
	v_add_f32_e32 v4, v4, v5
	s_waitcnt lgkmcnt(0)
	v_add_f32_e32 v4, v4, v6
	v_add_u32_e32 v2, s2, v2
	v_add_f32_e32 v6, v4, v7
	v_lshl_add_u64 v[4:5], v[2:3], 2, s[0:1]
	v_cmp_eq_u32_e32 vcc, 0, v78
	global_store_dword v[8:9], v11, off
	global_store_dword v[4:5], v6, off
	s_and_saveexec_b64 s[2:3], vcc
	s_cbranch_execz .LBB86_8
; %bb.7:
	v_add_u32_e32 v1, 0x60, v1
	ds_read2st64_b32 v[4:5], v1 offset0:48 offset1:49
	ds_read2st64_b32 v[6:7], v1 offset0:50 offset1:51
	v_mad_u64_u32 v[0:1], s[2:3], s18, 12, v[0:1]
	v_mov_b32_e32 v1, v3
	s_waitcnt lgkmcnt(1)
	v_add_f32_e32 v2, 0, v4
	v_add_f32_e32 v2, v2, v5
	s_waitcnt lgkmcnt(0)
	v_add_f32_e32 v2, v2, v6
	v_add_f32_e32 v2, v2, v7
	v_lshl_add_u64 v[0:1], v[0:1], 2, s[0:1]
	global_store_dword v[0:1], v2, off
.LBB86_8:
	s_endpgm
	.section	.rodata,"a",@progbits
	.p2align	6, 0x0
	.amdhsa_kernel _ZL9mul_mat_fIfLi64ELi13ELi4ELb0EEvPKT_PKfPKiPfiiiiiiiiiiiiiiii
		.amdhsa_group_segment_fixed_size 0
		.amdhsa_private_segment_fixed_size 0
		.amdhsa_kernarg_size 96
		.amdhsa_user_sgpr_count 2
		.amdhsa_user_sgpr_dispatch_ptr 0
		.amdhsa_user_sgpr_queue_ptr 0
		.amdhsa_user_sgpr_kernarg_segment_ptr 1
		.amdhsa_user_sgpr_dispatch_id 0
		.amdhsa_user_sgpr_kernarg_preload_length 0
		.amdhsa_user_sgpr_kernarg_preload_offset 0
		.amdhsa_user_sgpr_private_segment_size 0
		.amdhsa_uses_dynamic_stack 0
		.amdhsa_enable_private_segment 0
		.amdhsa_system_sgpr_workgroup_id_x 1
		.amdhsa_system_sgpr_workgroup_id_y 1
		.amdhsa_system_sgpr_workgroup_id_z 1
		.amdhsa_system_sgpr_workgroup_info 0
		.amdhsa_system_vgpr_workitem_id 1
		.amdhsa_next_free_vgpr 132
		.amdhsa_next_free_sgpr 91
		.amdhsa_accum_offset 116
		.amdhsa_reserve_vcc 1
		.amdhsa_float_round_mode_32 0
		.amdhsa_float_round_mode_16_64 0
		.amdhsa_float_denorm_mode_32 3
		.amdhsa_float_denorm_mode_16_64 3
		.amdhsa_dx10_clamp 1
		.amdhsa_ieee_mode 1
		.amdhsa_fp16_overflow 0
		.amdhsa_tg_split 0
		.amdhsa_exception_fp_ieee_invalid_op 0
		.amdhsa_exception_fp_denorm_src 0
		.amdhsa_exception_fp_ieee_div_zero 0
		.amdhsa_exception_fp_ieee_overflow 0
		.amdhsa_exception_fp_ieee_underflow 0
		.amdhsa_exception_fp_ieee_inexact 0
		.amdhsa_exception_int_div_zero 0
	.end_amdhsa_kernel
	.section	.text._ZL9mul_mat_fIfLi64ELi13ELi4ELb0EEvPKT_PKfPKiPfiiiiiiiiiiiiiiii,"axG",@progbits,_ZL9mul_mat_fIfLi64ELi13ELi4ELb0EEvPKT_PKfPKiPfiiiiiiiiiiiiiiii,comdat
.Lfunc_end86:
	.size	_ZL9mul_mat_fIfLi64ELi13ELi4ELb0EEvPKT_PKfPKiPfiiiiiiiiiiiiiiii, .Lfunc_end86-_ZL9mul_mat_fIfLi64ELi13ELi4ELb0EEvPKT_PKfPKiPfiiiiiiiiiiiiiiii
                                        ; -- End function
	.set _ZL9mul_mat_fIfLi64ELi13ELi4ELb0EEvPKT_PKfPKiPfiiiiiiiiiiiiiiii.num_vgpr, 116
	.set _ZL9mul_mat_fIfLi64ELi13ELi4ELb0EEvPKT_PKfPKiPfiiiiiiiiiiiiiiii.num_agpr, 16
	.set _ZL9mul_mat_fIfLi64ELi13ELi4ELb0EEvPKT_PKfPKiPfiiiiiiiiiiiiiiii.numbered_sgpr, 91
	.set _ZL9mul_mat_fIfLi64ELi13ELi4ELb0EEvPKT_PKfPKiPfiiiiiiiiiiiiiiii.num_named_barrier, 0
	.set _ZL9mul_mat_fIfLi64ELi13ELi4ELb0EEvPKT_PKfPKiPfiiiiiiiiiiiiiiii.private_seg_size, 0
	.set _ZL9mul_mat_fIfLi64ELi13ELi4ELb0EEvPKT_PKfPKiPfiiiiiiiiiiiiiiii.uses_vcc, 1
	.set _ZL9mul_mat_fIfLi64ELi13ELi4ELb0EEvPKT_PKfPKiPfiiiiiiiiiiiiiiii.uses_flat_scratch, 0
	.set _ZL9mul_mat_fIfLi64ELi13ELi4ELb0EEvPKT_PKfPKiPfiiiiiiiiiiiiiiii.has_dyn_sized_stack, 0
	.set _ZL9mul_mat_fIfLi64ELi13ELi4ELb0EEvPKT_PKfPKiPfiiiiiiiiiiiiiiii.has_recursion, 0
	.set _ZL9mul_mat_fIfLi64ELi13ELi4ELb0EEvPKT_PKfPKiPfiiiiiiiiiiiiiiii.has_indirect_call, 0
	.section	.AMDGPU.csdata,"",@progbits
; Kernel info:
; codeLenInByte = 5504
; TotalNumSgprs: 97
; NumVgprs: 116
; NumAgprs: 16
; TotalNumVgprs: 132
; ScratchSize: 0
; MemoryBound: 0
; FloatMode: 240
; IeeeMode: 1
; LDSByteSize: 0 bytes/workgroup (compile time only)
; SGPRBlocks: 12
; VGPRBlocks: 16
; NumSGPRsForWavesPerEU: 97
; NumVGPRsForWavesPerEU: 132
; AccumOffset: 116
; Occupancy: 3
; WaveLimiterHint : 0
; COMPUTE_PGM_RSRC2:SCRATCH_EN: 0
; COMPUTE_PGM_RSRC2:USER_SGPR: 2
; COMPUTE_PGM_RSRC2:TRAP_HANDLER: 0
; COMPUTE_PGM_RSRC2:TGID_X_EN: 1
; COMPUTE_PGM_RSRC2:TGID_Y_EN: 1
; COMPUTE_PGM_RSRC2:TGID_Z_EN: 1
; COMPUTE_PGM_RSRC2:TIDIG_COMP_CNT: 1
; COMPUTE_PGM_RSRC3_GFX90A:ACCUM_OFFSET: 28
; COMPUTE_PGM_RSRC3_GFX90A:TG_SPLIT: 0
	.section	.text._ZL13mul_mat_f_idsIfLi64ELi13ELi5EEvPKT_PKfPKiS6_S6_Pfiiiiiiiiiiiiii15HIP_vector_typeIjLj3EES9_,"axG",@progbits,_ZL13mul_mat_f_idsIfLi64ELi13ELi5EEvPKT_PKfPKiS6_S6_Pfiiiiiiiiiiiiii15HIP_vector_typeIjLj3EES9_,comdat
	.globl	_ZL13mul_mat_f_idsIfLi64ELi13ELi5EEvPKT_PKfPKiS6_S6_Pfiiiiiiiiiiiiii15HIP_vector_typeIjLj3EES9_ ; -- Begin function _ZL13mul_mat_f_idsIfLi64ELi13ELi5EEvPKT_PKfPKiS6_S6_Pfiiiiiiiiiiiiii15HIP_vector_typeIjLj3EES9_
	.p2align	8
	.type	_ZL13mul_mat_f_idsIfLi64ELi13ELi5EEvPKT_PKfPKiS6_S6_Pfiiiiiiiiiiiiii15HIP_vector_typeIjLj3EES9_,@function
_ZL13mul_mat_f_idsIfLi64ELi13ELi5EEvPKT_PKfPKiS6_S6_Pfiiiiiiiiiiiiii15HIP_vector_typeIjLj3EES9_: ; @_ZL13mul_mat_f_idsIfLi64ELi13ELi5EEvPKT_PKfPKiS6_S6_Pfiiiiiiiiiiiiii15HIP_vector_typeIjLj3EES9_
; %bb.0:
	s_load_dwordx2 s[6:7], s[0:1], 0x20
	s_mov_b32 s34, s3
	s_ashr_i32 s35, s3, 31
	s_lshl_b64 s[8:9], s[34:35], 2
	s_waitcnt lgkmcnt(0)
	s_add_u32 s6, s6, s8
	s_addc_u32 s7, s7, s9
	s_load_dwordx2 s[30:31], s[6:7], 0x0
	s_waitcnt lgkmcnt(0)
	s_sub_i32 s26, s31, s30
	s_add_i32 s3, s26, 12
	s_mul_hi_i32 s3, s3, 0x4ec4ec4f
	s_lshr_b32 s5, s3, 31
	s_ashr_i32 s3, s3, 2
	s_add_i32 s3, s3, s5
	s_cmp_ge_i32 s4, s3
	s_cbranch_scc1 .LBB87_56
; %bb.1:
	v_bfe_u32 v16, v0, 10, 10
	v_lshlrev_b32_e32 v86, 6, v16
	v_and_b32_e32 v17, 0x3ff, v0
	s_load_dwordx4 s[12:15], s[0:1], 0x30
	s_load_dwordx2 s[20:21], s[0:1], 0x40
	s_load_dwordx4 s[8:11], s[0:1], 0x4c
	s_load_dwordx4 s[16:19], s[0:1], 0x68
	s_load_dwordx2 s[24:25], s[0:1], 0x78
	v_add_u32_e32 v88, v86, v17
	s_ashr_i32 s31, s30, 31
	s_waitcnt lgkmcnt(0)
	v_cmp_le_i32_e32 vcc, s12, v88
	v_and_b32_e32 v87, 15, v17
	s_and_saveexec_b64 s[6:7], vcc
	s_xor_b64 s[6:7], exec, s[6:7]
; %bb.2:
	v_and_b32_e32 v87, 15, v17
                                        ; implicit-def: $vgpr88
; %bb.3:
	s_or_saveexec_b64 s[36:37], s[6:7]
	s_load_dwordx2 s[22:23], s[0:1], 0x18
	s_load_dwordx2 s[6:7], s[0:1], 0x28
                                        ; implicit-def: $vgpr106 : SGPR spill to VGPR lane
	v_mov_b32_e32 v11, 0
	s_lshl_b32 s11, s2, 6
	s_mul_i32 s28, s4, 13
	v_mov_b32_e32 v10, v11
	s_waitcnt lgkmcnt(0)
	v_writelane_b32 v106, s6, 0
	v_mov_b32_e32 v9, v11
	v_mov_b32_e32 v8, v11
	;; [unrolled: 1-line block ×14, first 2 shown]
	v_writelane_b32 v106, s7, 1
	s_xor_b64 exec, exec, s[36:37]
	s_cbranch_execz .LBB87_46
; %bb.4:
	s_load_dwordx4 s[4:7], s[0:1], 0x0
	s_load_dwordx2 s[2:3], s[0:1], 0x10
	v_writelane_b32 v106, s36, 2
	s_mul_i32 s0, s8, s34
	s_ashr_i32 s1, s0, 31
	v_writelane_b32 v106, s37, 3
	v_writelane_b32 v106, s22, 4
	s_lshl_b64 s[64:65], s[0:1], 2
	s_waitcnt lgkmcnt(0)
	s_add_u32 s0, s4, s64
	v_writelane_b32 v106, s23, 5
	s_mul_i32 s22, s15, s11
	v_writelane_b32 v106, s24, 6
	s_addc_u32 s1, s5, s65
	s_ashr_i32 s23, s22, 31
	v_writelane_b32 v106, s25, 7
	s_lshl_b64 s[66:67], s[22:23], 2
	v_writelane_b32 v106, s11, 8
	s_add_u32 s0, s0, s66
	s_addc_u32 s1, s1, s67
	v_writelane_b32 v106, s30, 9
	s_lshl_b64 s[22:23], s[30:31], 2
	s_add_u32 s8, s2, s22
	s_addc_u32 s11, s3, s23
	s_movk_i32 s2, 0x1080
	s_cmp_lt_i32 s28, s26
	v_writelane_b32 v106, s31, 10
	v_mad_u32_u24 v1, v16, s2, 0
	s_cselect_b64 s[2:3], -1, 0
	v_writelane_b32 v106, s2, 11
	s_ashr_i32 s29, s28, 31
	s_mov_b32 s22, s15
	v_writelane_b32 v106, s3, 12
	s_lshl_b64 s[2:3], s[28:29], 2
	s_add_u32 s36, s8, s2
	s_addc_u32 s37, s11, s3
	s_add_i32 s2, s28, 1
	s_cmp_lt_i32 s2, s26
	s_cselect_b64 s[2:3], -1, 0
	v_writelane_b32 v106, s2, 13
	v_lshrrev_b32_e32 v3, 1, v17
	v_lshlrev_b32_e32 v0, 2, v17
	v_writelane_b32 v106, s3, 14
	s_add_i32 s2, s28, 2
	s_cmp_lt_i32 s2, s26
	s_cselect_b64 s[2:3], -1, 0
	v_writelane_b32 v106, s2, 15
	v_mul_u32_u24_e32 v2, 0x108, v87
	v_and_b32_e32 v3, 0x1f8, v3
	v_writelane_b32 v106, s3, 16
	s_add_i32 s2, s28, 3
	s_cmp_lt_i32 s2, s26
	s_cselect_b64 s[2:3], -1, 0
	v_writelane_b32 v106, s2, 17
	v_lshlrev_b32_e32 v18, 8, v16
	v_mov_b32_e32 v19, 0
	v_writelane_b32 v106, s3, 18
	s_add_i32 s2, s28, 4
	s_cmp_lt_i32 s2, s26
	s_cselect_b64 s[2:3], -1, 0
	v_writelane_b32 v106, s2, 19
	v_add_u32_e32 v89, v1, v0
	v_add3_u32 v90, v1, v2, v3
	v_writelane_b32 v106, s3, 20
	s_add_i32 s2, s28, 5
	s_cmp_lt_i32 s2, s26
	s_cselect_b64 s[2:3], -1, 0
	v_writelane_b32 v106, s2, 21
	v_mov_b32_e32 v1, v19
	s_mul_i32 s8, s15, 3
	v_writelane_b32 v106, s3, 22
	s_add_i32 s2, s28, 6
	s_cmp_lt_i32 s2, s26
	s_cselect_b64 s[48:49], -1, 0
	s_add_i32 s2, s28, 7
	s_cmp_lt_i32 s2, s26
	s_cselect_b64 s[50:51], -1, 0
	;; [unrolled: 3-line block ×5, first 2 shown]
	s_add_i32 s2, s28, 11
	s_cmp_lt_i32 s2, s26
	s_mov_b32 s2, s28
	v_writelane_b32 v106, s2, 23
	s_cselect_b64 s[58:59], -1, 0
	s_mul_i32 s69, s15, 5
	v_writelane_b32 v106, s3, 24
	s_add_i32 s2, s28, 12
	s_cmp_lt_i32 s2, s26
	s_cselect_b64 s[60:61], -1, 0
	s_ashr_i32 s23, s15, 31
	s_add_i32 s3, s15, s15
	s_lshl_b32 s68, s15, 2
	s_lshl_b32 s72, s15, 3
	;; [unrolled: 1-line block ×4, first 2 shown]
	s_lshl_b64 s[62:63], s[22:23], 2
	s_add_u32 s22, s64, s66
	s_addc_u32 s23, s65, s67
	v_lshl_add_u64 v[2:3], s[22:23], 0, v[18:19]
	v_lshl_add_u64 v[0:1], v[2:3], 0, v[0:1]
	v_writelane_b32 v106, s26, 25
	s_mul_i32 s70, s15, 6
	s_mul_i32 s71, s15, 7
	;; [unrolled: 1-line block ×21, first 2 shown]
	v_lshl_add_u64 v[20:21], s[4:5], 0, v[0:1]
	v_mov_b32_e32 v12, 0
	v_mov_b32_e32 v13, v19
	;; [unrolled: 1-line block ×16, first 2 shown]
	s_mul_i32 s90, s15, 29
	s_mul_i32 s91, s15, 30
	;; [unrolled: 1-line block ×34, first 2 shown]
	s_mov_b64 s[4:5], 0
	s_branch .LBB87_6
.LBB87_5:                               ;   in Loop: Header=BB87_6 Depth=1
	s_waitcnt vmcnt(0)
	ds_write2_b32 v89, v18, v92 offset1:66
	ds_write2_b32 v89, v91, v94 offset0:132 offset1:198
	v_add_u32_e32 v18, 0x400, v89
	ds_write2_b32 v18, v93, v96 offset0:8 offset1:74
	ds_write2_b32 v18, v95, v98 offset0:140 offset1:206
	v_add_u32_e32 v18, 0x800, v89
	ds_write2_b32 v18, v97, v100 offset0:16 offset1:82
	ds_write2_b32 v18, v99, v102 offset0:148 offset1:214
	v_add_u32_e32 v18, 0xc00, v89
	ds_write2_b32 v18, v101, v19 offset0:24 offset1:90
	ds_write2_b32 v18, v19, v19 offset0:156 offset1:222
	ds_read2_b64 v[92:95], v90 offset1:4
	v_add_u32_e32 v88, 0x140, v88
	s_waitcnt lgkmcnt(0)
	v_mfma_f32_16x16x4_f32 v[8:11], v52, v92, v[8:11]
	s_mov_b64 vcc, 0x500
	v_lshl_add_u64 v[20:21], v[20:21], 0, vcc
	v_cmp_le_i32_e32 vcc, s12, v88
	s_or_b64 s[4:5], vcc, s[4:5]
	v_mfma_f32_16x16x4_f32 v[4:7], v64, v92, v[4:7]
	v_mfma_f32_16x16x4_f32 v[0:3], v78, v92, v[0:3]
	;; [unrolled: 1-line block ×15, first 2 shown]
	ds_read2_b64 v[82:85], v90 offset0:8 offset1:12
	s_waitcnt lgkmcnt(0)
	v_mfma_f32_16x16x4_f32 v[8:11], v38, v82, v[8:11]
	v_mfma_f32_16x16x4_f32 v[4:7], v56, v82, v[4:7]
	v_mfma_f32_16x16x4_f32 v[0:3], v68, v82, v[0:3]
	v_mfma_f32_16x16x4_f32 v[12:15], v80, v82, v[12:15]
	v_mfma_f32_16x16x4_f32 v[8:11], v39, v83, v[8:11]
	v_mfma_f32_16x16x4_f32 v[4:7], v57, v83, v[4:7]
	v_mfma_f32_16x16x4_f32 v[0:3], v69, v83, v[0:3]
	v_mfma_f32_16x16x4_f32 v[12:15], v81, v83, v[12:15]
	v_mfma_f32_16x16x4_f32 v[8:11], v34, v84, v[8:11]
	v_mfma_f32_16x16x4_f32 v[4:7], v50, v84, v[4:7]
	v_mfma_f32_16x16x4_f32 v[0:3], v62, v84, v[0:3]
	v_mfma_f32_16x16x4_f32 v[12:15], v76, v84, v[12:15]
	v_mfma_f32_16x16x4_f32 v[8:11], v35, v85, v[8:11]
	v_mfma_f32_16x16x4_f32 v[4:7], v51, v85, v[4:7]
	ds_read2_b64 v[50:53], v90 offset0:16 offset1:20
	v_mfma_f32_16x16x4_f32 v[0:3], v63, v85, v[0:3]
	v_mfma_f32_16x16x4_f32 v[12:15], v77, v85, v[12:15]
	s_waitcnt lgkmcnt(0)
	v_mfma_f32_16x16x4_f32 v[8:11], v30, v50, v[8:11]
	v_mfma_f32_16x16x4_f32 v[4:7], v42, v50, v[4:7]
	;; [unrolled: 1-line block ×14, first 2 shown]
	ds_read2_b64 v[34:37], v90 offset0:24 offset1:28
	v_mfma_f32_16x16x4_f32 v[0:3], v55, v53, v[0:3]
	v_mfma_f32_16x16x4_f32 v[12:15], v71, v53, v[12:15]
	s_waitcnt lgkmcnt(0)
	v_mfma_f32_16x16x4_f32 v[8:11], v24, v34, v[8:11]
	v_mfma_f32_16x16x4_f32 v[4:7], v32, v34, v[4:7]
	v_mfma_f32_16x16x4_f32 v[0:3], v46, v34, v[0:3]
	v_mfma_f32_16x16x4_f32 v[12:15], v66, v34, v[12:15]
	v_mfma_f32_16x16x4_f32 v[8:11], v25, v35, v[8:11]
	v_mfma_f32_16x16x4_f32 v[4:7], v33, v35, v[4:7]
	v_mfma_f32_16x16x4_f32 v[0:3], v47, v35, v[0:3]
	v_mfma_f32_16x16x4_f32 v[12:15], v67, v35, v[12:15]
	v_mfma_f32_16x16x4_f32 v[8:11], v22, v36, v[8:11]
	v_mfma_f32_16x16x4_f32 v[4:7], v28, v36, v[4:7]
	v_mfma_f32_16x16x4_f32 v[0:3], v40, v36, v[0:3]
	v_mfma_f32_16x16x4_f32 v[12:15], v48, v36, v[12:15]
	v_mfma_f32_16x16x4_f32 v[8:11], v23, v37, v[8:11]
	v_mfma_f32_16x16x4_f32 v[4:7], v29, v37, v[4:7]
	v_mfma_f32_16x16x4_f32 v[0:3], v41, v37, v[0:3]
	v_mfma_f32_16x16x4_f32 v[12:15], v49, v37, v[12:15]
	s_andn2_b64 exec, exec, s[4:5]
	s_cbranch_execz .LBB87_45
.LBB87_6:                               ; =>This Inner Loop Header: Depth=1
	v_lshl_add_u64 v[22:23], v[20:21], 0, s[62:63]
	global_load_dword v18, v[20:21], off
	global_load_dword v48, v[22:23], off
	v_add_u32_e32 v22, s3, v88
	v_ashrrev_i32_e32 v23, 31, v22
	v_add_u32_e32 v24, s8, v88
	v_add_u32_e32 v26, s68, v88
	;; [unrolled: 1-line block ×5, first 2 shown]
	v_lshl_add_u64 v[22:23], v[22:23], 2, s[0:1]
	v_ashrrev_i32_e32 v25, 31, v24
	v_ashrrev_i32_e32 v27, 31, v26
	;; [unrolled: 1-line block ×5, first 2 shown]
	v_lshl_add_u64 v[24:25], v[24:25], 2, s[0:1]
	v_lshl_add_u64 v[26:27], v[26:27], 2, s[0:1]
	;; [unrolled: 1-line block ×5, first 2 shown]
	global_load_dword v49, v[22:23], off
	global_load_dword v50, v[24:25], off
	;; [unrolled: 1-line block ×6, first 2 shown]
	v_add_u32_e32 v22, s72, v88
	v_add_u32_e32 v40, s81, v88
	;; [unrolled: 1-line block ×10, first 2 shown]
	v_ashrrev_i32_e32 v23, 31, v22
	v_ashrrev_i32_e32 v41, 31, v40
	;; [unrolled: 1-line block ×10, first 2 shown]
	v_lshl_add_u64 v[22:23], v[22:23], 2, s[0:1]
	v_lshl_add_u64 v[40:41], v[40:41], 2, s[0:1]
	v_add_u32_e32 v42, s82, v88
	v_add_u32_e32 v46, s84, v88
	v_lshl_add_u64 v[24:25], v[24:25], 2, s[0:1]
	v_lshl_add_u64 v[26:27], v[26:27], 2, s[0:1]
	;; [unrolled: 1-line block ×8, first 2 shown]
	global_load_dword v55, v[22:23], off
	global_load_dword v56, v[24:25], off
	;; [unrolled: 1-line block ×9, first 2 shown]
	s_nop 0
	global_load_dword v40, v[40:41], off
	v_add_u32_e32 v22, s64, v88
	v_add_u32_e32 v44, s83, v88
	v_ashrrev_i32_e32 v43, 31, v42
	v_ashrrev_i32_e32 v47, 31, v46
	;; [unrolled: 1-line block ×3, first 2 shown]
	v_add_u32_e32 v24, s65, v88
	v_add_u32_e32 v26, s66, v88
	;; [unrolled: 1-line block ×4, first 2 shown]
	v_ashrrev_i32_e32 v45, 31, v44
	v_lshl_add_u64 v[42:43], v[42:43], 2, s[0:1]
	v_lshl_add_u64 v[46:47], v[46:47], 2, s[0:1]
	;; [unrolled: 1-line block ×3, first 2 shown]
	v_ashrrev_i32_e32 v25, 31, v24
	v_ashrrev_i32_e32 v27, 31, v26
	;; [unrolled: 1-line block ×4, first 2 shown]
	v_lshl_add_u64 v[44:45], v[44:45], 2, s[0:1]
	v_lshl_add_u64 v[24:25], v[24:25], 2, s[0:1]
	;; [unrolled: 1-line block ×5, first 2 shown]
	v_add_u32_e32 v32, s92, v88
	v_add_u32_e32 v34, s85, v88
	;; [unrolled: 1-line block ×3, first 2 shown]
	v_ashrrev_i32_e32 v33, 31, v32
	v_ashrrev_i32_e32 v35, 31, v34
	;; [unrolled: 1-line block ×3, first 2 shown]
	v_lshl_add_u64 v[32:33], v[32:33], 2, s[0:1]
	s_waitcnt vmcnt(17)
	ds_write_b32 v89, v18
	s_waitcnt vmcnt(16)
	ds_write_b32 v89, v48 offset:264
	s_waitcnt vmcnt(15)
	ds_write_b32 v89, v49 offset:528
	;; [unrolled: 2-line block ×7, first 2 shown]
	global_load_dword v18, v[42:43], off
	global_load_dword v41, v[44:45], off
	s_nop 0
	global_load_dword v42, v[46:47], off
	global_load_dword v43, v[22:23], off
	s_nop 0
	global_load_dword v46, v[24:25], off
	global_load_dword v47, v[26:27], off
	;; [unrolled: 1-line block ×4, first 2 shown]
	v_add_u32_e32 v22, s87, v88
	v_ashrrev_i32_e32 v23, 31, v22
	v_add_u32_e32 v24, s88, v88
	v_add_u32_e32 v26, s89, v88
	;; [unrolled: 1-line block ×4, first 2 shown]
	v_lshl_add_u64 v[22:23], v[22:23], 2, s[0:1]
	v_ashrrev_i32_e32 v25, 31, v24
	v_ashrrev_i32_e32 v27, 31, v26
	;; [unrolled: 1-line block ×4, first 2 shown]
	v_lshl_add_u64 v[24:25], v[24:25], 2, s[0:1]
	v_lshl_add_u64 v[26:27], v[26:27], 2, s[0:1]
	v_lshl_add_u64 v[28:29], v[28:29], 2, s[0:1]
	v_lshl_add_u64 v[30:31], v[30:31], 2, s[0:1]
	v_lshl_add_u64 v[34:35], v[34:35], 2, s[0:1]
	v_lshl_add_u64 v[36:37], v[36:37], 2, s[0:1]
	global_load_dword v50, v[22:23], off
	global_load_dword v51, v[24:25], off
	global_load_dword v54, v[26:27], off
	global_load_dword v64, v[28:29], off
	global_load_dword v65, v[30:31], off
	global_load_dword v66, v[32:33], off
	global_load_dword v67, v[34:35], off
	global_load_dword v68, v[36:37], off
	v_add_u32_e32 v22, s94, v88
	v_ashrrev_i32_e32 v23, 31, v22
	v_add_u32_e32 v24, s95, v88
	v_add_u32_e32 v26, s96, v88
	v_add_u32_e32 v28, s97, v88
	v_add_u32_e32 v30, s98, v88
	v_add_u32_e32 v32, s99, v88
	v_add_u32_e32 v34, s24, v88
	v_add_u32_e32 v36, s25, v88
	v_lshl_add_u64 v[22:23], v[22:23], 2, s[0:1]
	v_ashrrev_i32_e32 v25, 31, v24
	v_ashrrev_i32_e32 v27, 31, v26
	v_ashrrev_i32_e32 v29, 31, v28
	v_ashrrev_i32_e32 v31, 31, v30
	v_ashrrev_i32_e32 v33, 31, v32
	v_ashrrev_i32_e32 v35, 31, v34
	v_ashrrev_i32_e32 v37, 31, v36
	v_lshl_add_u64 v[24:25], v[24:25], 2, s[0:1]
	v_lshl_add_u64 v[26:27], v[26:27], 2, s[0:1]
	v_lshl_add_u64 v[28:29], v[28:29], 2, s[0:1]
	v_lshl_add_u64 v[30:31], v[30:31], 2, s[0:1]
	v_lshl_add_u64 v[32:33], v[32:33], 2, s[0:1]
	v_lshl_add_u64 v[34:35], v[34:35], 2, s[0:1]
	v_lshl_add_u64 v[36:37], v[36:37], 2, s[0:1]
	global_load_dword v69, v[22:23], off
	global_load_dword v70, v[24:25], off
	global_load_dword v71, v[26:27], off
	global_load_dword v72, v[28:29], off
	global_load_dword v73, v[30:31], off
	global_load_dword v74, v[32:33], off
	global_load_dword v75, v[34:35], off
	global_load_dword v76, v[36:37], off
	v_add_u32_e32 v22, s11, v88
	v_ashrrev_i32_e32 v23, 31, v22
	v_add_u32_e32 v24, s22, v88
	v_add_u32_e32 v26, s23, v88
	v_add_u32_e32 v28, s28, v88
	v_add_u32_e32 v30, s29, v88
	v_add_u32_e32 v32, s30, v88
	v_add_u32_e32 v34, s31, v88
	v_add_u32_e32 v36, s26, v88
	v_lshl_add_u64 v[22:23], v[22:23], 2, s[0:1]
	v_ashrrev_i32_e32 v25, 31, v24
	v_ashrrev_i32_e32 v27, 31, v26
	v_ashrrev_i32_e32 v29, 31, v28
	v_ashrrev_i32_e32 v31, 31, v30
	v_ashrrev_i32_e32 v33, 31, v32
	v_ashrrev_i32_e32 v35, 31, v34
	v_ashrrev_i32_e32 v37, 31, v36
	v_lshl_add_u64 v[24:25], v[24:25], 2, s[0:1]
	;; [unrolled: 32-line block ×3, first 2 shown]
	v_lshl_add_u64 v[26:27], v[26:27], 2, s[0:1]
	v_lshl_add_u64 v[28:29], v[28:29], 2, s[0:1]
	;; [unrolled: 1-line block ×6, first 2 shown]
	global_load_dword v85, v[22:23], off
	global_load_dword v91, v[24:25], off
	;; [unrolled: 1-line block ×8, first 2 shown]
	v_add_u32_e32 v22, s41, v88
	v_ashrrev_i32_e32 v23, 31, v22
	v_add_u32_e32 v24, s42, v88
	v_add_u32_e32 v26, s43, v88
	;; [unrolled: 1-line block ×5, first 2 shown]
	v_lshl_add_u64 v[22:23], v[22:23], 2, s[0:1]
	v_ashrrev_i32_e32 v25, 31, v24
	v_ashrrev_i32_e32 v27, 31, v26
	;; [unrolled: 1-line block ×5, first 2 shown]
	v_lshl_add_u64 v[24:25], v[24:25], 2, s[0:1]
	v_lshl_add_u64 v[26:27], v[26:27], 2, s[0:1]
	;; [unrolled: 1-line block ×5, first 2 shown]
	global_load_dword v98, v[22:23], off
	global_load_dword v99, v[24:25], off
	;; [unrolled: 1-line block ×6, first 2 shown]
	s_waitcnt vmcnt(55)
	ds_write_b32 v89, v55 offset:2112
	s_waitcnt vmcnt(54)
	ds_write_b32 v89, v56 offset:2376
	s_waitcnt vmcnt(53)
	ds_write_b32 v89, v57 offset:2640
	s_waitcnt vmcnt(52)
	ds_write_b32 v89, v58 offset:2904
	s_waitcnt vmcnt(51)
	ds_write_b32 v89, v59 offset:3168
	s_waitcnt vmcnt(50)
	ds_write_b32 v89, v60 offset:3432
	s_waitcnt vmcnt(49)
	ds_write_b32 v89, v61 offset:3696
	s_waitcnt vmcnt(48)
	ds_write_b32 v89, v62 offset:3960
	ds_read_b64 v[52:53], v90
	ds_read_b64 v[44:45], v90 offset:32
	ds_read_b64 v[38:39], v90 offset:64
	ds_read_b64 v[34:35], v90 offset:96
	ds_read_b64 v[30:31], v90 offset:128
	ds_read_b64 v[26:27], v90 offset:160
	ds_read_b64 v[24:25], v90 offset:192
	ds_read_b64 v[22:23], v90 offset:224
	s_waitcnt vmcnt(47)
	ds_write_b32 v89, v63
	s_waitcnt vmcnt(46)
	ds_write_b32 v89, v40 offset:264
	s_waitcnt vmcnt(45)
	ds_write_b32 v89, v18 offset:528
	s_waitcnt vmcnt(44)
	ds_write_b32 v89, v41 offset:792
	s_waitcnt vmcnt(43)
	ds_write_b32 v89, v42 offset:1056
	s_waitcnt vmcnt(42)
	ds_write_b32 v89, v43 offset:1320
	s_waitcnt vmcnt(41)
	ds_write_b32 v89, v46 offset:1584
	s_waitcnt vmcnt(40)
	ds_write_b32 v89, v47 offset:1848
	s_waitcnt vmcnt(39)
	ds_write_b32 v89, v48 offset:2112
	s_waitcnt vmcnt(38)
	ds_write_b32 v89, v49 offset:2376
	s_waitcnt vmcnt(37)
	ds_write_b32 v89, v50 offset:2640
	s_waitcnt vmcnt(36)
	ds_write_b32 v89, v51 offset:2904
	s_waitcnt vmcnt(35)
	ds_write_b32 v89, v54 offset:3168
	s_waitcnt vmcnt(34)
	ds_write_b32 v89, v64 offset:3432
	s_waitcnt vmcnt(33)
	ds_write_b32 v89, v65 offset:3696
	s_waitcnt vmcnt(32)
	ds_write_b32 v89, v66 offset:3960
	ds_read_b64 v[64:65], v90
	ds_read_b64 v[60:61], v90 offset:32
	ds_read_b64 v[56:57], v90 offset:64
	ds_read_b64 v[50:51], v90 offset:96
	ds_read_b64 v[42:43], v90 offset:128
	ds_read_b64 v[36:37], v90 offset:160
	ds_read_b64 v[32:33], v90 offset:192
	ds_read_b64 v[28:29], v90 offset:224
	s_waitcnt vmcnt(31)
	ds_write_b32 v89, v67
	s_waitcnt vmcnt(30)
	ds_write_b32 v89, v68 offset:264
	s_waitcnt vmcnt(29)
	ds_write_b32 v89, v69 offset:528
	s_waitcnt vmcnt(28)
	ds_write_b32 v89, v70 offset:792
	s_waitcnt vmcnt(27)
	ds_write_b32 v89, v71 offset:1056
	s_waitcnt vmcnt(26)
	ds_write_b32 v89, v72 offset:1320
	s_waitcnt vmcnt(25)
	ds_write_b32 v89, v73 offset:1584
	s_waitcnt vmcnt(24)
	ds_write_b32 v89, v74 offset:1848
	;; [unrolled: 40-line block ×3, first 2 shown]
	s_waitcnt vmcnt(7)
	ds_write_b32 v89, v96 offset:2112
	s_waitcnt vmcnt(6)
	ds_write_b32 v89, v97 offset:2376
	;; [unrolled: 2-line block ×8, first 2 shown]
	ds_read_b64 v[84:85], v90
	ds_read_b64 v[82:83], v90 offset:32
	ds_read_b64 v[80:81], v90 offset:64
	;; [unrolled: 1-line block ×7, first 2 shown]
	v_readlane_b32 s46, v106, 11
	v_readlane_b32 s47, v106, 12
	s_andn2_b64 vcc, exec, s[46:47]
	v_mov_b32_e32 v18, 0
	s_cbranch_vccnz .LBB87_9
; %bb.7:                                ;   in Loop: Header=BB87_6 Depth=1
	s_load_dword vcc_lo, s[36:37], 0x0
	v_mov_b32_e32 v18, 0
	s_waitcnt lgkmcnt(0)
	s_mul_hi_u32 vcc_hi, vcc_lo, s16
	s_add_i32 vcc_hi, vcc_lo, vcc_hi
	s_lshr_b32 s46, vcc_hi, s17
	s_cmp_ge_i32 s46, s13
	s_cbranch_scc1 .LBB87_9
; %bb.8:                                ;   in Loop: Header=BB87_6 Depth=1
	s_mul_i32 vcc_hi, s46, s18
	s_sub_i32 s47, vcc_lo, vcc_hi
	s_mul_i32 s47, s47, s9
	s_mul_i32 s46, s46, s20
	s_add_i32 s46, s46, s47
	v_add_u32_e32 v92, s46, v88
	v_ashrrev_i32_e32 v93, 31, v92
	v_lshl_add_u64 v[92:93], v[92:93], 2, s[6:7]
	global_load_dword v18, v[92:93], off
.LBB87_9:                               ;   in Loop: Header=BB87_6 Depth=1
	v_readlane_b32 s46, v106, 13
	v_readlane_b32 s47, v106, 14
	v_mov_b32_e32 v91, 0
	s_andn2_b64 vcc, exec, s[46:47]
	v_mov_b32_e32 v92, 0
	s_cbranch_vccnz .LBB87_12
; %bb.10:                               ;   in Loop: Header=BB87_6 Depth=1
	s_load_dword vcc_lo, s[36:37], 0x4
	v_mov_b32_e32 v92, 0
	s_waitcnt lgkmcnt(0)
	s_mul_hi_u32 s46, vcc_lo, s16
	s_add_i32 s46, vcc_lo, s46
	s_lshr_b32 vcc_hi, s46, s17
	s_cmp_ge_i32 vcc_hi, s13
	s_cbranch_scc1 .LBB87_12
; %bb.11:                               ;   in Loop: Header=BB87_6 Depth=1
	s_mul_i32 s46, vcc_hi, s18
	s_sub_i32 s46, vcc_lo, s46
	s_mul_i32 s46, s46, s9
	s_mul_i32 s47, vcc_hi, s20
	s_add_i32 s47, s47, s46
	v_add_u32_e32 v92, s47, v88
	v_ashrrev_i32_e32 v93, 31, v92
	v_lshl_add_u64 v[92:93], v[92:93], 2, s[6:7]
	global_load_dword v92, v[92:93], off
.LBB87_12:                              ;   in Loop: Header=BB87_6 Depth=1
	v_readlane_b32 s46, v106, 15
	v_readlane_b32 s47, v106, 16
	s_andn2_b64 vcc, exec, s[46:47]
	s_cbranch_vccnz .LBB87_15
; %bb.13:                               ;   in Loop: Header=BB87_6 Depth=1
	s_load_dword vcc_lo, s[36:37], 0x8
	v_mov_b32_e32 v91, 0
	s_waitcnt lgkmcnt(0)
	s_mul_hi_u32 s46, vcc_lo, s16
	s_add_i32 s46, vcc_lo, s46
	s_lshr_b32 vcc_hi, s46, s17
	s_cmp_ge_i32 vcc_hi, s13
	s_cbranch_scc1 .LBB87_15
; %bb.14:                               ;   in Loop: Header=BB87_6 Depth=1
	s_mul_i32 s46, vcc_hi, s18
	s_sub_i32 s46, vcc_lo, s46
	s_mul_i32 s46, s46, s9
	s_mul_i32 s47, vcc_hi, s20
	s_add_i32 s47, s47, s46
	v_add_u32_e32 v94, s47, v88
	v_ashrrev_i32_e32 v95, 31, v94
	v_lshl_add_u64 v[94:95], v[94:95], 2, s[6:7]
	global_load_dword v91, v[94:95], off
.LBB87_15:                              ;   in Loop: Header=BB87_6 Depth=1
	v_readlane_b32 s46, v106, 17
	v_readlane_b32 s47, v106, 18
	v_mov_b32_e32 v93, 0
	s_andn2_b64 vcc, exec, s[46:47]
	v_mov_b32_e32 v94, 0
	s_cbranch_vccnz .LBB87_18
; %bb.16:                               ;   in Loop: Header=BB87_6 Depth=1
	s_load_dword vcc_lo, s[36:37], 0xc
	v_mov_b32_e32 v94, 0
	s_waitcnt lgkmcnt(0)
	s_mul_hi_u32 s46, vcc_lo, s16
	s_add_i32 s46, vcc_lo, s46
	s_lshr_b32 vcc_hi, s46, s17
	s_cmp_ge_i32 vcc_hi, s13
	s_cbranch_scc1 .LBB87_18
; %bb.17:                               ;   in Loop: Header=BB87_6 Depth=1
	s_mul_i32 s46, vcc_hi, s18
	s_sub_i32 s46, vcc_lo, s46
	s_mul_i32 s46, s46, s9
	s_mul_i32 s47, vcc_hi, s20
	s_add_i32 s47, s47, s46
	v_add_u32_e32 v94, s47, v88
	v_ashrrev_i32_e32 v95, 31, v94
	v_lshl_add_u64 v[94:95], v[94:95], 2, s[6:7]
	global_load_dword v94, v[94:95], off
.LBB87_18:                              ;   in Loop: Header=BB87_6 Depth=1
	v_readlane_b32 s46, v106, 19
	v_readlane_b32 s47, v106, 20
	s_andn2_b64 vcc, exec, s[46:47]
	s_cbranch_vccnz .LBB87_21
; %bb.19:                               ;   in Loop: Header=BB87_6 Depth=1
	s_load_dword vcc_lo, s[36:37], 0x10
	v_mov_b32_e32 v93, 0
	s_waitcnt lgkmcnt(0)
	s_mul_hi_u32 s46, vcc_lo, s16
	s_add_i32 s46, vcc_lo, s46
	s_lshr_b32 vcc_hi, s46, s17
	s_cmp_ge_i32 vcc_hi, s13
	s_cbranch_scc1 .LBB87_21
; %bb.20:                               ;   in Loop: Header=BB87_6 Depth=1
	s_mul_i32 s46, vcc_hi, s18
	s_sub_i32 s46, vcc_lo, s46
	s_mul_i32 s46, s46, s9
	s_mul_i32 s47, vcc_hi, s20
	s_add_i32 s47, s47, s46
	v_add_u32_e32 v96, s47, v88
	v_ashrrev_i32_e32 v97, 31, v96
	v_lshl_add_u64 v[96:97], v[96:97], 2, s[6:7]
	global_load_dword v93, v[96:97], off
.LBB87_21:                              ;   in Loop: Header=BB87_6 Depth=1
	v_readlane_b32 s46, v106, 21
	v_readlane_b32 s47, v106, 22
	v_mov_b32_e32 v95, 0
	s_andn2_b64 vcc, exec, s[46:47]
	v_mov_b32_e32 v96, 0
	s_cbranch_vccnz .LBB87_24
; %bb.22:                               ;   in Loop: Header=BB87_6 Depth=1
	s_load_dword vcc_lo, s[36:37], 0x14
	v_mov_b32_e32 v96, 0
	s_waitcnt lgkmcnt(0)
	s_mul_hi_u32 s46, vcc_lo, s16
	s_add_i32 s46, vcc_lo, s46
	s_lshr_b32 vcc_hi, s46, s17
	s_cmp_ge_i32 vcc_hi, s13
	s_cbranch_scc1 .LBB87_24
; %bb.23:                               ;   in Loop: Header=BB87_6 Depth=1
	s_mul_i32 s46, vcc_hi, s18
	s_sub_i32 s46, vcc_lo, s46
	s_mul_i32 s46, s46, s9
	s_mul_i32 s47, vcc_hi, s20
	s_add_i32 s47, s47, s46
	v_add_u32_e32 v96, s47, v88
	v_ashrrev_i32_e32 v97, 31, v96
	v_lshl_add_u64 v[96:97], v[96:97], 2, s[6:7]
	global_load_dword v96, v[96:97], off
.LBB87_24:                              ;   in Loop: Header=BB87_6 Depth=1
	s_andn2_b64 vcc, exec, s[48:49]
	s_cbranch_vccnz .LBB87_27
; %bb.25:                               ;   in Loop: Header=BB87_6 Depth=1
	s_load_dword vcc_lo, s[36:37], 0x18
	v_mov_b32_e32 v95, 0
	s_waitcnt lgkmcnt(0)
	s_mul_hi_u32 s46, vcc_lo, s16
	s_add_i32 s46, vcc_lo, s46
	s_lshr_b32 vcc_hi, s46, s17
	s_cmp_ge_i32 vcc_hi, s13
	s_cbranch_scc1 .LBB87_27
; %bb.26:                               ;   in Loop: Header=BB87_6 Depth=1
	s_mul_i32 s46, vcc_hi, s18
	s_sub_i32 s46, vcc_lo, s46
	s_mul_i32 s46, s46, s9
	s_mul_i32 s47, vcc_hi, s20
	s_add_i32 s47, s47, s46
	v_add_u32_e32 v98, s47, v88
	v_ashrrev_i32_e32 v99, 31, v98
	v_lshl_add_u64 v[98:99], v[98:99], 2, s[6:7]
	global_load_dword v95, v[98:99], off
.LBB87_27:                              ;   in Loop: Header=BB87_6 Depth=1
	v_mov_b32_e32 v97, 0
	s_andn2_b64 vcc, exec, s[50:51]
	v_mov_b32_e32 v98, 0
	s_cbranch_vccnz .LBB87_30
; %bb.28:                               ;   in Loop: Header=BB87_6 Depth=1
	s_load_dword vcc_lo, s[36:37], 0x1c
	v_mov_b32_e32 v98, 0
	s_waitcnt lgkmcnt(0)
	s_mul_hi_u32 s46, vcc_lo, s16
	s_add_i32 s46, vcc_lo, s46
	s_lshr_b32 vcc_hi, s46, s17
	s_cmp_ge_i32 vcc_hi, s13
	s_cbranch_scc1 .LBB87_30
; %bb.29:                               ;   in Loop: Header=BB87_6 Depth=1
	s_mul_i32 s46, vcc_hi, s18
	s_sub_i32 s46, vcc_lo, s46
	s_mul_i32 s46, s46, s9
	s_mul_i32 s47, vcc_hi, s20
	s_add_i32 s47, s47, s46
	v_add_u32_e32 v98, s47, v88
	v_ashrrev_i32_e32 v99, 31, v98
	v_lshl_add_u64 v[98:99], v[98:99], 2, s[6:7]
	global_load_dword v98, v[98:99], off
.LBB87_30:                              ;   in Loop: Header=BB87_6 Depth=1
	s_andn2_b64 vcc, exec, s[52:53]
	s_cbranch_vccnz .LBB87_33
; %bb.31:                               ;   in Loop: Header=BB87_6 Depth=1
	s_load_dword vcc_lo, s[36:37], 0x20
	v_mov_b32_e32 v97, 0
	s_waitcnt lgkmcnt(0)
	s_mul_hi_u32 s46, vcc_lo, s16
	s_add_i32 s46, vcc_lo, s46
	s_lshr_b32 vcc_hi, s46, s17
	s_cmp_ge_i32 vcc_hi, s13
	s_cbranch_scc1 .LBB87_33
; %bb.32:                               ;   in Loop: Header=BB87_6 Depth=1
	s_mul_i32 s46, vcc_hi, s18
	s_sub_i32 s46, vcc_lo, s46
	s_mul_i32 s46, s46, s9
	s_mul_i32 s47, vcc_hi, s20
	s_add_i32 s47, s47, s46
	v_add_u32_e32 v100, s47, v88
	v_ashrrev_i32_e32 v101, 31, v100
	v_lshl_add_u64 v[100:101], v[100:101], 2, s[6:7]
	global_load_dword v97, v[100:101], off
.LBB87_33:                              ;   in Loop: Header=BB87_6 Depth=1
	;; [unrolled: 46-line block ×3, first 2 shown]
	v_mov_b32_e32 v101, 0
	s_andn2_b64 vcc, exec, s[58:59]
	v_mov_b32_e32 v102, 0
	s_cbranch_vccnz .LBB87_42
; %bb.40:                               ;   in Loop: Header=BB87_6 Depth=1
	s_load_dword vcc_lo, s[36:37], 0x2c
	v_mov_b32_e32 v102, 0
	s_waitcnt lgkmcnt(0)
	s_mul_hi_u32 s46, vcc_lo, s16
	s_add_i32 s46, vcc_lo, s46
	s_lshr_b32 vcc_hi, s46, s17
	s_cmp_ge_i32 vcc_hi, s13
	s_cbranch_scc1 .LBB87_42
; %bb.41:                               ;   in Loop: Header=BB87_6 Depth=1
	s_mul_i32 s46, vcc_hi, s18
	s_sub_i32 s46, vcc_lo, s46
	s_mul_i32 s46, s46, s9
	s_mul_i32 s47, vcc_hi, s20
	s_add_i32 s47, s47, s46
	v_add_u32_e32 v102, s47, v88
	v_ashrrev_i32_e32 v103, 31, v102
	v_lshl_add_u64 v[102:103], v[102:103], 2, s[6:7]
	global_load_dword v102, v[102:103], off
.LBB87_42:                              ;   in Loop: Header=BB87_6 Depth=1
	s_andn2_b64 vcc, exec, s[60:61]
	s_cbranch_vccnz .LBB87_5
; %bb.43:                               ;   in Loop: Header=BB87_6 Depth=1
	s_load_dword vcc_lo, s[36:37], 0x30
	v_mov_b32_e32 v101, 0
	s_waitcnt lgkmcnt(0)
	s_mul_hi_u32 s46, vcc_lo, s16
	s_add_i32 s46, vcc_lo, s46
	s_lshr_b32 vcc_hi, s46, s17
	s_cmp_ge_i32 vcc_hi, s13
	s_cbranch_scc1 .LBB87_5
; %bb.44:                               ;   in Loop: Header=BB87_6 Depth=1
	s_mul_i32 s46, vcc_hi, s18
	s_sub_i32 s46, vcc_lo, s46
	s_mul_i32 s46, s46, s9
	s_mul_i32 s47, vcc_hi, s20
	s_add_i32 s47, s47, s46
	v_add_u32_e32 v104, s47, v88
	v_ashrrev_i32_e32 v105, 31, v104
	v_lshl_add_u64 v[104:105], v[104:105], 2, s[6:7]
	global_load_dword v101, v[104:105], off
	s_branch .LBB87_5
.LBB87_45:
	s_or_b64 exec, exec, s[4:5]
	v_readlane_b32 s24, v106, 6
	v_readlane_b32 s30, v106, 9
	;; [unrolled: 1-line block ×12, first 2 shown]
.LBB87_46:
	s_or_b64 exec, exec, s[36:37]
	s_lshl_b64 s[0:1], s[30:31], 2
	s_add_u32 s4, s22, s0
	v_lshl_add_u32 v18, v86, 2, 0
	v_mul_u32_u24_e32 v19, 0x508, v87
	v_and_b32_e32 v20, 0x3f0, v17
	s_addc_u32 s5, s23, s1
	v_add3_u32 v18, v18, v19, v20
	s_barrier
	ds_write2_b32 v18, v8, v9 offset1:1
	ds_write2_b32 v18, v10, v11 offset0:2 offset1:3
	ds_write2_b32 v18, v4, v5 offset0:16 offset1:17
	;; [unrolled: 1-line block ×7, first 2 shown]
	s_cmp_gt_i32 s14, 0
	v_add_u32_e32 v0, s28, v16
	s_cselect_b64 s[6:7], -1, 0
	v_cmp_gt_i32_e64 s[0:1], s26, v0
	v_cmp_gt_u32_e32 vcc, 13, v16
	s_and_b64 s[0:1], s[6:7], s[0:1]
	v_lshl_add_u32 v3, v17, 2, 0
	v_add_u32_e32 v2, s11, v17
	v_mul_u32_u24_e32 v4, 0x508, v16
	s_and_b64 s[2:3], vcc, s[0:1]
	s_waitcnt lgkmcnt(0)
	s_barrier
	s_and_saveexec_b64 s[0:1], s[2:3]
	s_cbranch_execz .LBB87_49
; %bb.47:
	v_ashrrev_i32_e32 v1, 31, v0
	v_lshl_add_u64 v[6:7], v[0:1], 2, s[4:5]
	global_load_dword v5, v[6:7], off
	s_waitcnt vmcnt(0)
	v_mul_hi_u32 v1, v5, s19
	v_add_u32_e32 v1, v5, v1
	v_lshrrev_b32_e32 v1, s24, v1
	v_cmp_gt_i32_e32 vcc, s13, v1
	s_and_b64 exec, exec, vcc
	s_cbranch_execz .LBB87_49
; %bb.48:
	v_add_u32_e32 v10, v3, v4
	ds_read2st64_b32 v[6:7], v10 offset1:1
	ds_read2st64_b32 v[8:9], v10 offset0:2 offset1:3
	ds_read_b32 v10, v10 offset:1024
	v_mul_lo_u32 v11, v1, s25
	v_sub_u32_e32 v5, v5, v11
	v_mul_lo_u32 v5, v5, s10
	s_waitcnt lgkmcnt(2)
	v_add_f32_e32 v6, 0, v6
	v_add_f32_e32 v6, v6, v7
	s_waitcnt lgkmcnt(1)
	v_add_f32_e32 v6, v6, v8
	v_add_f32_e32 v6, v6, v9
	v_mul_lo_u32 v1, v1, s21
	v_readlane_b32 s2, v106, 0
	s_waitcnt lgkmcnt(0)
	v_add_f32_e32 v8, v6, v10
	v_add3_u32 v6, v2, v1, v5
	v_mov_b32_e32 v7, 0
	v_readlane_b32 s3, v106, 1
	s_nop 1
	v_lshl_add_u64 v[6:7], v[6:7], 2, s[2:3]
	global_store_dword v[6:7], v8, off
.LBB87_49:
	s_or_b64 exec, exec, s[0:1]
	v_add_u32_e32 v1, 5, v0
	v_cmp_gt_i32_e64 s[0:1], s26, v1
	v_cmp_gt_u32_e32 vcc, 8, v16
	s_and_b64 s[0:1], s[6:7], s[0:1]
	s_and_b64 s[2:3], vcc, s[0:1]
	s_and_saveexec_b64 s[0:1], s[2:3]
	s_cbranch_execz .LBB87_52
; %bb.50:
	s_ashr_i32 s29, s28, 31
	v_mov_b32_e32 v17, 0
	v_lshl_add_u64 v[6:7], v[16:17], 0, s[28:29]
	v_lshl_add_u64 v[6:7], v[6:7], 2, s[4:5]
	global_load_dword v5, v[6:7], off offset:20
	s_waitcnt vmcnt(0)
	v_mul_hi_u32 v1, v5, s19
	v_add_u32_e32 v1, v5, v1
	v_lshrrev_b32_e32 v1, s24, v1
	v_cmp_gt_i32_e32 vcc, s13, v1
	s_and_b64 exec, exec, vcc
	s_cbranch_execz .LBB87_52
; %bb.51:
	v_add_u32_e32 v10, v4, v3
	v_add_u32_e32 v8, 40, v10
	ds_read2st64_b32 v[6:7], v8 offset0:25 offset1:26
	ds_read2st64_b32 v[8:9], v8 offset0:27 offset1:28
	ds_read_b32 v10, v10 offset:7464
	v_mul_lo_u32 v11, v1, s25
	v_sub_u32_e32 v5, v5, v11
	v_mul_lo_u32 v5, v5, s10
	s_waitcnt lgkmcnt(2)
	v_add_f32_e32 v6, 0, v6
	v_add_f32_e32 v6, v6, v7
	s_waitcnt lgkmcnt(1)
	v_add_f32_e32 v6, v6, v8
	v_add_f32_e32 v6, v6, v9
	v_mul_lo_u32 v1, v1, s21
	v_readlane_b32 s2, v106, 0
	s_waitcnt lgkmcnt(0)
	v_add_f32_e32 v8, v6, v10
	v_add3_u32 v6, v2, v1, v5
	v_mov_b32_e32 v7, v17
	v_readlane_b32 s3, v106, 1
	s_nop 1
	v_lshl_add_u64 v[6:7], v[6:7], 2, s[2:3]
	global_store_dword v[6:7], v8, off
.LBB87_52:
	s_or_b64 exec, exec, s[0:1]
	v_cmp_gt_u32_e32 vcc, 3, v16
	s_and_saveexec_b64 s[0:1], vcc
	s_cbranch_execz .LBB87_56
; %bb.53:
	v_add_u32_e32 v0, 10, v0
	v_cmp_gt_i32_e32 vcc, s26, v0
	s_and_b64 s[0:1], s[6:7], vcc
	s_and_b64 exec, exec, s[0:1]
	s_cbranch_execz .LBB87_56
; %bb.54:
	s_ashr_i32 s29, s28, 31
	v_mov_b32_e32 v17, 0
	v_lshl_add_u64 v[0:1], v[16:17], 0, s[28:29]
	v_lshl_add_u64 v[0:1], v[0:1], 2, s[4:5]
	global_load_dword v1, v[0:1], off offset:40
	s_waitcnt vmcnt(0)
	v_mul_hi_u32 v0, v1, s19
	v_add_u32_e32 v0, v1, v0
	v_lshrrev_b32_e32 v0, s24, v0
	v_cmp_gt_i32_e32 vcc, s13, v0
	s_and_b64 exec, exec, vcc
	s_cbranch_execz .LBB87_56
; %bb.55:
	v_add_u32_e32 v3, v3, v4
	v_add_u32_e32 v6, 0x50, v3
	ds_read2st64_b32 v[4:5], v6 offset0:50 offset1:51
	ds_read2st64_b32 v[6:7], v6 offset0:52 offset1:53
	ds_read_b32 v3, v3 offset:13904
	v_mul_lo_u32 v8, v0, s25
	v_sub_u32_e32 v1, v1, v8
	v_mul_lo_u32 v1, v1, s10
	s_waitcnt lgkmcnt(2)
	v_add_f32_e32 v4, 0, v4
	v_add_f32_e32 v4, v4, v5
	s_waitcnt lgkmcnt(1)
	v_add_f32_e32 v4, v4, v6
	v_mul_lo_u32 v0, v0, s21
	v_readlane_b32 s0, v106, 0
	v_add_f32_e32 v4, v4, v7
	v_add3_u32 v16, v2, v0, v1
	v_readlane_b32 s1, v106, 1
	s_waitcnt lgkmcnt(0)
	v_add_f32_e32 v3, v4, v3
	v_lshl_add_u64 v[0:1], v[16:17], 2, s[0:1]
	global_store_dword v[0:1], v3, off
.LBB87_56:
	s_endpgm
	.section	.rodata,"a",@progbits
	.p2align	6, 0x0
	.amdhsa_kernel _ZL13mul_mat_f_idsIfLi64ELi13ELi5EEvPKT_PKfPKiS6_S6_Pfiiiiiiiiiiiiii15HIP_vector_typeIjLj3EES9_
		.amdhsa_group_segment_fixed_size 0
		.amdhsa_private_segment_fixed_size 0
		.amdhsa_kernarg_size 128
		.amdhsa_user_sgpr_count 2
		.amdhsa_user_sgpr_dispatch_ptr 0
		.amdhsa_user_sgpr_queue_ptr 0
		.amdhsa_user_sgpr_kernarg_segment_ptr 1
		.amdhsa_user_sgpr_dispatch_id 0
		.amdhsa_user_sgpr_kernarg_preload_length 0
		.amdhsa_user_sgpr_kernarg_preload_offset 0
		.amdhsa_user_sgpr_private_segment_size 0
		.amdhsa_uses_dynamic_stack 0
		.amdhsa_enable_private_segment 0
		.amdhsa_system_sgpr_workgroup_id_x 1
		.amdhsa_system_sgpr_workgroup_id_y 1
		.amdhsa_system_sgpr_workgroup_id_z 1
		.amdhsa_system_sgpr_workgroup_info 0
		.amdhsa_system_vgpr_workitem_id 1
		.amdhsa_next_free_vgpr 107
		.amdhsa_next_free_sgpr 100
		.amdhsa_accum_offset 108
		.amdhsa_reserve_vcc 1
		.amdhsa_float_round_mode_32 0
		.amdhsa_float_round_mode_16_64 0
		.amdhsa_float_denorm_mode_32 3
		.amdhsa_float_denorm_mode_16_64 3
		.amdhsa_dx10_clamp 1
		.amdhsa_ieee_mode 1
		.amdhsa_fp16_overflow 0
		.amdhsa_tg_split 0
		.amdhsa_exception_fp_ieee_invalid_op 0
		.amdhsa_exception_fp_denorm_src 0
		.amdhsa_exception_fp_ieee_div_zero 0
		.amdhsa_exception_fp_ieee_overflow 0
		.amdhsa_exception_fp_ieee_underflow 0
		.amdhsa_exception_fp_ieee_inexact 0
		.amdhsa_exception_int_div_zero 0
	.end_amdhsa_kernel
	.section	.text._ZL13mul_mat_f_idsIfLi64ELi13ELi5EEvPKT_PKfPKiS6_S6_Pfiiiiiiiiiiiiii15HIP_vector_typeIjLj3EES9_,"axG",@progbits,_ZL13mul_mat_f_idsIfLi64ELi13ELi5EEvPKT_PKfPKiS6_S6_Pfiiiiiiiiiiiiii15HIP_vector_typeIjLj3EES9_,comdat
.Lfunc_end87:
	.size	_ZL13mul_mat_f_idsIfLi64ELi13ELi5EEvPKT_PKfPKiS6_S6_Pfiiiiiiiiiiiiii15HIP_vector_typeIjLj3EES9_, .Lfunc_end87-_ZL13mul_mat_f_idsIfLi64ELi13ELi5EEvPKT_PKfPKiS6_S6_Pfiiiiiiiiiiiiii15HIP_vector_typeIjLj3EES9_
                                        ; -- End function
	.set _ZL13mul_mat_f_idsIfLi64ELi13ELi5EEvPKT_PKfPKiS6_S6_Pfiiiiiiiiiiiiii15HIP_vector_typeIjLj3EES9_.num_vgpr, 107
	.set _ZL13mul_mat_f_idsIfLi64ELi13ELi5EEvPKT_PKfPKiS6_S6_Pfiiiiiiiiiiiiii15HIP_vector_typeIjLj3EES9_.num_agpr, 0
	.set _ZL13mul_mat_f_idsIfLi64ELi13ELi5EEvPKT_PKfPKiS6_S6_Pfiiiiiiiiiiiiii15HIP_vector_typeIjLj3EES9_.numbered_sgpr, 100
	.set _ZL13mul_mat_f_idsIfLi64ELi13ELi5EEvPKT_PKfPKiS6_S6_Pfiiiiiiiiiiiiii15HIP_vector_typeIjLj3EES9_.num_named_barrier, 0
	.set _ZL13mul_mat_f_idsIfLi64ELi13ELi5EEvPKT_PKfPKiS6_S6_Pfiiiiiiiiiiiiii15HIP_vector_typeIjLj3EES9_.private_seg_size, 0
	.set _ZL13mul_mat_f_idsIfLi64ELi13ELi5EEvPKT_PKfPKiS6_S6_Pfiiiiiiiiiiiiii15HIP_vector_typeIjLj3EES9_.uses_vcc, 1
	.set _ZL13mul_mat_f_idsIfLi64ELi13ELi5EEvPKT_PKfPKiS6_S6_Pfiiiiiiiiiiiiii15HIP_vector_typeIjLj3EES9_.uses_flat_scratch, 0
	.set _ZL13mul_mat_f_idsIfLi64ELi13ELi5EEvPKT_PKfPKiS6_S6_Pfiiiiiiiiiiiiii15HIP_vector_typeIjLj3EES9_.has_dyn_sized_stack, 0
	.set _ZL13mul_mat_f_idsIfLi64ELi13ELi5EEvPKT_PKfPKiS6_S6_Pfiiiiiiiiiiiiii15HIP_vector_typeIjLj3EES9_.has_recursion, 0
	.set _ZL13mul_mat_f_idsIfLi64ELi13ELi5EEvPKT_PKfPKiS6_S6_Pfiiiiiiiiiiiiii15HIP_vector_typeIjLj3EES9_.has_indirect_call, 0
	.section	.AMDGPU.csdata,"",@progbits
; Kernel info:
; codeLenInByte = 6640
; TotalNumSgprs: 106
; NumVgprs: 107
; NumAgprs: 0
; TotalNumVgprs: 107
; ScratchSize: 0
; MemoryBound: 0
; FloatMode: 240
; IeeeMode: 1
; LDSByteSize: 0 bytes/workgroup (compile time only)
; SGPRBlocks: 13
; VGPRBlocks: 13
; NumSGPRsForWavesPerEU: 106
; NumVGPRsForWavesPerEU: 107
; AccumOffset: 108
; Occupancy: 4
; WaveLimiterHint : 1
; COMPUTE_PGM_RSRC2:SCRATCH_EN: 0
; COMPUTE_PGM_RSRC2:USER_SGPR: 2
; COMPUTE_PGM_RSRC2:TRAP_HANDLER: 0
; COMPUTE_PGM_RSRC2:TGID_X_EN: 1
; COMPUTE_PGM_RSRC2:TGID_Y_EN: 1
; COMPUTE_PGM_RSRC2:TGID_Z_EN: 1
; COMPUTE_PGM_RSRC2:TIDIG_COMP_CNT: 1
; COMPUTE_PGM_RSRC3_GFX90A:ACCUM_OFFSET: 26
; COMPUTE_PGM_RSRC3_GFX90A:TG_SPLIT: 0
	.section	.text._ZL9mul_mat_fIfLi64ELi13ELi5ELb1EEvPKT_PKfPKiPfiiiiiiiiiiiiiiii,"axG",@progbits,_ZL9mul_mat_fIfLi64ELi13ELi5ELb1EEvPKT_PKfPKiPfiiiiiiiiiiiiiiii,comdat
	.globl	_ZL9mul_mat_fIfLi64ELi13ELi5ELb1EEvPKT_PKfPKiPfiiiiiiiiiiiiiiii ; -- Begin function _ZL9mul_mat_fIfLi64ELi13ELi5ELb1EEvPKT_PKfPKiPfiiiiiiiiiiiiiiii
	.p2align	8
	.type	_ZL9mul_mat_fIfLi64ELi13ELi5ELb1EEvPKT_PKfPKiPfiiiiiiiiiiiiiiii,@function
_ZL9mul_mat_fIfLi64ELi13ELi5ELb1EEvPKT_PKfPKiPfiiiiiiiiiiiiiiii: ; @_ZL9mul_mat_fIfLi64ELi13ELi5ELb1EEvPKT_PKfPKiPfiiiiiiiiiiiiiiii
; %bb.0:
	s_load_dwordx8 s[40:47], s[0:1], 0x20
	s_mov_b32 s22, s4
	v_and_b32_e32 v16, 0x3ff, v0
	v_bfe_u32 v17, v0, 10, 10
	s_waitcnt lgkmcnt(0)
	s_add_i32 s4, s41, 12
	s_mul_hi_i32 s4, s4, 0x4ec4ec4f
	s_lshr_b32 s5, s4, 31
	s_ashr_i32 s4, s4, 2
	s_add_i32 s4, s4, s5
	v_cvt_f32_u32_e32 v1, s4
	s_load_dword s5, s[0:1], 0x64
	s_add_u32 s12, s0, 0x60
	s_addc_u32 s13, s1, 0
	v_rcp_iflag_f32_e32 v1, v1
	s_sub_i32 s6, 0, s4
	s_load_dwordx4 s[48:51], s[0:1], 0x44
	s_load_dwordx2 s[8:9], s[0:1], 0x10
	v_mul_f32_e32 v1, 0x4f7ffffe, v1
	v_cvt_u32_f32_e32 v1, v1
	v_mul_lo_u32 v2, s6, v1
	v_mul_hi_u32 v2, v1, v2
	v_add_u32_e32 v1, v1, v2
	s_waitcnt lgkmcnt(0)
	v_mul_hi_u32 v1, s5, v1
	v_mul_lo_u32 v2, v1, s4
	v_sub_u32_e32 v2, s5, v2
	v_add_u32_e32 v3, 1, v1
	v_subrev_u32_e32 v4, s4, v2
	v_cmp_le_u32_e32 vcc, s4, v2
	s_nop 1
	v_cndmask_b32_e32 v1, v1, v3, vcc
	v_cndmask_b32_e32 v2, v2, v4, vcc
	v_add_u32_e32 v3, 1, v1
	v_cmp_le_u32_e32 vcc, s4, v2
	s_abs_i32 s4, s51
	s_nop 0
	v_cndmask_b32_e32 v1, v1, v3, vcc
	v_cvt_f32_u32_e32 v2, v1
	v_cvt_f32_u32_e32 v3, s4
	v_sub_u32_e32 v4, 0, v1
	v_cmp_eq_u32_e32 vcc, 0, v16
	v_rcp_iflag_f32_e32 v2, v2
	v_rcp_iflag_f32_e32 v3, v3
	v_mul_f32_e32 v2, 0x4f7ffffe, v2
	v_cvt_u32_f32_e32 v2, v2
	v_mul_lo_u32 v4, v4, v2
	v_mul_hi_u32 v4, v2, v4
	v_add_u32_e32 v2, v2, v4
	v_mul_hi_u32 v2, s3, v2
	s_and_saveexec_b64 s[6:7], vcc
; %bb.1:
	v_mov_b32_e32 v4, 0x100
	v_lshl_add_u32 v4, v17, 2, v4
	v_mov_b32_e32 v5, -1
	ds_write_b32 v4, v5
; %bb.2:
	s_or_b64 exec, exec, s[6:7]
	v_mul_f32_e32 v8, 0x4f7ffffe, v3
	v_mul_lo_u32 v3, v2, v1
	v_sub_u32_e32 v3, s3, v3
	v_add_u32_e32 v4, 1, v2
	v_sub_u32_e32 v5, v3, v1
	v_cmp_ge_u32_e64 s[6:7], v3, v1
	s_nop 1
	v_cndmask_b32_e64 v2, v2, v4, s[6:7]
	v_cndmask_b32_e64 v3, v3, v5, s[6:7]
	v_add_u32_e32 v4, 1, v2
	v_cmp_ge_u32_e64 s[6:7], v3, v1
	s_nop 1
	v_cndmask_b32_e64 v2, v2, v4, s[6:7]
	v_mul_lo_u32 v90, v2, 13
	v_mul_lo_u32 v1, v2, v1
	v_mul_hi_i32 v3, v90, s47
	v_mul_lo_u32 v2, v90, s47
	v_sub_u32_e32 v18, s3, v1
	v_lshlrev_b64 v[2:3], 2, v[2:3]
	v_add_u32_e32 v1, v17, v90
	v_lshl_add_u64 v[2:3], s[8:9], 0, v[2:3]
	v_cmp_gt_i32_e64 s[6:7], s42, v16
	v_cmp_gt_i32_e64 s[24:25], s41, v1
	v_mov_b32_e32 v1, 0
	s_and_saveexec_b64 s[14:15], s[24:25]
	s_cbranch_execz .LBB88_10
; %bb.3:
	v_mov_b32_e32 v1, 0
	s_and_saveexec_b64 s[16:17], s[6:7]
	s_cbranch_execz .LBB88_9
; %bb.4:
	v_mul_lo_u32 v4, v17, s47
	v_ashrrev_i32_e32 v5, 31, v4
	v_mov_b32_e32 v1, 0x100
	v_lshl_add_u64 v[4:5], v[4:5], 2, v[2:3]
	v_lshl_add_u32 v9, v17, 2, v1
	v_mul_lo_u32 v6, v16, s46
	s_lshl_b32 s3, s46, 6
	v_mov_b32_e32 v1, 0
	s_mov_b64 s[18:19], 0
	v_mov_b32_e32 v10, v16
	s_branch .LBB88_6
.LBB88_5:                               ;   in Loop: Header=BB88_6 Depth=1
	s_or_b64 exec, exec, s[20:21]
	v_add_u32_e32 v10, 64, v10
	v_cmp_le_i32_e64 s[10:11], s42, v10
	s_xor_b64 s[8:9], s[8:9], -1
	s_or_b64 s[8:9], s[8:9], s[10:11]
	s_and_b64 s[8:9], exec, s[8:9]
	s_or_b64 s[18:19], s[8:9], s[18:19]
	v_add_u32_e32 v6, s3, v6
	s_andn2_b64 exec, exec, s[18:19]
	s_cbranch_execz .LBB88_8
.LBB88_6:                               ; =>This Inner Loop Header: Depth=1
	v_ashrrev_i32_e32 v7, 31, v6
	v_lshl_add_u64 v[12:13], v[6:7], 2, v[4:5]
	global_load_dword v7, v[12:13], off
	s_waitcnt vmcnt(0)
	v_cmp_ne_u32_e64 s[8:9], v7, v18
	v_cmp_eq_u32_e64 s[10:11], v7, v18
	s_and_saveexec_b64 s[20:21], s[10:11]
	s_cbranch_execz .LBB88_5
; %bb.7:                                ;   in Loop: Header=BB88_6 Depth=1
	v_mov_b32_e32 v1, 1
	ds_write_b32 v9, v10
	s_branch .LBB88_5
.LBB88_8:
	s_or_b64 exec, exec, s[18:19]
.LBB88_9:
	s_or_b64 exec, exec, s[16:17]
.LBB88_10:
	s_or_b64 exec, exec, s[14:15]
	v_cvt_u32_f32_e32 v8, v8
	s_sub_i32 s3, 0, s4
	s_and_saveexec_b64 s[8:9], vcc
; %bb.11:
	v_mov_b32_e32 v4, 0x100
	v_lshl_add_u32 v4, v17, 2, v4
	v_mov_b32_e32 v5, -1
	ds_write_b32 v4, v5 offset:20
; %bb.12:
	s_or_b64 exec, exec, s[8:9]
	v_add_u32_e32 v91, 5, v17
	v_mul_lo_u32 v9, s3, v8
	v_add_u32_e32 v4, v91, v90
	v_cmp_gt_i32_e64 s[8:9], s41, v4
	s_mov_b64 s[14:15], exec
                                        ; implicit-def: $vgpr112 : SGPR spill to VGPR lane
	s_nop 0
	v_writelane_b32 v112, s8, 0
	s_nop 1
	v_writelane_b32 v112, s9, 1
	s_and_b64 s[8:9], s[14:15], s[8:9]
	s_mov_b64 exec, s[8:9]
	s_cbranch_execz .LBB88_20
; %bb.13:
	s_and_saveexec_b64 s[16:17], s[6:7]
	s_cbranch_execz .LBB88_19
; %bb.14:
	v_mul_lo_u32 v4, v91, s47
	v_ashrrev_i32_e32 v5, 31, v4
	v_mov_b32_e32 v6, 0x100
	v_lshl_add_u64 v[4:5], v[4:5], 2, v[2:3]
	v_lshl_add_u32 v10, v17, 2, v6
	v_mul_lo_u32 v6, v16, s46
	s_lshl_b32 s3, s46, 6
	s_mov_b64 s[18:19], 0
	v_mov_b32_e32 v11, v16
	s_branch .LBB88_16
.LBB88_15:                              ;   in Loop: Header=BB88_16 Depth=1
	s_or_b64 exec, exec, s[20:21]
	v_add_u32_e32 v11, 64, v11
	v_cmp_le_i32_e64 s[10:11], s42, v11
	s_xor_b64 s[8:9], s[8:9], -1
	s_or_b64 s[8:9], s[8:9], s[10:11]
	s_and_b64 s[8:9], exec, s[8:9]
	s_or_b64 s[18:19], s[8:9], s[18:19]
	v_add_u32_e32 v6, s3, v6
	s_andn2_b64 exec, exec, s[18:19]
	s_cbranch_execz .LBB88_18
.LBB88_16:                              ; =>This Inner Loop Header: Depth=1
	v_ashrrev_i32_e32 v7, 31, v6
	v_lshl_add_u64 v[12:13], v[6:7], 2, v[4:5]
	global_load_dword v7, v[12:13], off
	s_waitcnt vmcnt(0)
	v_cmp_ne_u32_e64 s[8:9], v7, v18
	v_cmp_eq_u32_e64 s[10:11], v7, v18
	s_and_saveexec_b64 s[20:21], s[10:11]
	s_cbranch_execz .LBB88_15
; %bb.17:                               ;   in Loop: Header=BB88_16 Depth=1
	v_mov_b32_e32 v1, 1
	ds_write_b32 v10, v11 offset:20
	s_branch .LBB88_15
.LBB88_18:
	s_or_b64 exec, exec, s[18:19]
.LBB88_19:
	s_or_b64 exec, exec, s[16:17]
.LBB88_20:
	s_or_b64 exec, exec, s[14:15]
	v_mul_hi_u32 v4, v8, v9
	s_and_saveexec_b64 s[8:9], vcc
; %bb.21:
	v_mov_b32_e32 v5, 0x100
	v_lshl_add_u32 v5, v17, 2, v5
	v_mov_b32_e32 v6, -1
	ds_write_b32 v5, v6 offset:40
; %bb.22:
	s_or_b64 exec, exec, s[8:9]
	s_load_dwordx4 s[28:31], s[0:1], 0x54
	v_add_u32_e32 v92, 10, v17
	s_abs_i32 s3, s22
	v_add_u32_e32 v6, v8, v4
	v_add_u32_e32 v4, v92, v90
	v_cmp_gt_i32_e64 s[10:11], s41, v4
	s_mov_b64 s[8:9], exec
	s_nop 0
	v_writelane_b32 v112, s10, 2
	s_nop 1
	v_writelane_b32 v112, s11, 3
	s_and_b64 s[10:11], s[8:9], s[10:11]
	s_mov_b64 exec, s[10:11]
	s_cbranch_execz .LBB88_30
; %bb.23:
	s_and_saveexec_b64 s[10:11], s[6:7]
	s_cbranch_execz .LBB88_29
; %bb.24:
	v_mul_lo_u32 v4, v92, s47
	v_ashrrev_i32_e32 v5, 31, v4
	v_lshl_add_u64 v[2:3], v[4:5], 2, v[2:3]
	v_mov_b32_e32 v4, 0x100
	v_lshl_add_u32 v7, v17, 2, v4
	v_mul_lo_u32 v4, v16, s46
	s_lshl_b32 s5, s46, 6
	s_mov_b64 s[14:15], 0
	v_mov_b32_e32 v8, v16
	s_branch .LBB88_26
.LBB88_25:                              ;   in Loop: Header=BB88_26 Depth=1
	s_or_b64 exec, exec, s[16:17]
	v_add_u32_e32 v8, 64, v8
	v_cmp_le_i32_e64 s[6:7], s42, v8
	s_xor_b64 s[16:17], vcc, -1
	s_or_b64 s[6:7], s[16:17], s[6:7]
	s_and_b64 s[6:7], exec, s[6:7]
	s_or_b64 s[14:15], s[6:7], s[14:15]
	v_add_u32_e32 v4, s5, v4
	s_andn2_b64 exec, exec, s[14:15]
	s_cbranch_execz .LBB88_28
.LBB88_26:                              ; =>This Inner Loop Header: Depth=1
	v_ashrrev_i32_e32 v5, 31, v4
	v_lshl_add_u64 v[10:11], v[4:5], 2, v[2:3]
	global_load_dword v5, v[10:11], off
	s_waitcnt vmcnt(0)
	v_cmp_ne_u32_e32 vcc, v5, v18
	v_cmp_eq_u32_e64 s[6:7], v5, v18
	s_and_saveexec_b64 s[16:17], s[6:7]
	s_cbranch_execz .LBB88_25
; %bb.27:                               ;   in Loop: Header=BB88_26 Depth=1
	v_mov_b32_e32 v1, 1
	ds_write_b32 v7, v8 offset:40
	s_branch .LBB88_25
.LBB88_28:
	s_or_b64 exec, exec, s[14:15]
.LBB88_29:
	s_or_b64 exec, exec, s[10:11]
.LBB88_30:
	s_or_b64 exec, exec, s[8:9]
	s_load_dwordx2 s[6:7], s[12:13], 0xc
	s_load_dwordx2 s[8:9], s[0:1], 0x8
	;; [unrolled: 1-line block ×3, first 2 shown]
	v_or_b32_dpp v1, v1, v1 row_shl:1 row_mask:0xf bank_mask:0xf bound_ctrl:1
	v_mul_hi_u32 v19, s3, v6
	s_waitcnt lgkmcnt(0)
	s_and_b32 s5, s7, 0xffff
	s_lshr_b32 s7, s6, 16
	v_writelane_b32 v112, s10, 4
	s_and_b32 s6, s6, 0xffff
	v_or_b32_dpp v1, v1, v1 row_shl:2 row_mask:0xf bank_mask:0xf bound_ctrl:1
	v_writelane_b32 v112, s11, 5
	s_mul_i32 s10, s7, s6
	v_or_b32_dpp v1, v1, v1 row_shl:4 row_mask:0xf bank_mask:0xf bound_ctrl:1
	s_bfe_i32 s10, s10, 0x180000
	s_mul_i32 s5, s10, s5
	v_or_b32_dpp v1, v1, v1 row_shl:8 row_mask:0xf bank_mask:0xf bound_ctrl:1
	s_add_i32 s10, s5, 63
	s_bitcmp1_b32 exec_hi, 0
	v_mov_b32_dpp v2, v1 wave_shl:1 row_mask:0xf bank_mask:0xf bound_ctrl:1
                                        ; kill: killed $sgpr12 killed $sgpr13
	s_nop 1
	v_or_b32_dpp v1, v2, v1 row_mirror row_mask:0xf bank_mask:0xf bound_ctrl:1
	s_nop 0
	v_readlane_b32 s5, v1, 32
	s_cselect_b32 s5, s5, 0
	v_readlane_b32 s11, v1, 0
	s_or_b32 s5, s5, s11
	s_andn2_b32 s10, s10, 63
	s_cmp_lg_u32 s10, 64
	v_mov_b32_e32 v1, s5
	s_cbranch_scc0 .LBB88_37
; %bb.31:
	v_bfe_u32 v0, v0, 20, 10
	v_mbcnt_lo_u32_b32 v1, -1, 0
	v_mad_u32_u24 v0, v0, s7, v17
	v_mbcnt_hi_u32_b32 v2, -1, v1
	v_mad_u64_u32 v[0:1], s[6:7], v0, s6, v[16:17]
	v_lshrrev_b32_e32 v1, 6, v0
	v_or_b32_e32 v1, v2, v1
	v_cmp_eq_u32_e32 vcc, 0, v1
	s_and_saveexec_b64 s[6:7], vcc
; %bb.32:
	v_mov_b32_e32 v1, 0
	v_mov_b32_e32 v3, s5
	ds_write_b32 v1, v3
; %bb.33:
	s_or_b64 exec, exec, s[6:7]
	v_cmp_eq_u32_e32 vcc, 0, v2
	v_cmp_lt_u32_e64 s[6:7], 63, v0
	s_and_b64 s[10:11], s[6:7], vcc
	s_waitcnt lgkmcnt(0)
	s_barrier
	s_and_saveexec_b64 s[6:7], s[10:11]
	s_cbranch_execz .LBB88_36
; %bb.34:
	v_mbcnt_lo_u32_b32 v0, exec_lo, 0
	v_mbcnt_hi_u32_b32 v0, exec_hi, v0
	v_cmp_eq_u32_e32 vcc, 0, v0
	s_and_b64 exec, exec, vcc
; %bb.35:
	v_mov_b32_e32 v0, 0
	v_mov_b32_e32 v1, s5
	ds_or_b32 v0, v1
.LBB88_36:
	s_or_b64 exec, exec, s[6:7]
	v_mov_b32_e32 v0, 0
	s_waitcnt lgkmcnt(0)
	s_barrier
	ds_read_b32 v1, v0
	s_waitcnt lgkmcnt(0)
	s_barrier
.LBB88_37:
	s_load_dwordx2 s[6:7], s[0:1], 0x0
	v_cmp_ne_u32_e32 vcc, 0, v1
	s_ashr_i32 s5, s22, 31
	s_ashr_i32 s10, s51, 31
	s_cbranch_vccz .LBB88_107
; %bb.38:
	v_lshlrev_b32_e32 v93, 6, v17
	v_add_u32_e32 v95, v93, v16
	v_cmp_le_i32_e32 vcc, s40, v95
	v_and_b32_e32 v94, 15, v16
	s_and_saveexec_b64 s[0:1], vcc
	s_xor_b64 s[0:1], exec, s[0:1]
; %bb.39:
	v_and_b32_e32 v94, 15, v16
                                        ; implicit-def: $vgpr95
                                        ; implicit-def: $vgpr19
                                        ; implicit-def: $vgpr18
; %bb.40:
	s_or_saveexec_b64 s[0:1], s[0:1]
	v_mov_b32_e32 v11, 0
	s_lshl_b32 s11, s2, 6
	v_mov_b32_e32 v10, v11
	v_mov_b32_e32 v9, v11
	v_mov_b32_e32 v8, v11
	v_mov_b32_e32 v7, v11
	v_mov_b32_e32 v6, v11
	v_mov_b32_e32 v5, v11
	v_mov_b32_e32 v4, v11
	v_mov_b32_e32 v3, v11
	v_mov_b32_e32 v2, v11
	v_mov_b32_e32 v1, v11
	v_mov_b32_e32 v0, v11
	v_mov_b32_e32 v15, v11
	v_mov_b32_e32 v14, v11
	v_mov_b32_e32 v13, v11
	v_mov_b32_e32 v12, v11
	v_writelane_b32 v112, s0, 6
	s_nop 1
	v_writelane_b32 v112, s1, 7
	s_xor_b64 exec, exec, s[0:1]
	s_cbranch_execz .LBB88_96
; %bb.41:
	v_mul_lo_u32 v0, v19, s4
	v_sub_u32_e32 v0, s3, v0
	v_add_u32_e32 v1, 1, v19
	v_subrev_u32_e32 v2, s4, v0
	v_cmp_le_u32_e32 vcc, s4, v0
	s_xor_b32 s0, s5, s10
	v_writelane_b32 v112, s24, 8
	v_cndmask_b32_e32 v1, v19, v1, vcc
	v_cndmask_b32_e32 v0, v0, v2, vcc
	v_add_u32_e32 v2, 1, v1
	v_cmp_le_u32_e32 vcc, s4, v0
	v_writelane_b32 v112, s25, 9
	v_writelane_b32 v112, s11, 10
	v_cndmask_b32_e32 v0, v1, v2, vcc
	v_xor_b32_e32 v0, s0, v0
	v_subrev_u32_e32 v0, s0, v0
	s_mul_i32 s0, s43, s11
	v_mul_hi_i32 v1, v0, s28
	v_mul_lo_u32 v0, v0, s28
	v_mul_lo_u32 v2, v18, s48
	s_ashr_i32 s1, s0, 31
	v_ashrrev_i32_e32 v3, 31, v2
	v_lshlrev_b64 v[0:1], 2, v[0:1]
	s_lshl_b64 s[2:3], s[0:1], 2
	s_movk_i32 s0, 0x1080
	v_mov_b32_e32 v96, 0x100
	v_writelane_b32 v112, s22, 11
	s_waitcnt lgkmcnt(0)
	v_lshl_add_u64 v[4:5], s[6:7], 0, v[0:1]
	v_lshlrev_b64 v[2:3], 2, v[2:3]
	v_mad_u32_u24 v6, v17, s0, v96
	s_mul_hi_i32 s1, s29, s22
	v_writelane_b32 v112, s28, 12
	s_mul_i32 s0, s29, s22
	v_lshl_add_u64 v[4:5], v[4:5], 0, v[2:3]
	s_lshl_b64 s[0:1], s[0:1], 2
	v_lshl_add_u64 v[18:19], v[4:5], 0, s[2:3]
	v_writelane_b32 v112, s29, 13
	v_mul_hi_i32 v5, v90, s44
	v_mul_lo_u32 v4, v90, s44
	s_add_u32 s0, s8, s0
	v_writelane_b32 v112, s30, 14
	s_addc_u32 s1, s9, s1
	v_lshlrev_b64 v[4:5], 2, v[4:5]
	v_writelane_b32 v112, s31, 15
	v_lshl_add_u64 v[20:21], s[0:1], 0, v[4:5]
	s_lshl_b32 s0, s44, 1
	v_lshl_add_u64 v[0:1], v[0:1], 0, s[2:3]
	v_lshrrev_b32_e32 v5, 1, v16
	v_writelane_b32 v112, s0, 16
	s_lshl_b32 s0, s44, 2
	v_lshl_add_u64 v[0:1], v[0:1], 0, v[2:3]
	v_mul_u32_u24_e32 v4, 0x108, v94
	v_and_b32_e32 v5, 0x1f8, v5
	v_add_u32_e32 v26, 1, v90
	v_add_u32_e32 v27, 2, v90
	v_add_u32_e32 v28, 3, v90
	v_add_u32_e32 v29, 4, v90
	v_writelane_b32 v112, s0, 17
	v_add_u32_e32 v30, 5, v90
	v_add_u32_e32 v31, 6, v90
	v_add_u32_e32 v32, 7, v90
	v_add_u32_e32 v33, 8, v90
	v_add_u32_e32 v34, 9, v90
	v_add_u32_e32 v35, 10, v90
	v_add_u32_e32 v36, 11, v90
	v_add_u32_e32 v37, 12, v90
	s_ashr_i32 s1, s43, 31
	s_mov_b32 s0, s43
	v_lshl_add_u64 v[0:1], s[6:7], 0, v[0:1]
	v_lshlrev_b32_e32 v22, 2, v95
	v_mov_b32_e32 v23, 0
	v_lshl_add_u32 v97, v16, 2, v6
	v_add3_u32 v98, v6, v4, v5
	s_lshl_b32 s51, s44, 3
	s_add_i32 s52, s43, s43
	s_mul_i32 s53, s43, 3
	s_lshl_b32 s55, s43, 2
	s_mul_i32 s56, s43, 5
	s_mul_i32 s57, s43, 6
	;; [unrolled: 1-line block ×3, first 2 shown]
	s_lshl_b32 s59, s43, 3
	s_mul_i32 s60, s43, 9
	s_mul_i32 s61, s43, 10
	s_mul_i32 s62, s43, 11
	s_mul_i32 s63, s43, 12
	s_mul_i32 s64, s43, 13
	s_mul_i32 s65, s43, 14
	s_mul_i32 s66, s43, 15
	s_lshl_b32 s67, s43, 4
	s_mul_i32 s68, s43, 17
	s_mul_i32 s69, s43, 18
	s_mul_i32 s70, s43, 19
	s_mul_i32 s71, s43, 20
	s_mul_i32 s72, s43, 21
	s_mul_i32 s73, s43, 22
	s_mul_i32 s74, s43, 23
	s_mul_i32 s75, s43, 24
	s_mul_i32 s76, s43, 25
	s_mul_i32 s77, s43, 26
	s_mul_i32 s78, s43, 27
	s_mul_i32 s79, s43, 28
	s_mul_i32 s80, s43, 29
	s_mul_i32 s81, s43, 30
	s_mul_i32 s82, s43, 31
	s_lshl_b32 s83, s43, 5
	s_mul_i32 s84, s43, 33
	s_mul_i32 s85, s43, 34
	;; [unrolled: 1-line block ×12, first 2 shown]
	v_cmp_gt_i32_e64 s[6:7], s41, v90
	s_mul_i32 s96, s43, 45
	s_mul_i32 s97, s43, 46
	s_lshl_b64 s[2:3], s[0:1], 2
	v_lshl_add_u64 v[24:25], v[0:1], 0, v[22:23]
	v_mov_b32_e32 v12, 0
	v_mov_b32_e32 v13, v23
	;; [unrolled: 1-line block ×16, first 2 shown]
	s_mul_i32 s98, s43, 47
	s_mul_i32 s99, s43, 48
	;; [unrolled: 1-line block ×17, first 2 shown]
	v_cmp_gt_i32_e64 s[8:9], s41, v26
	v_cmp_gt_i32_e64 s[10:11], s41, v27
	;; [unrolled: 1-line block ×12, first 2 shown]
	s_mov_b64 s[42:43], 0
	s_branch .LBB88_44
.LBB88_42:                              ;   in Loop: Header=BB88_44 Depth=1
	v_mul_lo_u32 v22, v22, s49
	s_mul_i32 s41, s44, 12
	v_add_u32_e32 v22, s41, v22
	v_add_u32_e32 v100, v22, v95
	v_ashrrev_i32_e32 v101, 31, v100
	v_lshl_add_u64 v[100:101], v[100:101], 2, v[20:21]
	global_load_dword v22, v[100:101], off
.LBB88_43:                              ;   in Loop: Header=BB88_44 Depth=1
	v_add_u32_e32 v99, 0xc00, v97
	s_waitcnt vmcnt(0)
	ds_write2_b32 v99, v22, v23 offset0:40 offset1:106
	ds_write2_b32 v99, v23, v23 offset0:172 offset1:238
	ds_read2_b64 v[100:103], v98 offset0:8 offset1:12
	v_add_u32_e32 v95, 0x140, v95
	s_mov_b64 vcc, 0x500
	v_lshl_add_u64 v[24:25], v[24:25], 0, vcc
	v_cmp_le_i32_e32 vcc, s40, v95
	s_waitcnt lgkmcnt(0)
	v_mfma_f32_16x16x4_f32 v[8:11], v56, v100, v[8:11]
	s_or_b64 s[42:43], vcc, s[42:43]
	v_mfma_f32_16x16x4_f32 v[4:7], v68, v100, v[4:7]
	v_mfma_f32_16x16x4_f32 v[0:3], v82, v100, v[0:3]
	;; [unrolled: 1-line block ×15, first 2 shown]
	ds_read2_b64 v[86:89], v98 offset0:16 offset1:20
	s_waitcnt lgkmcnt(0)
	v_mfma_f32_16x16x4_f32 v[8:11], v42, v86, v[8:11]
	v_mfma_f32_16x16x4_f32 v[4:7], v60, v86, v[4:7]
	;; [unrolled: 1-line block ×14, first 2 shown]
	ds_read2_b64 v[54:57], v98 offset0:24 offset1:28
	v_mfma_f32_16x16x4_f32 v[0:3], v67, v89, v[0:3]
	v_mfma_f32_16x16x4_f32 v[12:15], v81, v89, v[12:15]
	s_waitcnt lgkmcnt(0)
	v_mfma_f32_16x16x4_f32 v[8:11], v34, v54, v[8:11]
	v_mfma_f32_16x16x4_f32 v[4:7], v46, v54, v[4:7]
	;; [unrolled: 1-line block ×14, first 2 shown]
	ds_read2_b64 v[38:41], v98 offset0:32 offset1:36
	v_mfma_f32_16x16x4_f32 v[0:3], v59, v57, v[0:3]
	v_mfma_f32_16x16x4_f32 v[12:15], v75, v57, v[12:15]
	s_waitcnt lgkmcnt(0)
	v_mfma_f32_16x16x4_f32 v[8:11], v28, v38, v[8:11]
	v_mfma_f32_16x16x4_f32 v[4:7], v36, v38, v[4:7]
	;; [unrolled: 1-line block ×16, first 2 shown]
	s_andn2_b64 exec, exec, s[42:43]
	s_cbranch_execz .LBB88_95
.LBB88_44:                              ; =>This Inner Loop Header: Depth=1
	v_lshl_add_u64 v[26:27], v[24:25], 0, s[2:3]
	global_load_dword v22, v[24:25], off
	global_load_dword v52, v[26:27], off
	v_add_u32_e32 v26, s52, v95
	v_ashrrev_i32_e32 v27, 31, v26
	v_add_u32_e32 v28, s53, v95
	v_add_u32_e32 v30, s55, v95
	;; [unrolled: 1-line block ×5, first 2 shown]
	v_lshl_add_u64 v[26:27], v[26:27], 2, v[18:19]
	v_ashrrev_i32_e32 v29, 31, v28
	v_ashrrev_i32_e32 v31, 31, v30
	v_ashrrev_i32_e32 v33, 31, v32
	v_ashrrev_i32_e32 v35, 31, v34
	v_ashrrev_i32_e32 v37, 31, v36
	v_lshl_add_u64 v[28:29], v[28:29], 2, v[18:19]
	v_lshl_add_u64 v[30:31], v[30:31], 2, v[18:19]
	;; [unrolled: 1-line block ×5, first 2 shown]
	global_load_dword v53, v[26:27], off
	global_load_dword v54, v[28:29], off
	global_load_dword v55, v[30:31], off
	global_load_dword v56, v[32:33], off
	global_load_dword v57, v[34:35], off
	global_load_dword v58, v[36:37], off
	v_add_u32_e32 v26, s59, v95
	v_add_u32_e32 v44, s68, v95
	;; [unrolled: 1-line block ×10, first 2 shown]
	v_ashrrev_i32_e32 v27, 31, v26
	v_ashrrev_i32_e32 v45, 31, v44
	;; [unrolled: 1-line block ×10, first 2 shown]
	v_lshl_add_u64 v[26:27], v[26:27], 2, v[18:19]
	v_lshl_add_u64 v[44:45], v[44:45], 2, v[18:19]
	v_add_u32_e32 v46, s69, v95
	v_add_u32_e32 v50, s71, v95
	v_lshl_add_u64 v[28:29], v[28:29], 2, v[18:19]
	v_lshl_add_u64 v[30:31], v[30:31], 2, v[18:19]
	;; [unrolled: 1-line block ×8, first 2 shown]
	global_load_dword v59, v[26:27], off
	global_load_dword v60, v[28:29], off
	;; [unrolled: 1-line block ×9, first 2 shown]
	s_nop 0
	global_load_dword v44, v[44:45], off
	v_add_u32_e32 v26, s72, v95
	v_add_u32_e32 v48, s70, v95
	v_ashrrev_i32_e32 v47, 31, v46
	v_ashrrev_i32_e32 v51, 31, v50
	;; [unrolled: 1-line block ×3, first 2 shown]
	v_add_u32_e32 v28, s73, v95
	v_add_u32_e32 v30, s74, v95
	v_add_u32_e32 v32, s75, v95
	v_add_u32_e32 v34, s76, v95
	v_ashrrev_i32_e32 v49, 31, v48
	v_lshl_add_u64 v[46:47], v[46:47], 2, v[18:19]
	v_lshl_add_u64 v[50:51], v[50:51], 2, v[18:19]
	;; [unrolled: 1-line block ×3, first 2 shown]
	v_ashrrev_i32_e32 v29, 31, v28
	v_ashrrev_i32_e32 v31, 31, v30
	;; [unrolled: 1-line block ×4, first 2 shown]
	v_lshl_add_u64 v[48:49], v[48:49], 2, v[18:19]
	v_lshl_add_u64 v[28:29], v[28:29], 2, v[18:19]
	;; [unrolled: 1-line block ×5, first 2 shown]
	v_add_u32_e32 v36, s82, v95
	v_add_u32_e32 v38, s83, v95
	;; [unrolled: 1-line block ×3, first 2 shown]
	v_ashrrev_i32_e32 v37, 31, v36
	v_ashrrev_i32_e32 v39, 31, v38
	;; [unrolled: 1-line block ×3, first 2 shown]
	v_lshl_add_u64 v[36:37], v[36:37], 2, v[18:19]
	s_waitcnt vmcnt(17)
	ds_write_b32 v97, v22 offset:64
	s_waitcnt vmcnt(16)
	ds_write_b32 v97, v52 offset:328
	;; [unrolled: 2-line block ×8, first 2 shown]
	global_load_dword v22, v[46:47], off
	global_load_dword v45, v[48:49], off
	s_nop 0
	global_load_dword v46, v[50:51], off
	global_load_dword v47, v[26:27], off
	s_nop 0
	global_load_dword v50, v[28:29], off
	global_load_dword v51, v[30:31], off
	global_load_dword v52, v[32:33], off
	global_load_dword v53, v[34:35], off
	v_add_u32_e32 v26, s77, v95
	v_ashrrev_i32_e32 v27, 31, v26
	v_add_u32_e32 v28, s78, v95
	v_add_u32_e32 v30, s79, v95
	;; [unrolled: 1-line block ×4, first 2 shown]
	v_lshl_add_u64 v[26:27], v[26:27], 2, v[18:19]
	v_ashrrev_i32_e32 v29, 31, v28
	v_ashrrev_i32_e32 v31, 31, v30
	;; [unrolled: 1-line block ×4, first 2 shown]
	v_lshl_add_u64 v[28:29], v[28:29], 2, v[18:19]
	v_lshl_add_u64 v[30:31], v[30:31], 2, v[18:19]
	v_lshl_add_u64 v[32:33], v[32:33], 2, v[18:19]
	v_lshl_add_u64 v[34:35], v[34:35], 2, v[18:19]
	v_lshl_add_u64 v[38:39], v[38:39], 2, v[18:19]
	v_lshl_add_u64 v[40:41], v[40:41], 2, v[18:19]
	global_load_dword v54, v[26:27], off
	global_load_dword v55, v[28:29], off
	global_load_dword v58, v[30:31], off
	global_load_dword v68, v[32:33], off
	global_load_dword v69, v[34:35], off
	global_load_dword v70, v[36:37], off
	global_load_dword v71, v[38:39], off
	global_load_dword v72, v[40:41], off
	v_add_u32_e32 v26, s85, v95
	v_ashrrev_i32_e32 v27, 31, v26
	v_add_u32_e32 v28, s86, v95
	v_add_u32_e32 v30, s87, v95
	v_add_u32_e32 v32, s88, v95
	v_add_u32_e32 v34, s89, v95
	v_add_u32_e32 v36, s90, v95
	v_add_u32_e32 v38, s91, v95
	v_add_u32_e32 v40, s92, v95
	v_lshl_add_u64 v[26:27], v[26:27], 2, v[18:19]
	v_ashrrev_i32_e32 v29, 31, v28
	v_ashrrev_i32_e32 v31, 31, v30
	v_ashrrev_i32_e32 v33, 31, v32
	v_ashrrev_i32_e32 v35, 31, v34
	v_ashrrev_i32_e32 v37, 31, v36
	v_ashrrev_i32_e32 v39, 31, v38
	v_ashrrev_i32_e32 v41, 31, v40
	v_lshl_add_u64 v[28:29], v[28:29], 2, v[18:19]
	v_lshl_add_u64 v[30:31], v[30:31], 2, v[18:19]
	v_lshl_add_u64 v[32:33], v[32:33], 2, v[18:19]
	v_lshl_add_u64 v[34:35], v[34:35], 2, v[18:19]
	v_lshl_add_u64 v[36:37], v[36:37], 2, v[18:19]
	v_lshl_add_u64 v[38:39], v[38:39], 2, v[18:19]
	v_lshl_add_u64 v[40:41], v[40:41], 2, v[18:19]
	global_load_dword v73, v[26:27], off
	global_load_dword v74, v[28:29], off
	global_load_dword v75, v[30:31], off
	global_load_dword v76, v[32:33], off
	global_load_dword v77, v[34:35], off
	global_load_dword v78, v[36:37], off
	global_load_dword v79, v[38:39], off
	global_load_dword v80, v[40:41], off
	v_add_u32_e32 v26, s93, v95
	v_ashrrev_i32_e32 v27, 31, v26
	v_add_u32_e32 v28, s94, v95
	v_add_u32_e32 v30, s95, v95
	v_add_u32_e32 v32, s96, v95
	v_add_u32_e32 v34, s97, v95
	v_add_u32_e32 v36, s98, v95
	v_add_u32_e32 v38, s99, v95
	v_add_u32_e32 v40, s5, v95
	v_lshl_add_u64 v[26:27], v[26:27], 2, v[18:19]
	v_ashrrev_i32_e32 v29, 31, v28
	v_ashrrev_i32_e32 v31, 31, v30
	v_ashrrev_i32_e32 v33, 31, v32
	v_ashrrev_i32_e32 v35, 31, v34
	v_ashrrev_i32_e32 v37, 31, v36
	v_ashrrev_i32_e32 v39, 31, v38
	v_ashrrev_i32_e32 v41, 31, v40
	v_lshl_add_u64 v[28:29], v[28:29], 2, v[18:19]
	v_lshl_add_u64 v[30:31], v[30:31], 2, v[18:19]
	v_lshl_add_u64 v[32:33], v[32:33], 2, v[18:19]
	v_lshl_add_u64 v[34:35], v[34:35], 2, v[18:19]
	v_lshl_add_u64 v[36:37], v[36:37], 2, v[18:19]
	v_lshl_add_u64 v[38:39], v[38:39], 2, v[18:19]
	v_lshl_add_u64 v[40:41], v[40:41], 2, v[18:19]
	global_load_dword v81, v[26:27], off
	global_load_dword v82, v[28:29], off
	global_load_dword v83, v[30:31], off
	global_load_dword v84, v[32:33], off
	global_load_dword v85, v[34:35], off
	global_load_dword v86, v[36:37], off
	global_load_dword v87, v[38:39], off
	global_load_dword v88, v[40:41], off
	v_add_u32_e32 v26, s36, v95
	v_ashrrev_i32_e32 v27, 31, v26
	v_add_u32_e32 v28, s37, v95
	v_add_u32_e32 v30, s0, v95
	v_add_u32_e32 v32, s1, v95
	v_add_u32_e32 v34, s34, v95
	v_add_u32_e32 v36, s35, v95
	v_add_u32_e32 v38, s46, v95
	v_add_u32_e32 v40, s47, v95
	v_lshl_add_u64 v[26:27], v[26:27], 2, v[18:19]
	v_ashrrev_i32_e32 v29, 31, v28
	v_ashrrev_i32_e32 v31, 31, v30
	v_ashrrev_i32_e32 v33, 31, v32
	v_ashrrev_i32_e32 v35, 31, v34
	v_ashrrev_i32_e32 v37, 31, v36
	v_ashrrev_i32_e32 v39, 31, v38
	v_ashrrev_i32_e32 v41, 31, v40
	v_lshl_add_u64 v[28:29], v[28:29], 2, v[18:19]
	v_lshl_add_u64 v[30:31], v[30:31], 2, v[18:19]
	v_lshl_add_u64 v[32:33], v[32:33], 2, v[18:19]
	;; [unrolled: 1-line block ×6, first 2 shown]
	global_load_dword v89, v[26:27], off
	global_load_dword v99, v[28:29], off
	global_load_dword v100, v[30:31], off
	global_load_dword v101, v[32:33], off
	global_load_dword v102, v[34:35], off
	global_load_dword v103, v[36:37], off
	global_load_dword v104, v[38:39], off
	global_load_dword v105, v[40:41], off
	v_add_u32_e32 v26, s38, v95
	v_ashrrev_i32_e32 v27, 31, v26
	v_add_u32_e32 v28, s39, v95
	v_add_u32_e32 v30, s54, v95
	;; [unrolled: 1-line block ×5, first 2 shown]
	v_lshl_add_u64 v[26:27], v[26:27], 2, v[18:19]
	v_ashrrev_i32_e32 v29, 31, v28
	v_ashrrev_i32_e32 v31, 31, v30
	;; [unrolled: 1-line block ×5, first 2 shown]
	v_lshl_add_u64 v[28:29], v[28:29], 2, v[18:19]
	v_lshl_add_u64 v[30:31], v[30:31], 2, v[18:19]
	;; [unrolled: 1-line block ×5, first 2 shown]
	global_load_dword v106, v[26:27], off
	global_load_dword v107, v[28:29], off
	;; [unrolled: 1-line block ×6, first 2 shown]
	s_waitcnt vmcnt(55)
	ds_write_b32 v97, v59 offset:2176
	s_waitcnt vmcnt(54)
	ds_write_b32 v97, v60 offset:2440
	s_waitcnt vmcnt(53)
	ds_write_b32 v97, v61 offset:2704
	s_waitcnt vmcnt(52)
	ds_write_b32 v97, v62 offset:2968
	s_waitcnt vmcnt(51)
	ds_write_b32 v97, v63 offset:3232
	s_waitcnt vmcnt(50)
	ds_write_b32 v97, v64 offset:3496
	s_waitcnt vmcnt(49)
	ds_write_b32 v97, v65 offset:3760
	s_waitcnt vmcnt(48)
	ds_write_b32 v97, v66 offset:4024
	ds_read_b64 v[56:57], v98 offset:64
	ds_read_b64 v[48:49], v98 offset:96
	ds_read_b64 v[42:43], v98 offset:128
	ds_read_b64 v[38:39], v98 offset:160
	ds_read_b64 v[34:35], v98 offset:192
	ds_read_b64 v[30:31], v98 offset:224
	ds_read_b64 v[28:29], v98 offset:256
	ds_read_b64 v[26:27], v98 offset:288
	s_waitcnt vmcnt(47)
	ds_write_b32 v97, v67 offset:64
	s_waitcnt vmcnt(46)
	ds_write_b32 v97, v44 offset:328
	s_waitcnt vmcnt(45)
	ds_write_b32 v97, v22 offset:592
	s_waitcnt vmcnt(44)
	ds_write_b32 v97, v45 offset:856
	s_waitcnt vmcnt(43)
	ds_write_b32 v97, v46 offset:1120
	s_waitcnt vmcnt(42)
	ds_write_b32 v97, v47 offset:1384
	s_waitcnt vmcnt(41)
	ds_write_b32 v97, v50 offset:1648
	s_waitcnt vmcnt(40)
	ds_write_b32 v97, v51 offset:1912
	s_waitcnt vmcnt(39)
	ds_write_b32 v97, v52 offset:2176
	s_waitcnt vmcnt(38)
	ds_write_b32 v97, v53 offset:2440
	s_waitcnt vmcnt(37)
	ds_write_b32 v97, v54 offset:2704
	s_waitcnt vmcnt(36)
	ds_write_b32 v97, v55 offset:2968
	s_waitcnt vmcnt(35)
	ds_write_b32 v97, v58 offset:3232
	s_waitcnt vmcnt(34)
	ds_write_b32 v97, v68 offset:3496
	s_waitcnt vmcnt(33)
	ds_write_b32 v97, v69 offset:3760
	s_waitcnt vmcnt(32)
	ds_write_b32 v97, v70 offset:4024
	ds_read_b64 v[68:69], v98 offset:64
	ds_read_b64 v[64:65], v98 offset:96
	ds_read_b64 v[60:61], v98 offset:128
	ds_read_b64 v[54:55], v98 offset:160
	ds_read_b64 v[46:47], v98 offset:192
	ds_read_b64 v[40:41], v98 offset:224
	ds_read_b64 v[36:37], v98 offset:256
	ds_read_b64 v[32:33], v98 offset:288
	s_waitcnt vmcnt(31)
	ds_write_b32 v97, v71 offset:64
	s_waitcnt vmcnt(30)
	ds_write_b32 v97, v72 offset:328
	s_waitcnt vmcnt(29)
	ds_write_b32 v97, v73 offset:592
	s_waitcnt vmcnt(28)
	ds_write_b32 v97, v74 offset:856
	s_waitcnt vmcnt(27)
	ds_write_b32 v97, v75 offset:1120
	s_waitcnt vmcnt(26)
	ds_write_b32 v97, v76 offset:1384
	s_waitcnt vmcnt(25)
	ds_write_b32 v97, v77 offset:1648
	s_waitcnt vmcnt(24)
	ds_write_b32 v97, v78 offset:1912
	;; [unrolled: 40-line block ×3, first 2 shown]
	s_waitcnt vmcnt(7)
	ds_write_b32 v97, v104 offset:2176
	s_waitcnt vmcnt(6)
	ds_write_b32 v97, v105 offset:2440
	;; [unrolled: 2-line block ×8, first 2 shown]
	ds_read_b64 v[88:89], v98 offset:64
	ds_read_b64 v[86:87], v98 offset:96
	;; [unrolled: 1-line block ×8, first 2 shown]
	s_andn2_b64 vcc, exec, s[6:7]
	v_mov_b32_e32 v22, 0
	s_cbranch_vccnz .LBB88_48
; %bb.45:                               ;   in Loop: Header=BB88_44 Depth=1
	ds_read_b32 v22, v96
	s_waitcnt lgkmcnt(0)
	v_cmp_gt_i32_e32 vcc, 0, v22
	s_cbranch_vccnz .LBB88_47
; %bb.46:                               ;   in Loop: Header=BB88_44 Depth=1
	v_mul_lo_u32 v22, v22, s49
	v_add_u32_e32 v100, v95, v22
	v_ashrrev_i32_e32 v101, 31, v100
	v_lshl_add_u64 v[100:101], v[100:101], 2, v[20:21]
	global_load_dword v22, v[100:101], off
	s_branch .LBB88_48
.LBB88_47:                              ;   in Loop: Header=BB88_44 Depth=1
	v_mov_b32_e32 v22, 0
.LBB88_48:                              ;   in Loop: Header=BB88_44 Depth=1
	s_waitcnt vmcnt(0)
	ds_write_b32 v97, v22 offset:64
	v_mov_b32_e32 v22, 0
	s_andn2_b64 vcc, exec, s[8:9]
	v_mov_b32_e32 v99, 0
	s_cbranch_vccnz .LBB88_51
; %bb.49:                               ;   in Loop: Header=BB88_44 Depth=1
	ds_read_b32 v99, v96 offset:4
	s_waitcnt lgkmcnt(0)
	v_cmp_gt_i32_e32 vcc, 0, v99
	s_cbranch_vccnz .LBB88_54
; %bb.50:                               ;   in Loop: Header=BB88_44 Depth=1
	v_mul_lo_u32 v99, v99, s49
	v_add_u32_e32 v99, s44, v99
	v_add_u32_e32 v100, v99, v95
	v_ashrrev_i32_e32 v101, 31, v100
	v_lshl_add_u64 v[100:101], v[100:101], 2, v[20:21]
	global_load_dword v99, v[100:101], off
.LBB88_51:                              ;   in Loop: Header=BB88_44 Depth=1
	s_andn2_b64 vcc, exec, s[10:11]
	s_waitcnt vmcnt(0)
	ds_write_b32 v97, v99 offset:328
	s_cbranch_vccnz .LBB88_56
.LBB88_52:                              ;   in Loop: Header=BB88_44 Depth=1
	ds_read_b32 v22, v96 offset:8
	s_waitcnt lgkmcnt(0)
	v_cmp_gt_i32_e32 vcc, 0, v22
	s_cbranch_vccnz .LBB88_55
; %bb.53:                               ;   in Loop: Header=BB88_44 Depth=1
	v_mul_lo_u32 v22, v22, s49
	v_readlane_b32 s41, v112, 16
	s_nop 1
	v_add_u32_e32 v22, s41, v22
	v_add_u32_e32 v100, v22, v95
	v_ashrrev_i32_e32 v101, 31, v100
	v_lshl_add_u64 v[100:101], v[100:101], 2, v[20:21]
	global_load_dword v22, v[100:101], off
	s_branch .LBB88_56
.LBB88_54:                              ;   in Loop: Header=BB88_44 Depth=1
	v_mov_b32_e32 v99, 0
	s_andn2_b64 vcc, exec, s[10:11]
	ds_write_b32 v97, v99 offset:328
	s_cbranch_vccz .LBB88_52
	s_branch .LBB88_56
.LBB88_55:                              ;   in Loop: Header=BB88_44 Depth=1
	v_mov_b32_e32 v22, 0
.LBB88_56:                              ;   in Loop: Header=BB88_44 Depth=1
	s_waitcnt vmcnt(0)
	ds_write_b32 v97, v22 offset:592
	v_mov_b32_e32 v22, 0
	s_andn2_b64 vcc, exec, s[12:13]
	v_mov_b32_e32 v99, 0
	s_cbranch_vccnz .LBB88_59
; %bb.57:                               ;   in Loop: Header=BB88_44 Depth=1
	ds_read_b32 v99, v96 offset:12
	s_waitcnt lgkmcnt(0)
	v_cmp_gt_i32_e32 vcc, 0, v99
	s_cbranch_vccnz .LBB88_62
; %bb.58:                               ;   in Loop: Header=BB88_44 Depth=1
	v_mul_lo_u32 v99, v99, s49
	s_mul_i32 s41, s44, 3
	v_add_u32_e32 v99, s41, v99
	v_add_u32_e32 v100, v99, v95
	v_ashrrev_i32_e32 v101, 31, v100
	v_lshl_add_u64 v[100:101], v[100:101], 2, v[20:21]
	global_load_dword v99, v[100:101], off
.LBB88_59:                              ;   in Loop: Header=BB88_44 Depth=1
	s_andn2_b64 vcc, exec, s[14:15]
	s_waitcnt vmcnt(0)
	ds_write_b32 v97, v99 offset:856
	s_cbranch_vccnz .LBB88_64
.LBB88_60:                              ;   in Loop: Header=BB88_44 Depth=1
	ds_read_b32 v22, v96 offset:16
	s_waitcnt lgkmcnt(0)
	v_cmp_gt_i32_e32 vcc, 0, v22
	s_cbranch_vccnz .LBB88_63
; %bb.61:                               ;   in Loop: Header=BB88_44 Depth=1
	v_mul_lo_u32 v22, v22, s49
	v_readlane_b32 s41, v112, 17
	s_nop 1
	v_add_u32_e32 v22, s41, v22
	v_add_u32_e32 v100, v22, v95
	v_ashrrev_i32_e32 v101, 31, v100
	v_lshl_add_u64 v[100:101], v[100:101], 2, v[20:21]
	global_load_dword v22, v[100:101], off
	s_branch .LBB88_64
.LBB88_62:                              ;   in Loop: Header=BB88_44 Depth=1
	v_mov_b32_e32 v99, 0
	s_andn2_b64 vcc, exec, s[14:15]
	ds_write_b32 v97, v99 offset:856
	s_cbranch_vccz .LBB88_60
	s_branch .LBB88_64
.LBB88_63:                              ;   in Loop: Header=BB88_44 Depth=1
	v_mov_b32_e32 v22, 0
.LBB88_64:                              ;   in Loop: Header=BB88_44 Depth=1
	s_waitcnt vmcnt(0)
	ds_write_b32 v97, v22 offset:1120
	v_mov_b32_e32 v22, 0
	s_andn2_b64 vcc, exec, s[16:17]
	v_mov_b32_e32 v99, 0
	s_cbranch_vccnz .LBB88_67
; %bb.65:                               ;   in Loop: Header=BB88_44 Depth=1
	ds_read_b32 v99, v96 offset:20
	s_waitcnt lgkmcnt(0)
	v_cmp_gt_i32_e32 vcc, 0, v99
	s_cbranch_vccnz .LBB88_70
; %bb.66:                               ;   in Loop: Header=BB88_44 Depth=1
	v_mul_lo_u32 v99, v99, s49
	s_mul_i32 s41, s44, 5
	v_add_u32_e32 v99, s41, v99
	v_add_u32_e32 v100, v99, v95
	v_ashrrev_i32_e32 v101, 31, v100
	v_lshl_add_u64 v[100:101], v[100:101], 2, v[20:21]
	global_load_dword v99, v[100:101], off
.LBB88_67:                              ;   in Loop: Header=BB88_44 Depth=1
	s_andn2_b64 vcc, exec, s[18:19]
	s_waitcnt vmcnt(0)
	ds_write_b32 v97, v99 offset:1384
	s_cbranch_vccnz .LBB88_72
.LBB88_68:                              ;   in Loop: Header=BB88_44 Depth=1
	ds_read_b32 v22, v96 offset:24
	s_waitcnt lgkmcnt(0)
	v_cmp_gt_i32_e32 vcc, 0, v22
	s_cbranch_vccnz .LBB88_71
; %bb.69:                               ;   in Loop: Header=BB88_44 Depth=1
	v_mul_lo_u32 v22, v22, s49
	s_mul_i32 s41, s44, 6
	v_add_u32_e32 v22, s41, v22
	v_add_u32_e32 v100, v22, v95
	v_ashrrev_i32_e32 v101, 31, v100
	v_lshl_add_u64 v[100:101], v[100:101], 2, v[20:21]
	global_load_dword v22, v[100:101], off
	s_branch .LBB88_72
.LBB88_70:                              ;   in Loop: Header=BB88_44 Depth=1
	v_mov_b32_e32 v99, 0
	s_andn2_b64 vcc, exec, s[18:19]
	ds_write_b32 v97, v99 offset:1384
	s_cbranch_vccz .LBB88_68
	s_branch .LBB88_72
.LBB88_71:                              ;   in Loop: Header=BB88_44 Depth=1
	v_mov_b32_e32 v22, 0
.LBB88_72:                              ;   in Loop: Header=BB88_44 Depth=1
	s_waitcnt vmcnt(0)
	ds_write_b32 v97, v22 offset:1648
	v_mov_b32_e32 v22, 0
	s_andn2_b64 vcc, exec, s[20:21]
	v_mov_b32_e32 v99, 0
	s_cbranch_vccnz .LBB88_75
; %bb.73:                               ;   in Loop: Header=BB88_44 Depth=1
	ds_read_b32 v99, v96 offset:28
	s_waitcnt lgkmcnt(0)
	v_cmp_gt_i32_e32 vcc, 0, v99
	s_cbranch_vccnz .LBB88_78
; %bb.74:                               ;   in Loop: Header=BB88_44 Depth=1
	v_mul_lo_u32 v99, v99, s49
	s_mul_i32 s41, s44, 7
	v_add_u32_e32 v99, s41, v99
	v_add_u32_e32 v100, v99, v95
	v_ashrrev_i32_e32 v101, 31, v100
	v_lshl_add_u64 v[100:101], v[100:101], 2, v[20:21]
	global_load_dword v99, v[100:101], off
.LBB88_75:                              ;   in Loop: Header=BB88_44 Depth=1
	s_andn2_b64 vcc, exec, s[22:23]
	s_waitcnt vmcnt(0)
	ds_write_b32 v97, v99 offset:1912
	s_cbranch_vccnz .LBB88_80
.LBB88_76:                              ;   in Loop: Header=BB88_44 Depth=1
	ds_read_b32 v22, v96 offset:32
	s_waitcnt lgkmcnt(0)
	v_cmp_gt_i32_e32 vcc, 0, v22
	s_cbranch_vccnz .LBB88_79
; %bb.77:                               ;   in Loop: Header=BB88_44 Depth=1
	v_mul_lo_u32 v22, v22, s49
	v_add_u32_e32 v22, s51, v22
	v_add_u32_e32 v100, v22, v95
	v_ashrrev_i32_e32 v101, 31, v100
	v_lshl_add_u64 v[100:101], v[100:101], 2, v[20:21]
	global_load_dword v22, v[100:101], off
	s_branch .LBB88_80
.LBB88_78:                              ;   in Loop: Header=BB88_44 Depth=1
	v_mov_b32_e32 v99, 0
	s_andn2_b64 vcc, exec, s[22:23]
	ds_write_b32 v97, v99 offset:1912
	s_cbranch_vccz .LBB88_76
	s_branch .LBB88_80
.LBB88_79:                              ;   in Loop: Header=BB88_44 Depth=1
	v_mov_b32_e32 v22, 0
.LBB88_80:                              ;   in Loop: Header=BB88_44 Depth=1
	s_waitcnt vmcnt(0)
	ds_write_b32 v97, v22 offset:2176
	v_mov_b32_e32 v22, 0
	s_andn2_b64 vcc, exec, s[24:25]
	v_mov_b32_e32 v99, 0
	s_cbranch_vccnz .LBB88_83
; %bb.81:                               ;   in Loop: Header=BB88_44 Depth=1
	ds_read_b32 v99, v96 offset:36
	s_waitcnt lgkmcnt(0)
	v_cmp_gt_i32_e32 vcc, 0, v99
	s_cbranch_vccnz .LBB88_86
; %bb.82:                               ;   in Loop: Header=BB88_44 Depth=1
	v_mul_lo_u32 v99, v99, s49
	s_mul_i32 s41, s44, 9
	v_add_u32_e32 v99, s41, v99
	v_add_u32_e32 v100, v99, v95
	v_ashrrev_i32_e32 v101, 31, v100
	v_lshl_add_u64 v[100:101], v[100:101], 2, v[20:21]
	global_load_dword v99, v[100:101], off
.LBB88_83:                              ;   in Loop: Header=BB88_44 Depth=1
	s_andn2_b64 vcc, exec, s[26:27]
	s_waitcnt vmcnt(0)
	ds_write_b32 v97, v99 offset:2440
	s_cbranch_vccnz .LBB88_88
.LBB88_84:                              ;   in Loop: Header=BB88_44 Depth=1
	ds_read_b32 v22, v96 offset:40
	s_waitcnt lgkmcnt(0)
	v_cmp_gt_i32_e32 vcc, 0, v22
	s_cbranch_vccnz .LBB88_87
; %bb.85:                               ;   in Loop: Header=BB88_44 Depth=1
	v_mul_lo_u32 v22, v22, s49
	s_mul_i32 s41, s44, 10
	v_add_u32_e32 v22, s41, v22
	v_add_u32_e32 v100, v22, v95
	v_ashrrev_i32_e32 v101, 31, v100
	v_lshl_add_u64 v[100:101], v[100:101], 2, v[20:21]
	global_load_dword v22, v[100:101], off
	s_branch .LBB88_88
.LBB88_86:                              ;   in Loop: Header=BB88_44 Depth=1
	v_mov_b32_e32 v99, 0
	s_andn2_b64 vcc, exec, s[26:27]
	ds_write_b32 v97, v99 offset:2440
	s_cbranch_vccz .LBB88_84
	s_branch .LBB88_88
.LBB88_87:                              ;   in Loop: Header=BB88_44 Depth=1
	v_mov_b32_e32 v22, 0
.LBB88_88:                              ;   in Loop: Header=BB88_44 Depth=1
	s_waitcnt vmcnt(0)
	ds_write_b32 v97, v22 offset:2704
	v_mov_b32_e32 v22, 0
	s_andn2_b64 vcc, exec, s[28:29]
	v_mov_b32_e32 v99, 0
	s_cbranch_vccnz .LBB88_91
; %bb.89:                               ;   in Loop: Header=BB88_44 Depth=1
	ds_read_b32 v99, v96 offset:44
	s_waitcnt lgkmcnt(0)
	v_cmp_gt_i32_e32 vcc, 0, v99
	s_cbranch_vccnz .LBB88_94
; %bb.90:                               ;   in Loop: Header=BB88_44 Depth=1
	v_mul_lo_u32 v99, v99, s49
	s_mul_i32 s41, s44, 11
	v_add_u32_e32 v99, s41, v99
	v_add_u32_e32 v100, v99, v95
	v_ashrrev_i32_e32 v101, 31, v100
	v_lshl_add_u64 v[100:101], v[100:101], 2, v[20:21]
	global_load_dword v99, v[100:101], off
.LBB88_91:                              ;   in Loop: Header=BB88_44 Depth=1
	s_andn2_b64 vcc, exec, s[30:31]
	s_waitcnt vmcnt(0)
	ds_write_b32 v97, v99 offset:2968
	s_cbranch_vccnz .LBB88_43
.LBB88_92:                              ;   in Loop: Header=BB88_44 Depth=1
	ds_read_b32 v22, v96 offset:48
	s_waitcnt lgkmcnt(0)
	v_cmp_gt_i32_e32 vcc, 0, v22
	s_cbranch_vccz .LBB88_42
; %bb.93:                               ;   in Loop: Header=BB88_44 Depth=1
	v_mov_b32_e32 v22, 0
	s_branch .LBB88_43
.LBB88_94:                              ;   in Loop: Header=BB88_44 Depth=1
	v_mov_b32_e32 v99, 0
	s_andn2_b64 vcc, exec, s[30:31]
	ds_write_b32 v97, v99 offset:2968
	s_cbranch_vccnz .LBB88_43
	s_branch .LBB88_92
.LBB88_95:
	s_or_b64 exec, exec, s[42:43]
	v_readlane_b32 s24, v112, 8
	v_readlane_b32 s28, v112, 12
	;; [unrolled: 1-line block ×8, first 2 shown]
.LBB88_96:
	v_readlane_b32 s0, v112, 6
	v_readlane_b32 s1, v112, 7
	s_or_b64 exec, exec, s[0:1]
	v_mov_b32_e32 v19, 0x100
	v_lshl_add_u32 v18, v93, 2, v19
	v_mul_u32_u24_e32 v20, 0x508, v94
	v_and_b32_e32 v21, 0x3f0, v16
	v_add3_u32 v20, v18, v20, v21
	s_waitcnt lgkmcnt(0)
	s_barrier
	s_movk_i32 s0, 0x508
	ds_write2_b32 v20, v8, v9 offset0:16 offset1:17
	ds_write2_b32 v20, v10, v11 offset0:18 offset1:19
	;; [unrolled: 1-line block ×8, first 2 shown]
	v_lshl_add_u32 v7, v16, 2, v19
	v_mad_u32_u24 v0, v17, s0, v7
	s_waitcnt lgkmcnt(0)
	s_barrier
	ds_read2_b32 v[4:5], v0 offset0:16 offset1:80
	ds_read2_b32 v[2:3], v0 offset0:144 offset1:208
	ds_read_b32 v8, v0 offset:1088
	v_cmp_gt_u32_e32 vcc, 13, v17
	v_mov_b32_e32 v9, -1
	s_and_saveexec_b64 s[0:1], vcc
; %bb.97:
	s_movk_i32 s2, 0xff04
	v_mad_i32_i24 v0, v17, s2, v18
	ds_read_b32 v9, v0
; %bb.98:
	s_or_b64 exec, exec, s[0:1]
	s_mul_hi_i32 s1, s30, s22
	s_mul_i32 s0, s30, s22
	s_lshl_b64 s[0:1], s[0:1], 2
	v_readlane_b32 s2, v112, 4
	v_mul_hi_i32 v1, v90, s45
	v_mul_lo_u32 v0, v90, s45
	v_readlane_b32 s3, v112, 5
	s_add_u32 s0, s2, s0
	s_addc_u32 s1, s3, s1
	v_lshlrev_b64 v[0:1], 2, v[0:1]
	s_waitcnt lgkmcnt(0)
	v_cmp_lt_i32_e32 vcc, -1, v9
	v_mul_u32_u24_e32 v10, 0x508, v17
	v_add_u32_e32 v6, s11, v16
	v_lshl_add_u64 v[0:1], s[0:1], 0, v[0:1]
	s_and_b64 s[2:3], vcc, s[24:25]
	s_and_saveexec_b64 s[0:1], s[2:3]
	s_cbranch_execz .LBB88_100
; %bb.99:
	v_add_f32_e32 v4, 0, v4
	v_add_f32_e32 v4, v4, v5
	;; [unrolled: 1-line block ×5, first 2 shown]
	v_mul_lo_u32 v2, v9, s50
	v_mul_lo_u32 v3, v17, s45
	v_add3_u32 v2, v6, v3, v2
	v_mov_b32_e32 v3, 0
	v_lshl_add_u64 v[2:3], v[2:3], 2, v[0:1]
	global_store_dword v[2:3], v4, off
.LBB88_100:
	s_or_b64 exec, exec, s[0:1]
	v_add_u32_e32 v7, v10, v7
	v_add_u32_e32 v2, 0x68, v7
	ds_read2st64_b32 v[4:5], v2 offset0:25 offset1:26
	ds_read2st64_b32 v[2:3], v2 offset0:27 offset1:28
	ds_read_b32 v8, v7 offset:7528
	v_cmp_gt_u32_e32 vcc, 8, v17
	v_mov_b32_e32 v9, -1
	s_and_saveexec_b64 s[0:1], vcc
; %bb.101:
	v_mov_b32_e32 v9, 0x100
	v_lshl_add_u32 v9, v17, 2, v9
	ds_read_b32 v9, v9 offset:20
; %bb.102:
	s_or_b64 exec, exec, s[0:1]
	v_readlane_b32 s0, v112, 0
	s_waitcnt lgkmcnt(0)
	v_cmp_lt_i32_e32 vcc, -1, v9
	v_readlane_b32 s1, v112, 1
	s_and_b64 s[2:3], vcc, s[0:1]
	s_and_saveexec_b64 s[0:1], s[2:3]
	s_cbranch_execz .LBB88_104
; %bb.103:
	v_add_f32_e32 v4, 0, v4
	v_add_f32_e32 v4, v4, v5
	;; [unrolled: 1-line block ×5, first 2 shown]
	v_mul_lo_u32 v2, v9, s50
	v_mul_lo_u32 v3, v91, s45
	v_add3_u32 v2, v6, v3, v2
	v_mov_b32_e32 v3, 0
	v_lshl_add_u64 v[2:3], v[2:3], 2, v[0:1]
	global_store_dword v[2:3], v4, off
.LBB88_104:
	s_or_b64 exec, exec, s[0:1]
	v_cmp_gt_u32_e32 vcc, 3, v17
	s_and_saveexec_b64 s[0:1], vcc
	s_cbranch_execz .LBB88_107
; %bb.105:
	v_mov_b32_e32 v2, 0x100
	v_lshl_add_u32 v2, v17, 2, v2
	ds_read_b32 v2, v2 offset:40
	v_readlane_b32 s0, v112, 2
	v_readlane_b32 s1, v112, 3
	s_waitcnt lgkmcnt(0)
	v_cmp_lt_i32_e32 vcc, -1, v2
	s_and_b64 s[0:1], vcc, s[0:1]
	s_and_b64 exec, exec, s[0:1]
	s_cbranch_execz .LBB88_107
; %bb.106:
	v_add_u32_e32 v3, 0x90, v7
	ds_read2st64_b32 v[4:5], v3 offset0:50 offset1:51
	ds_read_b32 v7, v7 offset:13968
	ds_read2st64_b32 v[8:9], v3 offset0:52 offset1:53
	v_mul_lo_u32 v2, v2, s50
	v_mul_lo_u32 v3, v92, s45
	s_waitcnt lgkmcnt(2)
	v_add_f32_e32 v4, 0, v4
	v_add_f32_e32 v4, v4, v5
	s_waitcnt lgkmcnt(0)
	v_add_f32_e32 v4, v4, v8
	v_add_f32_e32 v4, v4, v9
	v_add3_u32 v2, v6, v3, v2
	v_mov_b32_e32 v3, 0
	v_add_f32_e32 v4, v4, v7
	v_lshl_add_u64 v[0:1], v[2:3], 2, v[0:1]
	global_store_dword v[0:1], v4, off
.LBB88_107:
	s_endpgm
	.section	.rodata,"a",@progbits
	.p2align	6, 0x0
	.amdhsa_kernel _ZL9mul_mat_fIfLi64ELi13ELi5ELb1EEvPKT_PKfPKiPfiiiiiiiiiiiiiiii
		.amdhsa_group_segment_fixed_size 256
		.amdhsa_private_segment_fixed_size 0
		.amdhsa_kernarg_size 352
		.amdhsa_user_sgpr_count 2
		.amdhsa_user_sgpr_dispatch_ptr 0
		.amdhsa_user_sgpr_queue_ptr 0
		.amdhsa_user_sgpr_kernarg_segment_ptr 1
		.amdhsa_user_sgpr_dispatch_id 0
		.amdhsa_user_sgpr_kernarg_preload_length 0
		.amdhsa_user_sgpr_kernarg_preload_offset 0
		.amdhsa_user_sgpr_private_segment_size 0
		.amdhsa_uses_dynamic_stack 0
		.amdhsa_enable_private_segment 0
		.amdhsa_system_sgpr_workgroup_id_x 1
		.amdhsa_system_sgpr_workgroup_id_y 1
		.amdhsa_system_sgpr_workgroup_id_z 1
		.amdhsa_system_sgpr_workgroup_info 0
		.amdhsa_system_vgpr_workitem_id 2
		.amdhsa_next_free_vgpr 113
		.amdhsa_next_free_sgpr 100
		.amdhsa_accum_offset 116
		.amdhsa_reserve_vcc 1
		.amdhsa_float_round_mode_32 0
		.amdhsa_float_round_mode_16_64 0
		.amdhsa_float_denorm_mode_32 3
		.amdhsa_float_denorm_mode_16_64 3
		.amdhsa_dx10_clamp 1
		.amdhsa_ieee_mode 1
		.amdhsa_fp16_overflow 0
		.amdhsa_tg_split 0
		.amdhsa_exception_fp_ieee_invalid_op 0
		.amdhsa_exception_fp_denorm_src 0
		.amdhsa_exception_fp_ieee_div_zero 0
		.amdhsa_exception_fp_ieee_overflow 0
		.amdhsa_exception_fp_ieee_underflow 0
		.amdhsa_exception_fp_ieee_inexact 0
		.amdhsa_exception_int_div_zero 0
	.end_amdhsa_kernel
	.section	.text._ZL9mul_mat_fIfLi64ELi13ELi5ELb1EEvPKT_PKfPKiPfiiiiiiiiiiiiiiii,"axG",@progbits,_ZL9mul_mat_fIfLi64ELi13ELi5ELb1EEvPKT_PKfPKiPfiiiiiiiiiiiiiiii,comdat
.Lfunc_end88:
	.size	_ZL9mul_mat_fIfLi64ELi13ELi5ELb1EEvPKT_PKfPKiPfiiiiiiiiiiiiiiii, .Lfunc_end88-_ZL9mul_mat_fIfLi64ELi13ELi5ELb1EEvPKT_PKfPKiPfiiiiiiiiiiiiiiii
                                        ; -- End function
	.set _ZL9mul_mat_fIfLi64ELi13ELi5ELb1EEvPKT_PKfPKiPfiiiiiiiiiiiiiiii.num_vgpr, 113
	.set _ZL9mul_mat_fIfLi64ELi13ELi5ELb1EEvPKT_PKfPKiPfiiiiiiiiiiiiiiii.num_agpr, 0
	.set _ZL9mul_mat_fIfLi64ELi13ELi5ELb1EEvPKT_PKfPKiPfiiiiiiiiiiiiiiii.numbered_sgpr, 100
	.set _ZL9mul_mat_fIfLi64ELi13ELi5ELb1EEvPKT_PKfPKiPfiiiiiiiiiiiiiiii.num_named_barrier, 0
	.set _ZL9mul_mat_fIfLi64ELi13ELi5ELb1EEvPKT_PKfPKiPfiiiiiiiiiiiiiiii.private_seg_size, 0
	.set _ZL9mul_mat_fIfLi64ELi13ELi5ELb1EEvPKT_PKfPKiPfiiiiiiiiiiiiiiii.uses_vcc, 1
	.set _ZL9mul_mat_fIfLi64ELi13ELi5ELb1EEvPKT_PKfPKiPfiiiiiiiiiiiiiiii.uses_flat_scratch, 0
	.set _ZL9mul_mat_fIfLi64ELi13ELi5ELb1EEvPKT_PKfPKiPfiiiiiiiiiiiiiiii.has_dyn_sized_stack, 0
	.set _ZL9mul_mat_fIfLi64ELi13ELi5ELb1EEvPKT_PKfPKiPfiiiiiiiiiiiiiiii.has_recursion, 0
	.set _ZL9mul_mat_fIfLi64ELi13ELi5ELb1EEvPKT_PKfPKiPfiiiiiiiiiiiiiiii.has_indirect_call, 0
	.section	.AMDGPU.csdata,"",@progbits
; Kernel info:
; codeLenInByte = 7920
; TotalNumSgprs: 106
; NumVgprs: 113
; NumAgprs: 0
; TotalNumVgprs: 113
; ScratchSize: 0
; MemoryBound: 0
; FloatMode: 240
; IeeeMode: 1
; LDSByteSize: 256 bytes/workgroup (compile time only)
; SGPRBlocks: 13
; VGPRBlocks: 14
; NumSGPRsForWavesPerEU: 106
; NumVGPRsForWavesPerEU: 113
; AccumOffset: 116
; Occupancy: 4
; WaveLimiterHint : 0
; COMPUTE_PGM_RSRC2:SCRATCH_EN: 0
; COMPUTE_PGM_RSRC2:USER_SGPR: 2
; COMPUTE_PGM_RSRC2:TRAP_HANDLER: 0
; COMPUTE_PGM_RSRC2:TGID_X_EN: 1
; COMPUTE_PGM_RSRC2:TGID_Y_EN: 1
; COMPUTE_PGM_RSRC2:TGID_Z_EN: 1
; COMPUTE_PGM_RSRC2:TIDIG_COMP_CNT: 2
; COMPUTE_PGM_RSRC3_GFX90A:ACCUM_OFFSET: 28
; COMPUTE_PGM_RSRC3_GFX90A:TG_SPLIT: 0
	.section	.text._ZL9mul_mat_fIfLi64ELi13ELi5ELb0EEvPKT_PKfPKiPfiiiiiiiiiiiiiiii,"axG",@progbits,_ZL9mul_mat_fIfLi64ELi13ELi5ELb0EEvPKT_PKfPKiPfiiiiiiiiiiiiiiii,comdat
	.globl	_ZL9mul_mat_fIfLi64ELi13ELi5ELb0EEvPKT_PKfPKiPfiiiiiiiiiiiiiiii ; -- Begin function _ZL9mul_mat_fIfLi64ELi13ELi5ELb0EEvPKT_PKfPKiPfiiiiiiiiiiiiiiii
	.p2align	8
	.type	_ZL9mul_mat_fIfLi64ELi13ELi5ELb0EEvPKT_PKfPKiPfiiiiiiiiiiiiiiii,@function
_ZL9mul_mat_fIfLi64ELi13ELi5ELb0EEvPKT_PKfPKiPfiiiiiiiiiiiiiiii: ; @_ZL9mul_mat_fIfLi64ELi13ELi5ELb0EEvPKT_PKfPKiPfiiiiiiiiiiiiiiii
; %bb.0:
	s_load_dword s5, s[0:1], 0x20
	s_load_dwordx4 s[16:19], s[0:1], 0x2c
	v_bfe_u32 v62, v0, 10, 10
	v_lshlrev_b32_e32 v64, 6, v62
	v_and_b32_e32 v63, 0x3ff, v0
	v_add_u32_e32 v66, v64, v63
	s_waitcnt lgkmcnt(0)
	s_ashr_i32 s19, s4, 31
	v_cmp_le_i32_e32 vcc, s5, v66
	v_and_b32_e32 v65, 15, v63
	s_and_saveexec_b64 s[6:7], vcc
	s_xor_b64 s[6:7], exec, s[6:7]
; %bb.1:
	v_and_b32_e32 v65, 15, v63
                                        ; implicit-def: $vgpr66
; %bb.2:
	s_or_saveexec_b64 s[24:25], s[6:7]
	s_load_dwordx8 s[8:15], s[0:1], 0x40
	s_load_dwordx2 s[6:7], s[0:1], 0x18
	v_mov_b32_e32 v11, 0
	s_lshl_b32 s2, s2, 6
	v_mov_b32_e32 v10, v11
	v_mov_b32_e32 v9, v11
	;; [unrolled: 1-line block ×15, first 2 shown]
	s_xor_b64 exec, exec, s[24:25]
	s_cbranch_execz .LBB89_6
; %bb.3:
	s_waitcnt lgkmcnt(0)
	s_abs_i32 s26, s8
	v_cvt_f32_u32_e32 v0, s26
	s_abs_i32 s27, s12
	v_cvt_f32_u32_e32 v1, s27
	s_sub_i32 s20, 0, s26
	v_rcp_iflag_f32_e32 v0, v0
	s_abs_i32 s28, s3
	v_rcp_iflag_f32_e32 v1, v1
	s_sub_i32 s21, 0, s27
	v_mul_f32_e32 v0, 0x4f7ffffe, v0
	v_cvt_u32_f32_e32 v0, v0
	v_mul_f32_e32 v1, 0x4f7ffffe, v1
	v_cvt_u32_f32_e32 v1, v1
	s_abs_i32 s29, s4
	v_mul_lo_u32 v2, s20, v0
	v_mul_hi_u32 v2, v0, v2
	v_add_u32_e32 v0, v0, v2
	v_mul_hi_u32 v0, s28, v0
	v_mul_lo_u32 v3, s21, v1
	v_mul_lo_u32 v2, v0, s26
	v_mul_hi_u32 v3, v1, v3
	v_sub_u32_e32 v2, s28, v2
	v_add_u32_e32 v1, v1, v3
	v_add_u32_e32 v3, 1, v0
	v_subrev_u32_e32 v4, s26, v2
	v_cmp_le_u32_e32 vcc, s26, v2
	s_load_dwordx4 s[20:23], s[0:1], 0x0
	s_ashr_i32 s0, s3, 31
	v_cndmask_b32_e32 v0, v0, v3, vcc
	v_cndmask_b32_e32 v2, v2, v4, vcc
	s_ashr_i32 s1, s8, 31
	v_add_u32_e32 v3, 1, v0
	v_cmp_le_u32_e32 vcc, s26, v2
	s_xor_b32 s0, s0, s1
	v_mul_hi_u32 v1, s29, v1
	v_cndmask_b32_e32 v0, v0, v3, vcc
	v_xor_b32_e32 v0, s0, v0
	v_subrev_u32_e32 v2, s0, v0
	v_mul_lo_u32 v0, v1, s27
	v_sub_u32_e32 v0, s29, v0
	v_add_u32_e32 v3, 1, v1
	v_subrev_u32_e32 v4, s27, v0
	v_cmp_le_u32_e32 vcc, s27, v0
	s_ashr_i32 s8, s12, 31
	s_xor_b32 s0, s19, s8
	v_cndmask_b32_e32 v1, v1, v3, vcc
	v_cndmask_b32_e32 v0, v0, v4, vcc
	v_add_u32_e32 v3, 1, v1
	v_cmp_le_u32_e32 vcc, s27, v0
	v_mul_lo_u32 v2, v2, s9
	s_mul_hi_i32 s9, s14, s4
	v_cndmask_b32_e32 v0, v1, v3, vcc
	s_mul_i32 s8, s14, s4
	v_xor_b32_e32 v0, s0, v0
	s_lshl_b64 s[8:9], s[8:9], 2
	v_subrev_u32_e32 v0, s0, v0
	s_mul_i32 s0, s16, s2
	s_mul_i32 s26, s10, s3
	s_waitcnt lgkmcnt(0)
	s_add_u32 s10, s22, s8
	v_mul_hi_i32 v1, v0, s13
	v_mul_lo_u32 v0, v0, s13
	s_addc_u32 s14, s23, s9
	s_ashr_i32 s1, s0, 31
	s_ashr_i32 s27, s26, 31
	v_ashrrev_i32_e32 v3, 31, v2
	v_lshlrev_b64 v[0:1], 2, v[0:1]
	s_lshl_b64 s[12:13], s[0:1], 2
	s_lshl_b64 s[26:27], s[26:27], 2
	v_lshl_add_u64 v[4:5], s[20:21], 0, v[0:1]
	v_lshlrev_b64 v[2:3], 2, v[2:3]
	s_add_u32 s0, s10, s26
	v_lshl_add_u64 v[4:5], v[4:5], 0, v[2:3]
	s_addc_u32 s1, s14, s27
	s_movk_i32 s10, 0x1080
	s_ashr_i32 s69, s16, 31
	s_mov_b32 s68, s16
	s_ashr_i32 s71, s17, 31
	s_mov_b32 s70, s17
	v_lshl_add_u64 v[16:17], v[4:5], 0, s[12:13]
	v_mad_u32_u24 v4, v62, s10, 0
	v_lshrrev_b32_e32 v6, 1, v63
	s_add_i32 s10, s16, s16
	s_add_i32 s14, s17, s17
	s_lshl_b32 s28, s17, 2
	s_lshl_b32 s33, s17, 3
	s_lshl_b32 s38, s16, 2
	s_lshl_b32 s42, s16, 3
	s_lshl_b32 s50, s16, 4
	s_lshl_b32 s66, s16, 5
	s_lshl_b64 s[72:73], s[68:69], 2
	s_lshl_b64 s[74:75], s[70:71], 2
	v_mul_u32_u24_e32 v5, 0x108, v65
	v_and_b32_e32 v6, 0x1f8, v6
	s_add_u32 s76, s22, s26
	v_mov_b32_e32 v19, 0
	v_add3_u32 v68, v4, v5, v6
	s_addc_u32 s77, s23, s27
	v_lshl_add_u64 v[2:3], s[20:21], 0, v[2:3]
	v_lshlrev_b32_e32 v6, 8, v62
	v_mov_b32_e32 v7, v19
	v_lshlrev_b32_e32 v18, 2, v63
	v_lshl_add_u64 v[2:3], v[2:3], 0, s[12:13]
	v_lshl_add_u64 v[8:9], s[8:9], 0, v[6:7]
	s_add_u32 s8, s76, s74
	v_add_u32_e32 v67, v4, v18
	v_lshl_add_u64 v[4:5], v[2:3], 0, s[72:73]
	s_addc_u32 s9, s77, s75
	v_lshl_add_u64 v[0:1], v[0:1], 0, v[6:7]
	s_mul_i32 s19, s17, 3
	s_mul_i32 s29, s17, 5
	;; [unrolled: 1-line block ×47, first 2 shown]
	v_lshl_add_u64 v[20:21], s[8:9], 0, v[8:9]
	s_mul_i32 s74, s16, 46
	s_mul_i32 s75, s16, 47
	v_lshl_add_u64 v[22:23], s[76:77], 0, v[8:9]
	s_mul_i32 s76, s16, 48
	s_mul_i32 s77, s16, 49
	v_lshl_add_u64 v[24:25], v[4:5], 0, v[0:1]
	v_lshl_add_u64 v[26:27], v[2:3], 0, v[0:1]
	v_mov_b32_e32 v12, v19
	v_mov_b32_e32 v13, v19
	v_mov_b32_e32 v14, v19
	v_mov_b32_e32 v15, v19
	v_mov_b32_e32 v0, v19
	v_mov_b32_e32 v1, v19
	v_mov_b32_e32 v2, v19
	v_mov_b32_e32 v3, v19
	v_mov_b32_e32 v4, v19
	v_mov_b32_e32 v5, v19
	v_mov_b32_e32 v6, v19
	v_mov_b32_e32 v8, v19
	v_mov_b32_e32 v9, v19
	v_mov_b32_e32 v10, v19
	v_mov_b32_e32 v11, v19
	s_mul_i32 s78, s16, 50
	s_mul_i32 s79, s16, 51
	;; [unrolled: 1-line block ×14, first 2 shown]
	s_mov_b64 s[8:9], 0
	s_mov_b64 s[12:13], 0x500
.LBB89_4:                               ; =>This Inner Loop Header: Depth=1
	v_add_u32_e32 v52, s10, v66
	v_add_u32_e32 v48, s38, v66
	;; [unrolled: 1-line block ×16, first 2 shown]
	v_ashrrev_i32_e32 v53, 31, v52
	v_ashrrev_i32_e32 v49, 31, v48
	;; [unrolled: 1-line block ×8, first 2 shown]
	v_lshl_add_u64 v[58:59], v[26:27], 0, v[18:19]
	v_lshl_add_u64 v[60:61], v[24:25], 0, v[18:19]
	;; [unrolled: 1-line block ×3, first 2 shown]
	v_add_u32_e32 v76, s52, v66
	v_add_u32_e32 v78, s53, v66
	v_ashrrev_i32_e32 v57, 31, v56
	v_lshl_add_u64 v[52:53], v[52:53], 2, v[16:17]
	v_ashrrev_i32_e32 v55, 31, v54
	v_lshl_add_u64 v[48:49], v[48:49], 2, v[16:17]
	;; [unrolled: 2-line block ×6, first 2 shown]
	v_lshl_add_u64 v[28:29], v[28:29], 2, v[16:17]
	v_lshl_add_u64 v[34:35], v[34:35], 2, v[16:17]
	v_ashrrev_i32_e32 v37, 31, v36
	v_ashrrev_i32_e32 v75, 31, v74
	v_lshl_add_u64 v[72:73], v[20:21], 0, v[18:19]
	v_add_u32_e32 v80, s54, v66
	v_add_u32_e32 v82, s55, v66
	global_load_dword v69, v[58:59], off
	s_nop 0
	global_load_dword v60, v[60:61], off
	s_nop 0
	global_load_dword v58, v[70:71], off
	global_load_dword v59, v[72:73], off
	v_lshl_add_u64 v[56:57], v[56:57], 2, v[16:17]
	global_load_dword v52, v[52:53], off
	s_nop 0
	global_load_dword v53, v[56:57], off
	v_lshl_add_u64 v[54:55], v[54:55], 2, v[16:17]
	global_load_dword v48, v[48:49], off
	s_nop 0
	;; [unrolled: 4-line block ×6, first 2 shown]
	global_load_dword v31, v[38:39], off
	s_nop 0
	global_load_dword v28, v[28:29], off
	s_nop 0
	global_load_dword v29, v[34:35], off
	v_lshl_add_u64 v[34:35], v[36:37], 2, v[16:17]
	v_lshl_add_u64 v[36:37], v[74:75], 2, v[16:17]
	v_ashrrev_i32_e32 v77, 31, v76
	v_ashrrev_i32_e32 v79, 31, v78
	v_add_u32_e32 v84, s56, v66
	v_add_u32_e32 v86, s57, v66
	global_load_dword v34, v[34:35], off
	s_nop 0
	global_load_dword v35, v[36:37], off
	v_lshl_add_u64 v[36:37], v[76:77], 2, v[16:17]
	v_lshl_add_u64 v[42:43], v[78:79], 2, v[16:17]
	v_ashrrev_i32_e32 v81, 31, v80
	v_ashrrev_i32_e32 v83, 31, v82
	v_add_u32_e32 v88, s58, v66
	v_add_u32_e32 v90, s59, v66
	;; [unrolled: 9-line block ×6, first 2 shown]
	v_add_u32_e32 v74, s22, v66
	v_add_u32_e32 v76, s23, v66
	global_load_dword v54, v[54:55], off
	s_nop 0
	global_load_dword v55, v[56:57], off
	v_lshl_add_u64 v[56:57], v[72:73], 2, v[16:17]
	v_lshl_add_u64 v[70:71], v[92:93], 2, v[16:17]
	v_ashrrev_i32_e32 v95, 31, v94
	v_ashrrev_i32_e32 v97, 31, v96
	v_add_u32_e32 v78, s20, v66
	v_add_u32_e32 v80, s21, v66
	global_load_dword v56, v[56:57], off
	s_nop 0
	global_load_dword v57, v[70:71], off
	v_lshl_add_u64 v[70:71], v[94:95], 2, v[16:17]
	v_lshl_add_u64 v[72:73], v[96:97], 2, v[16:17]
	v_ashrrev_i32_e32 v39, 31, v38
	v_ashrrev_i32_e32 v99, 31, v98
	v_ashrrev_i32_e32 v75, 31, v74
	v_ashrrev_i32_e32 v77, 31, v76
	v_add_u32_e32 v82, s26, v66
	v_add_u32_e32 v84, s27, v66
	global_load_dword v61, v[70:71], off
	s_nop 0
	global_load_dword v70, v[72:73], off
	v_lshl_add_u64 v[38:39], v[38:39], 2, v[16:17]
	v_lshl_add_u64 v[72:73], v[98:99], 2, v[16:17]
	;; [unrolled: 1-line block ×4, first 2 shown]
	v_ashrrev_i32_e32 v79, 31, v78
	v_ashrrev_i32_e32 v81, 31, v80
	v_add_u32_e32 v86, s68, v66
	v_add_u32_e32 v88, s69, v66
	global_load_dword v71, v[38:39], off
	s_nop 0
	global_load_dword v72, v[72:73], off
	s_nop 0
	;; [unrolled: 2-line block ×3, first 2 shown]
	global_load_dword v74, v[76:77], off
	v_lshl_add_u64 v[76:77], v[78:79], 2, v[16:17]
	v_lshl_add_u64 v[78:79], v[80:81], 2, v[16:17]
	v_ashrrev_i32_e32 v83, 31, v82
	v_ashrrev_i32_e32 v85, 31, v84
	v_add_u32_e32 v38, s70, v66
	v_add_u32_e32 v90, s71, v66
	global_load_dword v75, v[76:77], off
	s_nop 0
	global_load_dword v76, v[78:79], off
	v_lshl_add_u64 v[78:79], v[82:83], 2, v[16:17]
	v_lshl_add_u64 v[80:81], v[84:85], 2, v[16:17]
	v_ashrrev_i32_e32 v87, 31, v86
	v_ashrrev_i32_e32 v89, 31, v88
	global_load_dword v77, v[78:79], off
	s_nop 0
	global_load_dword v78, v[80:81], off
	v_lshl_add_u64 v[80:81], v[86:87], 2, v[16:17]
	v_lshl_add_u64 v[82:83], v[88:89], 2, v[16:17]
	v_ashrrev_i32_e32 v39, 31, v38
	v_ashrrev_i32_e32 v91, 31, v90
	global_load_dword v79, v[80:81], off
	s_nop 0
	global_load_dword v80, v[82:83], off
	v_lshl_add_u64 v[38:39], v[38:39], 2, v[16:17]
	v_lshl_add_u64 v[82:83], v[90:91], 2, v[16:17]
	v_add_u32_e32 v92, s72, v66
	v_add_u32_e32 v84, s73, v66
	;; [unrolled: 1-line block ×3, first 2 shown]
	global_load_dword v81, v[38:39], off
	s_nop 0
	global_load_dword v82, v[82:83], off
	v_add_u32_e32 v38, s75, v66
	v_ashrrev_i32_e32 v93, 31, v92
	v_ashrrev_i32_e32 v85, 31, v84
	;; [unrolled: 1-line block ×4, first 2 shown]
	v_lshl_add_u64 v[88:89], v[92:93], 2, v[16:17]
	v_lshl_add_u64 v[84:85], v[84:85], 2, v[16:17]
	;; [unrolled: 1-line block ×4, first 2 shown]
	global_load_dword v83, v[88:89], off
	s_nop 0
	global_load_dword v88, v[84:85], off
	v_add_u32_e32 v84, s76, v66
	global_load_dword v89, v[86:87], off
	global_load_dword v90, v[38:39], off
	v_add_u32_e32 v38, s77, v66
	v_ashrrev_i32_e32 v85, 31, v84
	v_ashrrev_i32_e32 v39, 31, v38
	v_lshl_add_u64 v[84:85], v[84:85], 2, v[16:17]
	v_lshl_add_u64 v[38:39], v[38:39], 2, v[16:17]
	global_load_dword v91, v[84:85], off
	global_load_dword v92, v[38:39], off
	v_add_u32_e32 v38, s78, v66
	v_ashrrev_i32_e32 v39, 31, v38
	v_lshl_add_u64 v[38:39], v[38:39], 2, v[16:17]
	global_load_dword v93, v[38:39], off
	v_add_u32_e32 v38, s79, v66
	v_ashrrev_i32_e32 v39, 31, v38
	v_lshl_add_u64 v[38:39], v[38:39], 2, v[16:17]
	;; [unrolled: 4-line block ×25, first 2 shown]
	global_load_dword v117, v[38:39], off
	s_waitcnt vmcnt(62)
	ds_write_b32 v67, v69
	ds_write_b32 v67, v60 offset:264
	ds_write_b32 v67, v52 offset:528
	ds_write_b32 v67, v53 offset:792
	ds_write_b32 v67, v48 offset:1056
	ds_write_b32 v67, v49 offset:1320
	ds_write_b32 v67, v44 offset:1584
	ds_write_b32 v67, v45 offset:1848
	ds_write_b32 v67, v40 offset:2112
	ds_write_b32 v67, v41 offset:2376
	ds_write_b32 v67, v32 offset:2640
	ds_write_b32 v67, v33 offset:2904
	ds_write_b32 v67, v30 offset:3168
	s_waitcnt vmcnt(61)
	ds_write_b32 v67, v31 offset:3432
	s_waitcnt vmcnt(60)
	ds_write_b32 v67, v28 offset:3696
	s_waitcnt vmcnt(59)
	ds_write_b32 v67, v29 offset:3960
	ds_read_b64 v[44:45], v68
	ds_read_b64 v[48:49], v68 offset:32
	ds_read_b64 v[52:53], v68 offset:64
	ds_read_b64 v[84:85], v68 offset:96
	ds_read_b64 v[86:87], v68 offset:128
	ds_read_b64 v[38:39], v68 offset:160
	ds_read_b64 v[32:33], v68 offset:192
	ds_read_b64 v[28:29], v68 offset:224
	s_waitcnt vmcnt(58)
	ds_write_b32 v67, v34
	s_waitcnt vmcnt(57)
	ds_write_b32 v67, v35 offset:264
	s_waitcnt vmcnt(56)
	ds_write_b32 v67, v36 offset:528
	s_waitcnt vmcnt(55)
	ds_write_b32 v67, v37 offset:792
	s_waitcnt vmcnt(54)
	ds_write_b32 v67, v42 offset:1056
	s_waitcnt vmcnt(53)
	ds_write_b32 v67, v43 offset:1320
	s_waitcnt vmcnt(52)
	ds_write_b32 v67, v46 offset:1584
	s_waitcnt vmcnt(51)
	ds_write_b32 v67, v47 offset:1848
	s_waitcnt vmcnt(50)
	ds_write_b32 v67, v50 offset:2112
	s_waitcnt vmcnt(49)
	ds_write_b32 v67, v51 offset:2376
	s_waitcnt vmcnt(48)
	ds_write_b32 v67, v54 offset:2640
	s_waitcnt vmcnt(47)
	ds_write_b32 v67, v55 offset:2904
	s_waitcnt vmcnt(46)
	ds_write_b32 v67, v56 offset:3168
	s_waitcnt vmcnt(45)
	ds_write_b32 v67, v57 offset:3432
	s_waitcnt vmcnt(44)
	ds_write_b32 v67, v61 offset:3696
	s_waitcnt vmcnt(43)
	ds_write_b32 v67, v70 offset:3960
	ds_read_b64 v[42:43], v68
	ds_read_b64 v[46:47], v68 offset:32
	ds_read_b64 v[50:51], v68 offset:64
	ds_read_b64 v[54:55], v68 offset:96
	ds_read_b64 v[56:57], v68 offset:128
	ds_read_b64 v[60:61], v68 offset:160
	ds_read_b64 v[40:41], v68 offset:192
	ds_read_b64 v[30:31], v68 offset:224
	s_waitcnt vmcnt(42)
	ds_write_b32 v67, v71
	s_waitcnt vmcnt(41)
	ds_write_b32 v67, v72 offset:264
	s_waitcnt vmcnt(40)
	ds_write_b32 v67, v73 offset:528
	s_waitcnt vmcnt(39)
	ds_write_b32 v67, v74 offset:792
	s_waitcnt vmcnt(38)
	ds_write_b32 v67, v75 offset:1056
	s_waitcnt vmcnt(37)
	ds_write_b32 v67, v76 offset:1320
	s_waitcnt vmcnt(36)
	ds_write_b32 v67, v77 offset:1584
	s_waitcnt vmcnt(35)
	ds_write_b32 v67, v78 offset:1848
	s_waitcnt vmcnt(34)
	ds_write_b32 v67, v79 offset:2112
	s_waitcnt vmcnt(33)
	ds_write_b32 v67, v80 offset:2376
	s_waitcnt vmcnt(32)
	ds_write_b32 v67, v81 offset:2640
	s_waitcnt vmcnt(31)
	ds_write_b32 v67, v82 offset:2904
	s_waitcnt vmcnt(30)
	ds_write_b32 v67, v83 offset:3168
	;; [unrolled: 40-line block ×3, first 2 shown]
	s_waitcnt vmcnt(13)
	ds_write_b32 v67, v104 offset:3432
	s_waitcnt vmcnt(12)
	ds_write_b32 v67, v105 offset:3696
	;; [unrolled: 2-line block ×3, first 2 shown]
	ds_read_b64 v[88:89], v68
	ds_read_b64 v[90:91], v68 offset:32
	ds_read_b64 v[92:93], v68 offset:64
	;; [unrolled: 1-line block ×7, first 2 shown]
	ds_write_b32 v67, v58
	ds_write_b32 v67, v59 offset:264
	s_waitcnt vmcnt(10)
	ds_write_b32 v67, v107 offset:528
	s_waitcnt vmcnt(9)
	;; [unrolled: 2-line block ×11, first 2 shown]
	ds_write_b32 v67, v117 offset:3168
	ds_write_b32 v67, v19 offset:3432
	;; [unrolled: 1-line block ×4, first 2 shown]
	ds_read_b64 v[58:59], v68
	s_waitcnt lgkmcnt(0)
	v_mfma_f32_16x16x4_f32 v[8:11], v44, v58, v[8:11]
	v_add_u32_e32 v66, 0x140, v66
	v_cmp_le_i32_e32 vcc, s5, v66
	v_lshl_add_u64 v[24:25], v[24:25], 0, s[12:13]
	v_lshl_add_u64 v[26:27], v[26:27], 0, s[12:13]
	;; [unrolled: 1-line block ×3, first 2 shown]
	s_or_b64 s[8:9], vcc, s[8:9]
	v_lshl_add_u64 v[22:23], v[22:23], 0, s[12:13]
	v_mfma_f32_16x16x4_f32 v[4:7], v42, v58, v[4:7]
	v_mfma_f32_16x16x4_f32 v[0:3], v70, v58, v[0:3]
	;; [unrolled: 1-line block ×5, first 2 shown]
	ds_read_b64 v[42:43], v68 offset:32
	v_mfma_f32_16x16x4_f32 v[0:3], v71, v59, v[0:3]
	v_mfma_f32_16x16x4_f32 v[12:15], v89, v59, v[12:15]
	s_waitcnt lgkmcnt(0)
	v_mfma_f32_16x16x4_f32 v[8:11], v48, v42, v[8:11]
	v_mfma_f32_16x16x4_f32 v[4:7], v46, v42, v[4:7]
	v_mfma_f32_16x16x4_f32 v[0:3], v72, v42, v[0:3]
	v_mfma_f32_16x16x4_f32 v[12:15], v90, v42, v[12:15]
	v_mfma_f32_16x16x4_f32 v[8:11], v49, v43, v[8:11]
	v_mfma_f32_16x16x4_f32 v[4:7], v47, v43, v[4:7]
	v_mfma_f32_16x16x4_f32 v[0:3], v73, v43, v[0:3]
	v_mfma_f32_16x16x4_f32 v[12:15], v91, v43, v[12:15]
	ds_read_b64 v[42:43], v68 offset:64
	s_waitcnt lgkmcnt(0)
	v_mfma_f32_16x16x4_f32 v[8:11], v52, v42, v[8:11]
	v_mfma_f32_16x16x4_f32 v[4:7], v50, v42, v[4:7]
	v_mfma_f32_16x16x4_f32 v[0:3], v74, v42, v[0:3]
	v_mfma_f32_16x16x4_f32 v[12:15], v92, v42, v[12:15]
	v_mfma_f32_16x16x4_f32 v[8:11], v53, v43, v[8:11]
	v_mfma_f32_16x16x4_f32 v[4:7], v51, v43, v[4:7]
	v_mfma_f32_16x16x4_f32 v[0:3], v75, v43, v[0:3]
	v_mfma_f32_16x16x4_f32 v[12:15], v93, v43, v[12:15]
	ds_read_b64 v[42:43], v68 offset:96
	;; [unrolled: 10-line block ×4, first 2 shown]
	s_waitcnt lgkmcnt(0)
	v_mfma_f32_16x16x4_f32 v[8:11], v38, v42, v[8:11]
	v_mfma_f32_16x16x4_f32 v[4:7], v60, v42, v[4:7]
	v_mfma_f32_16x16x4_f32 v[0:3], v80, v42, v[0:3]
	v_mfma_f32_16x16x4_f32 v[12:15], v98, v42, v[12:15]
	v_mfma_f32_16x16x4_f32 v[8:11], v39, v43, v[8:11]
	ds_read_b64 v[38:39], v68 offset:192
	v_mfma_f32_16x16x4_f32 v[4:7], v61, v43, v[4:7]
	v_mfma_f32_16x16x4_f32 v[0:3], v81, v43, v[0:3]
	;; [unrolled: 1-line block ×3, first 2 shown]
	s_waitcnt lgkmcnt(0)
	v_mfma_f32_16x16x4_f32 v[8:11], v32, v38, v[8:11]
	v_mfma_f32_16x16x4_f32 v[4:7], v40, v38, v[4:7]
	;; [unrolled: 1-line block ×5, first 2 shown]
	ds_read_b64 v[32:33], v68 offset:224
	v_mfma_f32_16x16x4_f32 v[4:7], v41, v39, v[4:7]
	v_mfma_f32_16x16x4_f32 v[0:3], v83, v39, v[0:3]
	;; [unrolled: 1-line block ×3, first 2 shown]
	s_waitcnt lgkmcnt(0)
	v_mfma_f32_16x16x4_f32 v[8:11], v28, v32, v[8:11]
	v_mfma_f32_16x16x4_f32 v[4:7], v30, v32, v[4:7]
	;; [unrolled: 1-line block ×8, first 2 shown]
	s_andn2_b64 exec, exec, s[8:9]
	s_cbranch_execnz .LBB89_4
; %bb.5:
	s_or_b64 exec, exec, s[8:9]
.LBB89_6:
	s_or_b64 exec, exec, s[24:25]
	s_waitcnt lgkmcnt(0)
	s_mul_hi_i32 s1, s15, s4
	s_mul_i32 s0, s15, s4
	s_lshl_b64 s[0:1], s[0:1], 2
	s_mul_i32 s4, s11, s3
	s_add_u32 s3, s6, s0
	s_addc_u32 s6, s7, s1
	s_ashr_i32 s5, s4, 31
	v_lshl_add_u32 v16, v64, 2, 0
	v_mul_u32_u24_e32 v17, 0x508, v65
	v_and_b32_e32 v18, 0x3f0, v63
	s_lshl_b64 s[0:1], s[4:5], 2
	v_add3_u32 v16, v16, v17, v18
	s_add_u32 s0, s3, s0
	s_barrier
	s_movk_i32 s3, 0x508
	ds_write2_b32 v16, v8, v9 offset1:1
	ds_write2_b32 v16, v10, v11 offset0:2 offset1:3
	ds_write2_b32 v16, v4, v5 offset0:16 offset1:17
	;; [unrolled: 1-line block ×7, first 2 shown]
	v_lshl_add_u32 v2, v63, 2, 0
	v_mad_u32_u24 v3, v62, s3, v2
	s_waitcnt lgkmcnt(0)
	s_barrier
	ds_read2st64_b32 v[0:1], v3 offset1:1
	ds_read2st64_b32 v[4:5], v3 offset0:2 offset1:3
	ds_read_b32 v6, v3 offset:1024
	ds_read_b32 v10, v3 offset:7464
	v_add_u32_e32 v3, 40, v3
	s_addc_u32 s1, s6, s1
	v_cmp_gt_u32_e32 vcc, 3, v62
	s_waitcnt lgkmcnt(3)
	v_add_f32_e32 v0, 0, v0
	v_add_f32_e32 v0, v0, v1
	s_waitcnt lgkmcnt(2)
	v_add_f32_e32 v0, v0, v4
	v_add_f32_e32 v0, v0, v5
	ds_read2st64_b32 v[4:5], v3 offset0:25 offset1:26
	s_waitcnt lgkmcnt(2)
	v_add_f32_e32 v11, v0, v6
	ds_read2st64_b32 v[6:7], v3 offset0:27 offset1:28
	v_mul_lo_u32 v0, v62, s18
	v_add3_u32 v0, s2, v63, v0
	s_waitcnt lgkmcnt(1)
	v_add_f32_e32 v3, 0, v4
	v_add_f32_e32 v3, v3, v5
	v_mov_b32_e32 v1, 0
	s_waitcnt lgkmcnt(0)
	v_add_f32_e32 v3, v3, v6
	s_mul_i32 s2, s18, 5
	v_lshl_add_u64 v[8:9], v[0:1], 2, s[0:1]
	v_add_f32_e32 v3, v3, v7
	v_add_u32_e32 v0, s2, v0
	v_add_f32_e32 v3, v3, v10
	v_lshl_add_u64 v[4:5], v[0:1], 2, s[0:1]
	global_store_dword v[8:9], v11, off
	global_store_dword v[4:5], v3, off
	s_and_saveexec_b64 s[4:5], vcc
	s_cbranch_execz .LBB89_8
; %bb.7:
	v_mul_u32_u24_e32 v3, 0x508, v62
	v_add_u32_e32 v6, v2, v3
	v_add_u32_e32 v4, 0x50, v6
	ds_read2st64_b32 v[2:3], v4 offset0:50 offset1:51
	ds_read2st64_b32 v[4:5], v4 offset0:52 offset1:53
	ds_read_b32 v6, v6 offset:13904
	v_add_u32_e32 v0, s2, v0
	v_lshl_add_u64 v[0:1], v[0:1], 2, s[0:1]
	s_waitcnt lgkmcnt(2)
	v_add_f32_e32 v2, 0, v2
	v_add_f32_e32 v2, v2, v3
	s_waitcnt lgkmcnt(1)
	v_add_f32_e32 v2, v2, v4
	v_add_f32_e32 v2, v2, v5
	s_waitcnt lgkmcnt(0)
	v_add_f32_e32 v2, v2, v6
	global_store_dword v[0:1], v2, off
.LBB89_8:
	s_endpgm
	.section	.rodata,"a",@progbits
	.p2align	6, 0x0
	.amdhsa_kernel _ZL9mul_mat_fIfLi64ELi13ELi5ELb0EEvPKT_PKfPKiPfiiiiiiiiiiiiiiii
		.amdhsa_group_segment_fixed_size 0
		.amdhsa_private_segment_fixed_size 0
		.amdhsa_kernarg_size 96
		.amdhsa_user_sgpr_count 2
		.amdhsa_user_sgpr_dispatch_ptr 0
		.amdhsa_user_sgpr_queue_ptr 0
		.amdhsa_user_sgpr_kernarg_segment_ptr 1
		.amdhsa_user_sgpr_dispatch_id 0
		.amdhsa_user_sgpr_kernarg_preload_length 0
		.amdhsa_user_sgpr_kernarg_preload_offset 0
		.amdhsa_user_sgpr_private_segment_size 0
		.amdhsa_uses_dynamic_stack 0
		.amdhsa_enable_private_segment 0
		.amdhsa_system_sgpr_workgroup_id_x 1
		.amdhsa_system_sgpr_workgroup_id_y 1
		.amdhsa_system_sgpr_workgroup_id_z 1
		.amdhsa_system_sgpr_workgroup_info 0
		.amdhsa_system_vgpr_workitem_id 1
		.amdhsa_next_free_vgpr 118
		.amdhsa_next_free_sgpr 91
		.amdhsa_accum_offset 120
		.amdhsa_reserve_vcc 1
		.amdhsa_float_round_mode_32 0
		.amdhsa_float_round_mode_16_64 0
		.amdhsa_float_denorm_mode_32 3
		.amdhsa_float_denorm_mode_16_64 3
		.amdhsa_dx10_clamp 1
		.amdhsa_ieee_mode 1
		.amdhsa_fp16_overflow 0
		.amdhsa_tg_split 0
		.amdhsa_exception_fp_ieee_invalid_op 0
		.amdhsa_exception_fp_denorm_src 0
		.amdhsa_exception_fp_ieee_div_zero 0
		.amdhsa_exception_fp_ieee_overflow 0
		.amdhsa_exception_fp_ieee_underflow 0
		.amdhsa_exception_fp_ieee_inexact 0
		.amdhsa_exception_int_div_zero 0
	.end_amdhsa_kernel
	.section	.text._ZL9mul_mat_fIfLi64ELi13ELi5ELb0EEvPKT_PKfPKiPfiiiiiiiiiiiiiiii,"axG",@progbits,_ZL9mul_mat_fIfLi64ELi13ELi5ELb0EEvPKT_PKfPKiPfiiiiiiiiiiiiiiii,comdat
.Lfunc_end89:
	.size	_ZL9mul_mat_fIfLi64ELi13ELi5ELb0EEvPKT_PKfPKiPfiiiiiiiiiiiiiiii, .Lfunc_end89-_ZL9mul_mat_fIfLi64ELi13ELi5ELb0EEvPKT_PKfPKiPfiiiiiiiiiiiiiiii
                                        ; -- End function
	.set _ZL9mul_mat_fIfLi64ELi13ELi5ELb0EEvPKT_PKfPKiPfiiiiiiiiiiiiiiii.num_vgpr, 118
	.set _ZL9mul_mat_fIfLi64ELi13ELi5ELb0EEvPKT_PKfPKiPfiiiiiiiiiiiiiiii.num_agpr, 0
	.set _ZL9mul_mat_fIfLi64ELi13ELi5ELb0EEvPKT_PKfPKiPfiiiiiiiiiiiiiiii.numbered_sgpr, 91
	.set _ZL9mul_mat_fIfLi64ELi13ELi5ELb0EEvPKT_PKfPKiPfiiiiiiiiiiiiiiii.num_named_barrier, 0
	.set _ZL9mul_mat_fIfLi64ELi13ELi5ELb0EEvPKT_PKfPKiPfiiiiiiiiiiiiiiii.private_seg_size, 0
	.set _ZL9mul_mat_fIfLi64ELi13ELi5ELb0EEvPKT_PKfPKiPfiiiiiiiiiiiiiiii.uses_vcc, 1
	.set _ZL9mul_mat_fIfLi64ELi13ELi5ELb0EEvPKT_PKfPKiPfiiiiiiiiiiiiiiii.uses_flat_scratch, 0
	.set _ZL9mul_mat_fIfLi64ELi13ELi5ELb0EEvPKT_PKfPKiPfiiiiiiiiiiiiiiii.has_dyn_sized_stack, 0
	.set _ZL9mul_mat_fIfLi64ELi13ELi5ELb0EEvPKT_PKfPKiPfiiiiiiiiiiiiiiii.has_recursion, 0
	.set _ZL9mul_mat_fIfLi64ELi13ELi5ELb0EEvPKT_PKfPKiPfiiiiiiiiiiiiiiii.has_indirect_call, 0
	.section	.AMDGPU.csdata,"",@progbits
; Kernel info:
; codeLenInByte = 5276
; TotalNumSgprs: 97
; NumVgprs: 118
; NumAgprs: 0
; TotalNumVgprs: 118
; ScratchSize: 0
; MemoryBound: 0
; FloatMode: 240
; IeeeMode: 1
; LDSByteSize: 0 bytes/workgroup (compile time only)
; SGPRBlocks: 12
; VGPRBlocks: 14
; NumSGPRsForWavesPerEU: 97
; NumVGPRsForWavesPerEU: 118
; AccumOffset: 120
; Occupancy: 4
; WaveLimiterHint : 0
; COMPUTE_PGM_RSRC2:SCRATCH_EN: 0
; COMPUTE_PGM_RSRC2:USER_SGPR: 2
; COMPUTE_PGM_RSRC2:TRAP_HANDLER: 0
; COMPUTE_PGM_RSRC2:TGID_X_EN: 1
; COMPUTE_PGM_RSRC2:TGID_Y_EN: 1
; COMPUTE_PGM_RSRC2:TGID_Z_EN: 1
; COMPUTE_PGM_RSRC2:TIDIG_COMP_CNT: 1
; COMPUTE_PGM_RSRC3_GFX90A:ACCUM_OFFSET: 29
; COMPUTE_PGM_RSRC3_GFX90A:TG_SPLIT: 0
	.section	.text._ZL13mul_mat_f_idsIfLi64ELi13ELi6EEvPKT_PKfPKiS6_S6_Pfiiiiiiiiiiiiii15HIP_vector_typeIjLj3EES9_,"axG",@progbits,_ZL13mul_mat_f_idsIfLi64ELi13ELi6EEvPKT_PKfPKiS6_S6_Pfiiiiiiiiiiiiii15HIP_vector_typeIjLj3EES9_,comdat
	.globl	_ZL13mul_mat_f_idsIfLi64ELi13ELi6EEvPKT_PKfPKiS6_S6_Pfiiiiiiiiiiiiii15HIP_vector_typeIjLj3EES9_ ; -- Begin function _ZL13mul_mat_f_idsIfLi64ELi13ELi6EEvPKT_PKfPKiS6_S6_Pfiiiiiiiiiiiiii15HIP_vector_typeIjLj3EES9_
	.p2align	8
	.type	_ZL13mul_mat_f_idsIfLi64ELi13ELi6EEvPKT_PKfPKiS6_S6_Pfiiiiiiiiiiiiii15HIP_vector_typeIjLj3EES9_,@function
_ZL13mul_mat_f_idsIfLi64ELi13ELi6EEvPKT_PKfPKiS6_S6_Pfiiiiiiiiiiiiii15HIP_vector_typeIjLj3EES9_: ; @_ZL13mul_mat_f_idsIfLi64ELi13ELi6EEvPKT_PKfPKiS6_S6_Pfiiiiiiiiiiiiii15HIP_vector_typeIjLj3EES9_
; %bb.0:
	s_load_dwordx2 s[6:7], s[0:1], 0x20
	s_mov_b32 s34, s3
	s_ashr_i32 s35, s3, 31
	s_lshl_b64 s[8:9], s[34:35], 2
	s_waitcnt lgkmcnt(0)
	s_add_u32 s6, s6, s8
	s_addc_u32 s7, s7, s9
	s_load_dwordx2 s[30:31], s[6:7], 0x0
	s_waitcnt lgkmcnt(0)
	s_sub_i32 s26, s31, s30
	s_add_i32 s3, s26, 12
	s_mul_hi_i32 s3, s3, 0x4ec4ec4f
	s_lshr_b32 s5, s3, 31
	s_ashr_i32 s3, s3, 2
	s_add_i32 s3, s3, s5
	s_cmp_ge_i32 s4, s3
	s_cbranch_scc1 .LBB90_56
; %bb.1:
	v_bfe_u32 v16, v0, 10, 10
	v_lshlrev_b32_e32 v86, 6, v16
	v_and_b32_e32 v17, 0x3ff, v0
	s_load_dwordx4 s[12:15], s[0:1], 0x30
	s_load_dwordx2 s[20:21], s[0:1], 0x40
	s_load_dwordx4 s[8:11], s[0:1], 0x4c
	s_load_dwordx4 s[16:19], s[0:1], 0x68
	s_load_dwordx2 s[24:25], s[0:1], 0x78
	v_add_u32_e32 v88, v86, v17
	s_ashr_i32 s31, s30, 31
	s_waitcnt lgkmcnt(0)
	v_cmp_le_i32_e32 vcc, s12, v88
	v_and_b32_e32 v87, 15, v17
	s_and_saveexec_b64 s[6:7], vcc
	s_xor_b64 s[6:7], exec, s[6:7]
; %bb.2:
	v_and_b32_e32 v87, 15, v17
                                        ; implicit-def: $vgpr88
; %bb.3:
	s_or_saveexec_b64 s[36:37], s[6:7]
	s_load_dwordx2 s[22:23], s[0:1], 0x18
	s_load_dwordx2 s[6:7], s[0:1], 0x28
                                        ; implicit-def: $vgpr106 : SGPR spill to VGPR lane
	v_mov_b32_e32 v11, 0
	s_lshl_b32 s11, s2, 6
	s_mul_i32 s28, s4, 13
	v_mov_b32_e32 v10, v11
	s_waitcnt lgkmcnt(0)
	v_writelane_b32 v106, s6, 0
	v_mov_b32_e32 v9, v11
	v_mov_b32_e32 v8, v11
	;; [unrolled: 1-line block ×14, first 2 shown]
	v_writelane_b32 v106, s7, 1
	s_xor_b64 exec, exec, s[36:37]
	s_cbranch_execz .LBB90_46
; %bb.4:
	s_load_dwordx4 s[4:7], s[0:1], 0x0
	s_load_dwordx2 s[2:3], s[0:1], 0x10
	v_writelane_b32 v106, s36, 2
	s_mul_i32 s0, s8, s34
	s_ashr_i32 s1, s0, 31
	v_writelane_b32 v106, s37, 3
	v_writelane_b32 v106, s22, 4
	s_lshl_b64 s[64:65], s[0:1], 2
	s_waitcnt lgkmcnt(0)
	s_add_u32 s0, s4, s64
	v_writelane_b32 v106, s23, 5
	s_mul_i32 s22, s15, s11
	v_writelane_b32 v106, s24, 6
	s_addc_u32 s1, s5, s65
	s_ashr_i32 s23, s22, 31
	v_writelane_b32 v106, s25, 7
	s_lshl_b64 s[66:67], s[22:23], 2
	v_writelane_b32 v106, s11, 8
	s_add_u32 s0, s0, s66
	s_addc_u32 s1, s1, s67
	v_writelane_b32 v106, s30, 9
	s_lshl_b64 s[22:23], s[30:31], 2
	s_add_u32 s8, s2, s22
	s_addc_u32 s11, s3, s23
	s_movk_i32 s2, 0x1080
	s_cmp_lt_i32 s28, s26
	v_writelane_b32 v106, s31, 10
	v_mad_u32_u24 v1, v16, s2, 0
	s_cselect_b64 s[2:3], -1, 0
	v_writelane_b32 v106, s2, 11
	s_ashr_i32 s29, s28, 31
	s_mov_b32 s22, s15
	v_writelane_b32 v106, s3, 12
	s_lshl_b64 s[2:3], s[28:29], 2
	s_add_u32 s36, s8, s2
	s_addc_u32 s37, s11, s3
	s_add_i32 s2, s28, 1
	s_cmp_lt_i32 s2, s26
	s_cselect_b64 s[2:3], -1, 0
	v_writelane_b32 v106, s2, 13
	v_lshrrev_b32_e32 v3, 1, v17
	v_lshlrev_b32_e32 v0, 2, v17
	v_writelane_b32 v106, s3, 14
	s_add_i32 s2, s28, 2
	s_cmp_lt_i32 s2, s26
	s_cselect_b64 s[2:3], -1, 0
	v_writelane_b32 v106, s2, 15
	v_mul_u32_u24_e32 v2, 0x108, v87
	v_and_b32_e32 v3, 0x1f8, v3
	v_writelane_b32 v106, s3, 16
	s_add_i32 s2, s28, 3
	s_cmp_lt_i32 s2, s26
	s_cselect_b64 s[2:3], -1, 0
	v_writelane_b32 v106, s2, 17
	v_lshlrev_b32_e32 v18, 8, v16
	v_mov_b32_e32 v19, 0
	v_writelane_b32 v106, s3, 18
	s_add_i32 s2, s28, 4
	s_cmp_lt_i32 s2, s26
	s_cselect_b64 s[2:3], -1, 0
	v_writelane_b32 v106, s2, 19
	v_add_u32_e32 v89, v1, v0
	v_add3_u32 v90, v1, v2, v3
	v_writelane_b32 v106, s3, 20
	s_add_i32 s2, s28, 5
	s_cmp_lt_i32 s2, s26
	s_cselect_b64 s[2:3], -1, 0
	v_writelane_b32 v106, s2, 21
	v_mov_b32_e32 v1, v19
	s_mul_i32 s8, s15, 3
	v_writelane_b32 v106, s3, 22
	s_add_i32 s2, s28, 6
	s_cmp_lt_i32 s2, s26
	s_cselect_b64 s[48:49], -1, 0
	s_add_i32 s2, s28, 7
	s_cmp_lt_i32 s2, s26
	s_cselect_b64 s[50:51], -1, 0
	;; [unrolled: 3-line block ×5, first 2 shown]
	s_add_i32 s2, s28, 11
	s_cmp_lt_i32 s2, s26
	s_mov_b32 s2, s28
	v_writelane_b32 v106, s2, 23
	s_cselect_b64 s[58:59], -1, 0
	s_mul_i32 s69, s15, 5
	v_writelane_b32 v106, s3, 24
	s_add_i32 s2, s28, 12
	s_cmp_lt_i32 s2, s26
	s_cselect_b64 s[60:61], -1, 0
	s_ashr_i32 s23, s15, 31
	s_add_i32 s3, s15, s15
	s_lshl_b32 s68, s15, 2
	s_lshl_b32 s72, s15, 3
	;; [unrolled: 1-line block ×4, first 2 shown]
	s_lshl_b64 s[62:63], s[22:23], 2
	s_add_u32 s22, s64, s66
	s_addc_u32 s23, s65, s67
	v_lshl_add_u64 v[2:3], s[22:23], 0, v[18:19]
	v_lshl_add_u64 v[0:1], v[2:3], 0, v[0:1]
	v_writelane_b32 v106, s26, 25
	s_mul_i32 s70, s15, 6
	s_mul_i32 s71, s15, 7
	;; [unrolled: 1-line block ×21, first 2 shown]
	v_lshl_add_u64 v[20:21], s[4:5], 0, v[0:1]
	v_mov_b32_e32 v12, 0
	v_mov_b32_e32 v13, v19
	;; [unrolled: 1-line block ×16, first 2 shown]
	s_mul_i32 s90, s15, 29
	s_mul_i32 s91, s15, 30
	;; [unrolled: 1-line block ×34, first 2 shown]
	s_mov_b64 s[4:5], 0
	s_branch .LBB90_6
.LBB90_5:                               ;   in Loop: Header=BB90_6 Depth=1
	s_waitcnt vmcnt(0)
	ds_write2_b32 v89, v18, v92 offset1:66
	ds_write2_b32 v89, v91, v94 offset0:132 offset1:198
	v_add_u32_e32 v18, 0x400, v89
	ds_write2_b32 v18, v93, v96 offset0:8 offset1:74
	ds_write2_b32 v18, v95, v98 offset0:140 offset1:206
	v_add_u32_e32 v18, 0x800, v89
	ds_write2_b32 v18, v97, v100 offset0:16 offset1:82
	;; [unrolled: 3-line block ×3, first 2 shown]
	ds_write2_b32 v18, v19, v19 offset0:156 offset1:222
	ds_read2_b64 v[92:95], v90 offset1:4
	v_add_u32_e32 v88, 0x180, v88
	s_waitcnt lgkmcnt(0)
	v_mfma_f32_16x16x4_f32 v[8:11], v52, v92, v[8:11]
	s_mov_b64 vcc, 0x600
	v_lshl_add_u64 v[20:21], v[20:21], 0, vcc
	v_cmp_le_i32_e32 vcc, s12, v88
	s_or_b64 s[4:5], vcc, s[4:5]
	v_mfma_f32_16x16x4_f32 v[4:7], v64, v92, v[4:7]
	v_mfma_f32_16x16x4_f32 v[0:3], v78, v92, v[0:3]
	;; [unrolled: 1-line block ×15, first 2 shown]
	ds_read2_b64 v[82:85], v90 offset0:8 offset1:12
	s_waitcnt lgkmcnt(0)
	v_mfma_f32_16x16x4_f32 v[8:11], v38, v82, v[8:11]
	v_mfma_f32_16x16x4_f32 v[4:7], v56, v82, v[4:7]
	;; [unrolled: 1-line block ×14, first 2 shown]
	ds_read2_b64 v[50:53], v90 offset0:16 offset1:20
	v_mfma_f32_16x16x4_f32 v[0:3], v63, v85, v[0:3]
	v_mfma_f32_16x16x4_f32 v[12:15], v77, v85, v[12:15]
	s_waitcnt lgkmcnt(0)
	v_mfma_f32_16x16x4_f32 v[8:11], v30, v50, v[8:11]
	v_mfma_f32_16x16x4_f32 v[4:7], v42, v50, v[4:7]
	;; [unrolled: 1-line block ×14, first 2 shown]
	ds_read2_b64 v[34:37], v90 offset0:24 offset1:28
	v_mfma_f32_16x16x4_f32 v[0:3], v55, v53, v[0:3]
	v_mfma_f32_16x16x4_f32 v[12:15], v71, v53, v[12:15]
	s_waitcnt lgkmcnt(0)
	v_mfma_f32_16x16x4_f32 v[8:11], v24, v34, v[8:11]
	v_mfma_f32_16x16x4_f32 v[4:7], v32, v34, v[4:7]
	;; [unrolled: 1-line block ×16, first 2 shown]
	s_andn2_b64 exec, exec, s[4:5]
	s_cbranch_execz .LBB90_45
.LBB90_6:                               ; =>This Inner Loop Header: Depth=1
	v_lshl_add_u64 v[22:23], v[20:21], 0, s[62:63]
	global_load_dword v18, v[20:21], off
	global_load_dword v48, v[22:23], off
	v_add_u32_e32 v22, s3, v88
	v_ashrrev_i32_e32 v23, 31, v22
	v_add_u32_e32 v24, s8, v88
	v_add_u32_e32 v26, s68, v88
	;; [unrolled: 1-line block ×5, first 2 shown]
	v_lshl_add_u64 v[22:23], v[22:23], 2, s[0:1]
	v_ashrrev_i32_e32 v25, 31, v24
	v_ashrrev_i32_e32 v27, 31, v26
	;; [unrolled: 1-line block ×5, first 2 shown]
	v_lshl_add_u64 v[24:25], v[24:25], 2, s[0:1]
	v_lshl_add_u64 v[26:27], v[26:27], 2, s[0:1]
	;; [unrolled: 1-line block ×5, first 2 shown]
	global_load_dword v49, v[22:23], off
	global_load_dword v50, v[24:25], off
	global_load_dword v51, v[26:27], off
	global_load_dword v52, v[28:29], off
	global_load_dword v53, v[30:31], off
	global_load_dword v54, v[32:33], off
	v_add_u32_e32 v22, s72, v88
	v_add_u32_e32 v40, s81, v88
	;; [unrolled: 1-line block ×10, first 2 shown]
	v_ashrrev_i32_e32 v23, 31, v22
	v_ashrrev_i32_e32 v41, 31, v40
	;; [unrolled: 1-line block ×10, first 2 shown]
	v_lshl_add_u64 v[22:23], v[22:23], 2, s[0:1]
	v_lshl_add_u64 v[40:41], v[40:41], 2, s[0:1]
	v_add_u32_e32 v42, s82, v88
	v_add_u32_e32 v46, s84, v88
	v_lshl_add_u64 v[24:25], v[24:25], 2, s[0:1]
	v_lshl_add_u64 v[26:27], v[26:27], 2, s[0:1]
	;; [unrolled: 1-line block ×8, first 2 shown]
	global_load_dword v55, v[22:23], off
	global_load_dword v56, v[24:25], off
	;; [unrolled: 1-line block ×9, first 2 shown]
	s_nop 0
	global_load_dword v40, v[40:41], off
	v_add_u32_e32 v22, s64, v88
	v_add_u32_e32 v44, s83, v88
	v_ashrrev_i32_e32 v43, 31, v42
	v_ashrrev_i32_e32 v47, 31, v46
	;; [unrolled: 1-line block ×3, first 2 shown]
	v_add_u32_e32 v24, s65, v88
	v_add_u32_e32 v26, s66, v88
	;; [unrolled: 1-line block ×4, first 2 shown]
	v_ashrrev_i32_e32 v45, 31, v44
	v_lshl_add_u64 v[42:43], v[42:43], 2, s[0:1]
	v_lshl_add_u64 v[46:47], v[46:47], 2, s[0:1]
	;; [unrolled: 1-line block ×3, first 2 shown]
	v_ashrrev_i32_e32 v25, 31, v24
	v_ashrrev_i32_e32 v27, 31, v26
	;; [unrolled: 1-line block ×4, first 2 shown]
	v_lshl_add_u64 v[44:45], v[44:45], 2, s[0:1]
	v_lshl_add_u64 v[24:25], v[24:25], 2, s[0:1]
	;; [unrolled: 1-line block ×5, first 2 shown]
	v_add_u32_e32 v32, s92, v88
	v_add_u32_e32 v34, s85, v88
	;; [unrolled: 1-line block ×3, first 2 shown]
	v_ashrrev_i32_e32 v33, 31, v32
	v_ashrrev_i32_e32 v35, 31, v34
	;; [unrolled: 1-line block ×3, first 2 shown]
	v_lshl_add_u64 v[32:33], v[32:33], 2, s[0:1]
	s_waitcnt vmcnt(17)
	ds_write_b32 v89, v18
	s_waitcnt vmcnt(16)
	ds_write_b32 v89, v48 offset:264
	s_waitcnt vmcnt(15)
	ds_write_b32 v89, v49 offset:528
	;; [unrolled: 2-line block ×7, first 2 shown]
	global_load_dword v18, v[42:43], off
	global_load_dword v41, v[44:45], off
	s_nop 0
	global_load_dword v42, v[46:47], off
	global_load_dword v43, v[22:23], off
	s_nop 0
	global_load_dword v46, v[24:25], off
	global_load_dword v47, v[26:27], off
	;; [unrolled: 1-line block ×4, first 2 shown]
	v_add_u32_e32 v22, s87, v88
	v_ashrrev_i32_e32 v23, 31, v22
	v_add_u32_e32 v24, s88, v88
	v_add_u32_e32 v26, s89, v88
	;; [unrolled: 1-line block ×4, first 2 shown]
	v_lshl_add_u64 v[22:23], v[22:23], 2, s[0:1]
	v_ashrrev_i32_e32 v25, 31, v24
	v_ashrrev_i32_e32 v27, 31, v26
	;; [unrolled: 1-line block ×4, first 2 shown]
	v_lshl_add_u64 v[24:25], v[24:25], 2, s[0:1]
	v_lshl_add_u64 v[26:27], v[26:27], 2, s[0:1]
	v_lshl_add_u64 v[28:29], v[28:29], 2, s[0:1]
	v_lshl_add_u64 v[30:31], v[30:31], 2, s[0:1]
	v_lshl_add_u64 v[34:35], v[34:35], 2, s[0:1]
	v_lshl_add_u64 v[36:37], v[36:37], 2, s[0:1]
	global_load_dword v50, v[22:23], off
	global_load_dword v51, v[24:25], off
	global_load_dword v54, v[26:27], off
	global_load_dword v64, v[28:29], off
	global_load_dword v65, v[30:31], off
	global_load_dword v66, v[32:33], off
	global_load_dword v67, v[34:35], off
	global_load_dword v68, v[36:37], off
	v_add_u32_e32 v22, s94, v88
	v_ashrrev_i32_e32 v23, 31, v22
	v_add_u32_e32 v24, s95, v88
	v_add_u32_e32 v26, s96, v88
	v_add_u32_e32 v28, s97, v88
	v_add_u32_e32 v30, s98, v88
	v_add_u32_e32 v32, s99, v88
	v_add_u32_e32 v34, s24, v88
	v_add_u32_e32 v36, s25, v88
	v_lshl_add_u64 v[22:23], v[22:23], 2, s[0:1]
	v_ashrrev_i32_e32 v25, 31, v24
	v_ashrrev_i32_e32 v27, 31, v26
	v_ashrrev_i32_e32 v29, 31, v28
	v_ashrrev_i32_e32 v31, 31, v30
	v_ashrrev_i32_e32 v33, 31, v32
	v_ashrrev_i32_e32 v35, 31, v34
	v_ashrrev_i32_e32 v37, 31, v36
	v_lshl_add_u64 v[24:25], v[24:25], 2, s[0:1]
	v_lshl_add_u64 v[26:27], v[26:27], 2, s[0:1]
	v_lshl_add_u64 v[28:29], v[28:29], 2, s[0:1]
	v_lshl_add_u64 v[30:31], v[30:31], 2, s[0:1]
	v_lshl_add_u64 v[32:33], v[32:33], 2, s[0:1]
	v_lshl_add_u64 v[34:35], v[34:35], 2, s[0:1]
	v_lshl_add_u64 v[36:37], v[36:37], 2, s[0:1]
	global_load_dword v69, v[22:23], off
	global_load_dword v70, v[24:25], off
	global_load_dword v71, v[26:27], off
	global_load_dword v72, v[28:29], off
	global_load_dword v73, v[30:31], off
	global_load_dword v74, v[32:33], off
	global_load_dword v75, v[34:35], off
	global_load_dword v76, v[36:37], off
	v_add_u32_e32 v22, s11, v88
	v_ashrrev_i32_e32 v23, 31, v22
	v_add_u32_e32 v24, s22, v88
	v_add_u32_e32 v26, s23, v88
	v_add_u32_e32 v28, s28, v88
	v_add_u32_e32 v30, s29, v88
	v_add_u32_e32 v32, s30, v88
	v_add_u32_e32 v34, s31, v88
	v_add_u32_e32 v36, s26, v88
	v_lshl_add_u64 v[22:23], v[22:23], 2, s[0:1]
	v_ashrrev_i32_e32 v25, 31, v24
	v_ashrrev_i32_e32 v27, 31, v26
	v_ashrrev_i32_e32 v29, 31, v28
	v_ashrrev_i32_e32 v31, 31, v30
	v_ashrrev_i32_e32 v33, 31, v32
	v_ashrrev_i32_e32 v35, 31, v34
	v_ashrrev_i32_e32 v37, 31, v36
	v_lshl_add_u64 v[24:25], v[24:25], 2, s[0:1]
	;; [unrolled: 32-line block ×3, first 2 shown]
	v_lshl_add_u64 v[26:27], v[26:27], 2, s[0:1]
	v_lshl_add_u64 v[28:29], v[28:29], 2, s[0:1]
	;; [unrolled: 1-line block ×6, first 2 shown]
	global_load_dword v85, v[22:23], off
	global_load_dword v91, v[24:25], off
	;; [unrolled: 1-line block ×8, first 2 shown]
	v_add_u32_e32 v22, s41, v88
	v_ashrrev_i32_e32 v23, 31, v22
	v_add_u32_e32 v24, s42, v88
	v_add_u32_e32 v26, s43, v88
	;; [unrolled: 1-line block ×5, first 2 shown]
	v_lshl_add_u64 v[22:23], v[22:23], 2, s[0:1]
	v_ashrrev_i32_e32 v25, 31, v24
	v_ashrrev_i32_e32 v27, 31, v26
	;; [unrolled: 1-line block ×5, first 2 shown]
	v_lshl_add_u64 v[24:25], v[24:25], 2, s[0:1]
	v_lshl_add_u64 v[26:27], v[26:27], 2, s[0:1]
	;; [unrolled: 1-line block ×5, first 2 shown]
	global_load_dword v98, v[22:23], off
	global_load_dword v99, v[24:25], off
	;; [unrolled: 1-line block ×6, first 2 shown]
	s_waitcnt vmcnt(55)
	ds_write_b32 v89, v55 offset:2112
	s_waitcnt vmcnt(54)
	ds_write_b32 v89, v56 offset:2376
	s_waitcnt vmcnt(53)
	ds_write_b32 v89, v57 offset:2640
	s_waitcnt vmcnt(52)
	ds_write_b32 v89, v58 offset:2904
	s_waitcnt vmcnt(51)
	ds_write_b32 v89, v59 offset:3168
	s_waitcnt vmcnt(50)
	ds_write_b32 v89, v60 offset:3432
	s_waitcnt vmcnt(49)
	ds_write_b32 v89, v61 offset:3696
	s_waitcnt vmcnt(48)
	ds_write_b32 v89, v62 offset:3960
	ds_read_b64 v[52:53], v90
	ds_read_b64 v[44:45], v90 offset:32
	ds_read_b64 v[38:39], v90 offset:64
	ds_read_b64 v[34:35], v90 offset:96
	ds_read_b64 v[30:31], v90 offset:128
	ds_read_b64 v[26:27], v90 offset:160
	ds_read_b64 v[24:25], v90 offset:192
	ds_read_b64 v[22:23], v90 offset:224
	s_waitcnt vmcnt(47)
	ds_write_b32 v89, v63
	s_waitcnt vmcnt(46)
	ds_write_b32 v89, v40 offset:264
	s_waitcnt vmcnt(45)
	ds_write_b32 v89, v18 offset:528
	s_waitcnt vmcnt(44)
	ds_write_b32 v89, v41 offset:792
	s_waitcnt vmcnt(43)
	ds_write_b32 v89, v42 offset:1056
	s_waitcnt vmcnt(42)
	ds_write_b32 v89, v43 offset:1320
	s_waitcnt vmcnt(41)
	ds_write_b32 v89, v46 offset:1584
	s_waitcnt vmcnt(40)
	ds_write_b32 v89, v47 offset:1848
	s_waitcnt vmcnt(39)
	ds_write_b32 v89, v48 offset:2112
	s_waitcnt vmcnt(38)
	ds_write_b32 v89, v49 offset:2376
	s_waitcnt vmcnt(37)
	ds_write_b32 v89, v50 offset:2640
	s_waitcnt vmcnt(36)
	ds_write_b32 v89, v51 offset:2904
	s_waitcnt vmcnt(35)
	ds_write_b32 v89, v54 offset:3168
	s_waitcnt vmcnt(34)
	ds_write_b32 v89, v64 offset:3432
	s_waitcnt vmcnt(33)
	ds_write_b32 v89, v65 offset:3696
	s_waitcnt vmcnt(32)
	ds_write_b32 v89, v66 offset:3960
	ds_read_b64 v[64:65], v90
	ds_read_b64 v[60:61], v90 offset:32
	ds_read_b64 v[56:57], v90 offset:64
	ds_read_b64 v[50:51], v90 offset:96
	ds_read_b64 v[42:43], v90 offset:128
	ds_read_b64 v[36:37], v90 offset:160
	ds_read_b64 v[32:33], v90 offset:192
	ds_read_b64 v[28:29], v90 offset:224
	s_waitcnt vmcnt(31)
	ds_write_b32 v89, v67
	s_waitcnt vmcnt(30)
	ds_write_b32 v89, v68 offset:264
	s_waitcnt vmcnt(29)
	ds_write_b32 v89, v69 offset:528
	s_waitcnt vmcnt(28)
	ds_write_b32 v89, v70 offset:792
	s_waitcnt vmcnt(27)
	ds_write_b32 v89, v71 offset:1056
	s_waitcnt vmcnt(26)
	ds_write_b32 v89, v72 offset:1320
	s_waitcnt vmcnt(25)
	ds_write_b32 v89, v73 offset:1584
	s_waitcnt vmcnt(24)
	ds_write_b32 v89, v74 offset:1848
	;; [unrolled: 40-line block ×3, first 2 shown]
	s_waitcnt vmcnt(7)
	ds_write_b32 v89, v96 offset:2112
	s_waitcnt vmcnt(6)
	ds_write_b32 v89, v97 offset:2376
	;; [unrolled: 2-line block ×8, first 2 shown]
	ds_read_b64 v[84:85], v90
	ds_read_b64 v[82:83], v90 offset:32
	ds_read_b64 v[80:81], v90 offset:64
	;; [unrolled: 1-line block ×7, first 2 shown]
	v_readlane_b32 s46, v106, 11
	v_readlane_b32 s47, v106, 12
	s_andn2_b64 vcc, exec, s[46:47]
	v_mov_b32_e32 v18, 0
	s_cbranch_vccnz .LBB90_9
; %bb.7:                                ;   in Loop: Header=BB90_6 Depth=1
	s_load_dword vcc_lo, s[36:37], 0x0
	v_mov_b32_e32 v18, 0
	s_waitcnt lgkmcnt(0)
	s_mul_hi_u32 vcc_hi, vcc_lo, s16
	s_add_i32 vcc_hi, vcc_lo, vcc_hi
	s_lshr_b32 s46, vcc_hi, s17
	s_cmp_ge_i32 s46, s13
	s_cbranch_scc1 .LBB90_9
; %bb.8:                                ;   in Loop: Header=BB90_6 Depth=1
	s_mul_i32 vcc_hi, s46, s18
	s_sub_i32 s47, vcc_lo, vcc_hi
	s_mul_i32 s47, s47, s9
	s_mul_i32 s46, s46, s20
	s_add_i32 s46, s46, s47
	v_add_u32_e32 v92, s46, v88
	v_ashrrev_i32_e32 v93, 31, v92
	v_lshl_add_u64 v[92:93], v[92:93], 2, s[6:7]
	global_load_dword v18, v[92:93], off
.LBB90_9:                               ;   in Loop: Header=BB90_6 Depth=1
	v_readlane_b32 s46, v106, 13
	v_readlane_b32 s47, v106, 14
	v_mov_b32_e32 v91, 0
	s_andn2_b64 vcc, exec, s[46:47]
	v_mov_b32_e32 v92, 0
	s_cbranch_vccnz .LBB90_12
; %bb.10:                               ;   in Loop: Header=BB90_6 Depth=1
	s_load_dword vcc_lo, s[36:37], 0x4
	v_mov_b32_e32 v92, 0
	s_waitcnt lgkmcnt(0)
	s_mul_hi_u32 s46, vcc_lo, s16
	s_add_i32 s46, vcc_lo, s46
	s_lshr_b32 vcc_hi, s46, s17
	s_cmp_ge_i32 vcc_hi, s13
	s_cbranch_scc1 .LBB90_12
; %bb.11:                               ;   in Loop: Header=BB90_6 Depth=1
	s_mul_i32 s46, vcc_hi, s18
	s_sub_i32 s46, vcc_lo, s46
	s_mul_i32 s46, s46, s9
	s_mul_i32 s47, vcc_hi, s20
	s_add_i32 s47, s47, s46
	v_add_u32_e32 v92, s47, v88
	v_ashrrev_i32_e32 v93, 31, v92
	v_lshl_add_u64 v[92:93], v[92:93], 2, s[6:7]
	global_load_dword v92, v[92:93], off
.LBB90_12:                              ;   in Loop: Header=BB90_6 Depth=1
	v_readlane_b32 s46, v106, 15
	v_readlane_b32 s47, v106, 16
	s_andn2_b64 vcc, exec, s[46:47]
	s_cbranch_vccnz .LBB90_15
; %bb.13:                               ;   in Loop: Header=BB90_6 Depth=1
	s_load_dword vcc_lo, s[36:37], 0x8
	v_mov_b32_e32 v91, 0
	s_waitcnt lgkmcnt(0)
	s_mul_hi_u32 s46, vcc_lo, s16
	s_add_i32 s46, vcc_lo, s46
	s_lshr_b32 vcc_hi, s46, s17
	s_cmp_ge_i32 vcc_hi, s13
	s_cbranch_scc1 .LBB90_15
; %bb.14:                               ;   in Loop: Header=BB90_6 Depth=1
	s_mul_i32 s46, vcc_hi, s18
	s_sub_i32 s46, vcc_lo, s46
	s_mul_i32 s46, s46, s9
	s_mul_i32 s47, vcc_hi, s20
	s_add_i32 s47, s47, s46
	v_add_u32_e32 v94, s47, v88
	v_ashrrev_i32_e32 v95, 31, v94
	v_lshl_add_u64 v[94:95], v[94:95], 2, s[6:7]
	global_load_dword v91, v[94:95], off
.LBB90_15:                              ;   in Loop: Header=BB90_6 Depth=1
	v_readlane_b32 s46, v106, 17
	v_readlane_b32 s47, v106, 18
	v_mov_b32_e32 v93, 0
	s_andn2_b64 vcc, exec, s[46:47]
	v_mov_b32_e32 v94, 0
	s_cbranch_vccnz .LBB90_18
; %bb.16:                               ;   in Loop: Header=BB90_6 Depth=1
	s_load_dword vcc_lo, s[36:37], 0xc
	v_mov_b32_e32 v94, 0
	s_waitcnt lgkmcnt(0)
	s_mul_hi_u32 s46, vcc_lo, s16
	s_add_i32 s46, vcc_lo, s46
	s_lshr_b32 vcc_hi, s46, s17
	s_cmp_ge_i32 vcc_hi, s13
	s_cbranch_scc1 .LBB90_18
; %bb.17:                               ;   in Loop: Header=BB90_6 Depth=1
	s_mul_i32 s46, vcc_hi, s18
	s_sub_i32 s46, vcc_lo, s46
	s_mul_i32 s46, s46, s9
	s_mul_i32 s47, vcc_hi, s20
	s_add_i32 s47, s47, s46
	v_add_u32_e32 v94, s47, v88
	v_ashrrev_i32_e32 v95, 31, v94
	v_lshl_add_u64 v[94:95], v[94:95], 2, s[6:7]
	global_load_dword v94, v[94:95], off
.LBB90_18:                              ;   in Loop: Header=BB90_6 Depth=1
	v_readlane_b32 s46, v106, 19
	v_readlane_b32 s47, v106, 20
	s_andn2_b64 vcc, exec, s[46:47]
	s_cbranch_vccnz .LBB90_21
; %bb.19:                               ;   in Loop: Header=BB90_6 Depth=1
	s_load_dword vcc_lo, s[36:37], 0x10
	v_mov_b32_e32 v93, 0
	s_waitcnt lgkmcnt(0)
	s_mul_hi_u32 s46, vcc_lo, s16
	s_add_i32 s46, vcc_lo, s46
	s_lshr_b32 vcc_hi, s46, s17
	s_cmp_ge_i32 vcc_hi, s13
	s_cbranch_scc1 .LBB90_21
; %bb.20:                               ;   in Loop: Header=BB90_6 Depth=1
	s_mul_i32 s46, vcc_hi, s18
	s_sub_i32 s46, vcc_lo, s46
	s_mul_i32 s46, s46, s9
	s_mul_i32 s47, vcc_hi, s20
	s_add_i32 s47, s47, s46
	v_add_u32_e32 v96, s47, v88
	v_ashrrev_i32_e32 v97, 31, v96
	v_lshl_add_u64 v[96:97], v[96:97], 2, s[6:7]
	global_load_dword v93, v[96:97], off
.LBB90_21:                              ;   in Loop: Header=BB90_6 Depth=1
	v_readlane_b32 s46, v106, 21
	v_readlane_b32 s47, v106, 22
	v_mov_b32_e32 v95, 0
	s_andn2_b64 vcc, exec, s[46:47]
	v_mov_b32_e32 v96, 0
	s_cbranch_vccnz .LBB90_24
; %bb.22:                               ;   in Loop: Header=BB90_6 Depth=1
	s_load_dword vcc_lo, s[36:37], 0x14
	v_mov_b32_e32 v96, 0
	s_waitcnt lgkmcnt(0)
	s_mul_hi_u32 s46, vcc_lo, s16
	s_add_i32 s46, vcc_lo, s46
	s_lshr_b32 vcc_hi, s46, s17
	s_cmp_ge_i32 vcc_hi, s13
	s_cbranch_scc1 .LBB90_24
; %bb.23:                               ;   in Loop: Header=BB90_6 Depth=1
	s_mul_i32 s46, vcc_hi, s18
	s_sub_i32 s46, vcc_lo, s46
	s_mul_i32 s46, s46, s9
	s_mul_i32 s47, vcc_hi, s20
	s_add_i32 s47, s47, s46
	v_add_u32_e32 v96, s47, v88
	v_ashrrev_i32_e32 v97, 31, v96
	v_lshl_add_u64 v[96:97], v[96:97], 2, s[6:7]
	global_load_dword v96, v[96:97], off
.LBB90_24:                              ;   in Loop: Header=BB90_6 Depth=1
	s_andn2_b64 vcc, exec, s[48:49]
	s_cbranch_vccnz .LBB90_27
; %bb.25:                               ;   in Loop: Header=BB90_6 Depth=1
	s_load_dword vcc_lo, s[36:37], 0x18
	v_mov_b32_e32 v95, 0
	s_waitcnt lgkmcnt(0)
	s_mul_hi_u32 s46, vcc_lo, s16
	s_add_i32 s46, vcc_lo, s46
	s_lshr_b32 vcc_hi, s46, s17
	s_cmp_ge_i32 vcc_hi, s13
	s_cbranch_scc1 .LBB90_27
; %bb.26:                               ;   in Loop: Header=BB90_6 Depth=1
	s_mul_i32 s46, vcc_hi, s18
	s_sub_i32 s46, vcc_lo, s46
	s_mul_i32 s46, s46, s9
	s_mul_i32 s47, vcc_hi, s20
	s_add_i32 s47, s47, s46
	v_add_u32_e32 v98, s47, v88
	v_ashrrev_i32_e32 v99, 31, v98
	v_lshl_add_u64 v[98:99], v[98:99], 2, s[6:7]
	global_load_dword v95, v[98:99], off
.LBB90_27:                              ;   in Loop: Header=BB90_6 Depth=1
	v_mov_b32_e32 v97, 0
	s_andn2_b64 vcc, exec, s[50:51]
	v_mov_b32_e32 v98, 0
	s_cbranch_vccnz .LBB90_30
; %bb.28:                               ;   in Loop: Header=BB90_6 Depth=1
	s_load_dword vcc_lo, s[36:37], 0x1c
	v_mov_b32_e32 v98, 0
	s_waitcnt lgkmcnt(0)
	s_mul_hi_u32 s46, vcc_lo, s16
	s_add_i32 s46, vcc_lo, s46
	s_lshr_b32 vcc_hi, s46, s17
	s_cmp_ge_i32 vcc_hi, s13
	s_cbranch_scc1 .LBB90_30
; %bb.29:                               ;   in Loop: Header=BB90_6 Depth=1
	s_mul_i32 s46, vcc_hi, s18
	s_sub_i32 s46, vcc_lo, s46
	s_mul_i32 s46, s46, s9
	s_mul_i32 s47, vcc_hi, s20
	s_add_i32 s47, s47, s46
	v_add_u32_e32 v98, s47, v88
	v_ashrrev_i32_e32 v99, 31, v98
	v_lshl_add_u64 v[98:99], v[98:99], 2, s[6:7]
	global_load_dword v98, v[98:99], off
.LBB90_30:                              ;   in Loop: Header=BB90_6 Depth=1
	s_andn2_b64 vcc, exec, s[52:53]
	s_cbranch_vccnz .LBB90_33
; %bb.31:                               ;   in Loop: Header=BB90_6 Depth=1
	s_load_dword vcc_lo, s[36:37], 0x20
	v_mov_b32_e32 v97, 0
	s_waitcnt lgkmcnt(0)
	s_mul_hi_u32 s46, vcc_lo, s16
	s_add_i32 s46, vcc_lo, s46
	s_lshr_b32 vcc_hi, s46, s17
	s_cmp_ge_i32 vcc_hi, s13
	s_cbranch_scc1 .LBB90_33
; %bb.32:                               ;   in Loop: Header=BB90_6 Depth=1
	s_mul_i32 s46, vcc_hi, s18
	s_sub_i32 s46, vcc_lo, s46
	s_mul_i32 s46, s46, s9
	s_mul_i32 s47, vcc_hi, s20
	s_add_i32 s47, s47, s46
	v_add_u32_e32 v100, s47, v88
	v_ashrrev_i32_e32 v101, 31, v100
	v_lshl_add_u64 v[100:101], v[100:101], 2, s[6:7]
	global_load_dword v97, v[100:101], off
.LBB90_33:                              ;   in Loop: Header=BB90_6 Depth=1
	;; [unrolled: 46-line block ×3, first 2 shown]
	v_mov_b32_e32 v101, 0
	s_andn2_b64 vcc, exec, s[58:59]
	v_mov_b32_e32 v102, 0
	s_cbranch_vccnz .LBB90_42
; %bb.40:                               ;   in Loop: Header=BB90_6 Depth=1
	s_load_dword vcc_lo, s[36:37], 0x2c
	v_mov_b32_e32 v102, 0
	s_waitcnt lgkmcnt(0)
	s_mul_hi_u32 s46, vcc_lo, s16
	s_add_i32 s46, vcc_lo, s46
	s_lshr_b32 vcc_hi, s46, s17
	s_cmp_ge_i32 vcc_hi, s13
	s_cbranch_scc1 .LBB90_42
; %bb.41:                               ;   in Loop: Header=BB90_6 Depth=1
	s_mul_i32 s46, vcc_hi, s18
	s_sub_i32 s46, vcc_lo, s46
	s_mul_i32 s46, s46, s9
	s_mul_i32 s47, vcc_hi, s20
	s_add_i32 s47, s47, s46
	v_add_u32_e32 v102, s47, v88
	v_ashrrev_i32_e32 v103, 31, v102
	v_lshl_add_u64 v[102:103], v[102:103], 2, s[6:7]
	global_load_dword v102, v[102:103], off
.LBB90_42:                              ;   in Loop: Header=BB90_6 Depth=1
	s_andn2_b64 vcc, exec, s[60:61]
	s_cbranch_vccnz .LBB90_5
; %bb.43:                               ;   in Loop: Header=BB90_6 Depth=1
	s_load_dword vcc_lo, s[36:37], 0x30
	v_mov_b32_e32 v101, 0
	s_waitcnt lgkmcnt(0)
	s_mul_hi_u32 s46, vcc_lo, s16
	s_add_i32 s46, vcc_lo, s46
	s_lshr_b32 vcc_hi, s46, s17
	s_cmp_ge_i32 vcc_hi, s13
	s_cbranch_scc1 .LBB90_5
; %bb.44:                               ;   in Loop: Header=BB90_6 Depth=1
	s_mul_i32 s46, vcc_hi, s18
	s_sub_i32 s46, vcc_lo, s46
	s_mul_i32 s46, s46, s9
	s_mul_i32 s47, vcc_hi, s20
	s_add_i32 s47, s47, s46
	v_add_u32_e32 v104, s47, v88
	v_ashrrev_i32_e32 v105, 31, v104
	v_lshl_add_u64 v[104:105], v[104:105], 2, s[6:7]
	global_load_dword v101, v[104:105], off
	s_branch .LBB90_5
.LBB90_45:
	s_or_b64 exec, exec, s[4:5]
	v_readlane_b32 s24, v106, 6
	v_readlane_b32 s30, v106, 9
	;; [unrolled: 1-line block ×12, first 2 shown]
.LBB90_46:
	s_or_b64 exec, exec, s[36:37]
	s_lshl_b64 s[0:1], s[30:31], 2
	s_add_u32 s4, s22, s0
	v_lshl_add_u32 v18, v86, 2, 0
	v_mul_u32_u24_e32 v19, 0x608, v87
	v_and_b32_e32 v20, 0x3f0, v17
	s_addc_u32 s5, s23, s1
	v_add3_u32 v18, v18, v19, v20
	s_barrier
	ds_write2_b32 v18, v8, v9 offset1:1
	ds_write2_b32 v18, v10, v11 offset0:2 offset1:3
	ds_write2_b32 v18, v4, v5 offset0:16 offset1:17
	;; [unrolled: 1-line block ×7, first 2 shown]
	s_cmp_gt_i32 s14, 0
	v_add_u32_e32 v0, s28, v16
	s_cselect_b64 s[6:7], -1, 0
	v_cmp_gt_i32_e64 s[0:1], s26, v0
	v_cmp_gt_u32_e32 vcc, 13, v16
	s_and_b64 s[0:1], s[6:7], s[0:1]
	v_lshl_add_u32 v3, v17, 2, 0
	v_add_u32_e32 v2, s11, v17
	v_mul_u32_u24_e32 v4, 0x608, v16
	s_and_b64 s[2:3], vcc, s[0:1]
	s_waitcnt lgkmcnt(0)
	s_barrier
	s_and_saveexec_b64 s[0:1], s[2:3]
	s_cbranch_execz .LBB90_49
; %bb.47:
	v_ashrrev_i32_e32 v1, 31, v0
	v_lshl_add_u64 v[6:7], v[0:1], 2, s[4:5]
	global_load_dword v5, v[6:7], off
	s_waitcnt vmcnt(0)
	v_mul_hi_u32 v1, v5, s19
	v_add_u32_e32 v1, v5, v1
	v_lshrrev_b32_e32 v1, s24, v1
	v_cmp_gt_i32_e32 vcc, s13, v1
	s_and_b64 exec, exec, vcc
	s_cbranch_execz .LBB90_49
; %bb.48:
	v_add_u32_e32 v10, v3, v4
	ds_read2st64_b32 v[6:7], v10 offset1:1
	ds_read2st64_b32 v[8:9], v10 offset0:2 offset1:3
	ds_read2st64_b32 v[10:11], v10 offset0:4 offset1:5
	v_mul_lo_u32 v12, v1, s25
	v_sub_u32_e32 v5, v5, v12
	v_mul_lo_u32 v5, v5, s10
	s_waitcnt lgkmcnt(2)
	v_add_f32_e32 v6, 0, v6
	v_add_f32_e32 v6, v6, v7
	s_waitcnt lgkmcnt(1)
	v_add_f32_e32 v6, v6, v8
	v_add_f32_e32 v6, v6, v9
	s_waitcnt lgkmcnt(0)
	v_add_f32_e32 v6, v6, v10
	v_mul_lo_u32 v1, v1, s21
	v_readlane_b32 s2, v106, 0
	v_add_f32_e32 v8, v6, v11
	v_add3_u32 v6, v2, v1, v5
	v_mov_b32_e32 v7, 0
	v_readlane_b32 s3, v106, 1
	s_nop 1
	v_lshl_add_u64 v[6:7], v[6:7], 2, s[2:3]
	global_store_dword v[6:7], v8, off
.LBB90_49:
	s_or_b64 exec, exec, s[0:1]
	v_add_u32_e32 v0, 6, v0
	v_cmp_gt_i32_e64 s[0:1], s26, v0
	v_cmp_gt_u32_e32 vcc, 7, v16
	s_and_b64 s[0:1], s[6:7], s[0:1]
	s_and_b64 s[2:3], vcc, s[0:1]
	s_and_saveexec_b64 s[0:1], s[2:3]
	s_cbranch_execz .LBB90_52
; %bb.50:
	s_ashr_i32 s29, s28, 31
	v_mov_b32_e32 v17, 0
	v_lshl_add_u64 v[0:1], v[16:17], 0, s[28:29]
	v_lshl_add_u64 v[0:1], v[0:1], 2, s[4:5]
	global_load_dword v1, v[0:1], off offset:24
	s_waitcnt vmcnt(0)
	v_mul_hi_u32 v0, v1, s19
	v_add_u32_e32 v0, v1, v0
	v_lshrrev_b32_e32 v0, s24, v0
	v_cmp_gt_i32_e32 vcc, s13, v0
	s_and_b64 exec, exec, vcc
	s_cbranch_execz .LBB90_52
; %bb.51:
	v_add_u32_e32 v4, v4, v3
	v_add_u32_e32 v8, 48, v4
	ds_read2st64_b32 v[4:5], v8 offset0:36 offset1:37
	ds_read2st64_b32 v[6:7], v8 offset0:38 offset1:39
	v_mul_lo_u32 v9, v0, s25
	v_sub_u32_e32 v1, v1, v9
	ds_read2st64_b32 v[8:9], v8 offset0:40 offset1:41
	s_waitcnt lgkmcnt(2)
	v_add_f32_e32 v4, 0, v4
	v_add_f32_e32 v4, v4, v5
	s_waitcnt lgkmcnt(1)
	v_add_f32_e32 v4, v4, v6
	v_add_f32_e32 v4, v4, v7
	v_mul_lo_u32 v1, v1, s10
	v_mul_lo_u32 v0, v0, s21
	v_readlane_b32 s2, v106, 0
	s_waitcnt lgkmcnt(0)
	v_add_f32_e32 v4, v4, v8
	v_add3_u32 v0, v2, v0, v1
	v_mov_b32_e32 v1, v17
	v_readlane_b32 s3, v106, 1
	v_add_f32_e32 v4, v4, v9
	s_nop 0
	v_lshl_add_u64 v[0:1], v[0:1], 2, s[2:3]
	global_store_dword v[0:1], v4, off
.LBB90_52:
	s_or_b64 exec, exec, s[0:1]
	v_cmp_eq_u32_e32 vcc, 0, v16
	s_and_saveexec_b64 s[0:1], vcc
	s_cbranch_execz .LBB90_56
; %bb.53:
	s_add_i32 s0, s28, 12
	s_cmp_ge_i32 s0, s26
	s_cselect_b64 s[0:1], -1, 0
	s_xor_b64 s[2:3], s[6:7], -1
	s_or_b64 s[0:1], s[2:3], s[0:1]
	s_and_b64 vcc, exec, s[0:1]
	s_cbranch_vccnz .LBB90_56
; %bb.54:
	s_ashr_i32 s29, s28, 31
	s_lshl_b64 s[0:1], s[28:29], 2
	s_add_u32 s0, s4, s0
	s_addc_u32 s1, s5, s1
	s_load_dword s1, s[0:1], 0x30
	s_waitcnt lgkmcnt(0)
	s_mul_hi_u32 s0, s1, s19
	s_add_i32 s0, s1, s0
	s_lshr_b32 s0, s0, s24
	s_cmp_ge_i32 s0, s13
	s_cbranch_scc1 .LBB90_56
; %bb.55:
	v_add_u32_e32 v3, 0x60, v3
	ds_read2st64_b32 v[0:1], v3 offset0:72 offset1:73
	ds_read2st64_b32 v[4:5], v3 offset0:74 offset1:75
	;; [unrolled: 1-line block ×3, first 2 shown]
	s_mul_i32 s2, s0, s25
	s_sub_i32 s1, s1, s2
	s_mul_i32 s1, s1, s10
	s_waitcnt lgkmcnt(2)
	v_add_f32_e32 v0, 0, v0
	v_add_f32_e32 v0, v0, v1
	s_waitcnt lgkmcnt(1)
	v_add_f32_e32 v0, v0, v4
	v_add_f32_e32 v0, v0, v5
	s_mul_i32 s0, s0, s21
	s_waitcnt lgkmcnt(0)
	v_add_f32_e32 v0, v0, v6
	s_add_i32 s1, s1, s0
	v_add_f32_e32 v3, v0, v7
	v_add_u32_e32 v0, s1, v2
	v_readlane_b32 s0, v106, 0
	v_mov_b32_e32 v1, 0
	v_readlane_b32 s1, v106, 1
	s_nop 1
	v_lshl_add_u64 v[0:1], v[0:1], 2, s[0:1]
	global_store_dword v[0:1], v3, off
.LBB90_56:
	s_endpgm
	.section	.rodata,"a",@progbits
	.p2align	6, 0x0
	.amdhsa_kernel _ZL13mul_mat_f_idsIfLi64ELi13ELi6EEvPKT_PKfPKiS6_S6_Pfiiiiiiiiiiiiii15HIP_vector_typeIjLj3EES9_
		.amdhsa_group_segment_fixed_size 0
		.amdhsa_private_segment_fixed_size 0
		.amdhsa_kernarg_size 128
		.amdhsa_user_sgpr_count 2
		.amdhsa_user_sgpr_dispatch_ptr 0
		.amdhsa_user_sgpr_queue_ptr 0
		.amdhsa_user_sgpr_kernarg_segment_ptr 1
		.amdhsa_user_sgpr_dispatch_id 0
		.amdhsa_user_sgpr_kernarg_preload_length 0
		.amdhsa_user_sgpr_kernarg_preload_offset 0
		.amdhsa_user_sgpr_private_segment_size 0
		.amdhsa_uses_dynamic_stack 0
		.amdhsa_enable_private_segment 0
		.amdhsa_system_sgpr_workgroup_id_x 1
		.amdhsa_system_sgpr_workgroup_id_y 1
		.amdhsa_system_sgpr_workgroup_id_z 1
		.amdhsa_system_sgpr_workgroup_info 0
		.amdhsa_system_vgpr_workitem_id 1
		.amdhsa_next_free_vgpr 107
		.amdhsa_next_free_sgpr 100
		.amdhsa_accum_offset 108
		.amdhsa_reserve_vcc 1
		.amdhsa_float_round_mode_32 0
		.amdhsa_float_round_mode_16_64 0
		.amdhsa_float_denorm_mode_32 3
		.amdhsa_float_denorm_mode_16_64 3
		.amdhsa_dx10_clamp 1
		.amdhsa_ieee_mode 1
		.amdhsa_fp16_overflow 0
		.amdhsa_tg_split 0
		.amdhsa_exception_fp_ieee_invalid_op 0
		.amdhsa_exception_fp_denorm_src 0
		.amdhsa_exception_fp_ieee_div_zero 0
		.amdhsa_exception_fp_ieee_overflow 0
		.amdhsa_exception_fp_ieee_underflow 0
		.amdhsa_exception_fp_ieee_inexact 0
		.amdhsa_exception_int_div_zero 0
	.end_amdhsa_kernel
	.section	.text._ZL13mul_mat_f_idsIfLi64ELi13ELi6EEvPKT_PKfPKiS6_S6_Pfiiiiiiiiiiiiii15HIP_vector_typeIjLj3EES9_,"axG",@progbits,_ZL13mul_mat_f_idsIfLi64ELi13ELi6EEvPKT_PKfPKiS6_S6_Pfiiiiiiiiiiiiii15HIP_vector_typeIjLj3EES9_,comdat
.Lfunc_end90:
	.size	_ZL13mul_mat_f_idsIfLi64ELi13ELi6EEvPKT_PKfPKiS6_S6_Pfiiiiiiiiiiiiii15HIP_vector_typeIjLj3EES9_, .Lfunc_end90-_ZL13mul_mat_f_idsIfLi64ELi13ELi6EEvPKT_PKfPKiS6_S6_Pfiiiiiiiiiiiiii15HIP_vector_typeIjLj3EES9_
                                        ; -- End function
	.set _ZL13mul_mat_f_idsIfLi64ELi13ELi6EEvPKT_PKfPKiS6_S6_Pfiiiiiiiiiiiiii15HIP_vector_typeIjLj3EES9_.num_vgpr, 107
	.set _ZL13mul_mat_f_idsIfLi64ELi13ELi6EEvPKT_PKfPKiS6_S6_Pfiiiiiiiiiiiiii15HIP_vector_typeIjLj3EES9_.num_agpr, 0
	.set _ZL13mul_mat_f_idsIfLi64ELi13ELi6EEvPKT_PKfPKiS6_S6_Pfiiiiiiiiiiiiii15HIP_vector_typeIjLj3EES9_.numbered_sgpr, 100
	.set _ZL13mul_mat_f_idsIfLi64ELi13ELi6EEvPKT_PKfPKiS6_S6_Pfiiiiiiiiiiiiii15HIP_vector_typeIjLj3EES9_.num_named_barrier, 0
	.set _ZL13mul_mat_f_idsIfLi64ELi13ELi6EEvPKT_PKfPKiS6_S6_Pfiiiiiiiiiiiiii15HIP_vector_typeIjLj3EES9_.private_seg_size, 0
	.set _ZL13mul_mat_f_idsIfLi64ELi13ELi6EEvPKT_PKfPKiS6_S6_Pfiiiiiiiiiiiiii15HIP_vector_typeIjLj3EES9_.uses_vcc, 1
	.set _ZL13mul_mat_f_idsIfLi64ELi13ELi6EEvPKT_PKfPKiS6_S6_Pfiiiiiiiiiiiiii15HIP_vector_typeIjLj3EES9_.uses_flat_scratch, 0
	.set _ZL13mul_mat_f_idsIfLi64ELi13ELi6EEvPKT_PKfPKiS6_S6_Pfiiiiiiiiiiiiii15HIP_vector_typeIjLj3EES9_.has_dyn_sized_stack, 0
	.set _ZL13mul_mat_f_idsIfLi64ELi13ELi6EEvPKT_PKfPKiS6_S6_Pfiiiiiiiiiiiiii15HIP_vector_typeIjLj3EES9_.has_recursion, 0
	.set _ZL13mul_mat_f_idsIfLi64ELi13ELi6EEvPKT_PKfPKiS6_S6_Pfiiiiiiiiiiiiii15HIP_vector_typeIjLj3EES9_.has_indirect_call, 0
	.section	.AMDGPU.csdata,"",@progbits
; Kernel info:
; codeLenInByte = 6636
; TotalNumSgprs: 106
; NumVgprs: 107
; NumAgprs: 0
; TotalNumVgprs: 107
; ScratchSize: 0
; MemoryBound: 0
; FloatMode: 240
; IeeeMode: 1
; LDSByteSize: 0 bytes/workgroup (compile time only)
; SGPRBlocks: 13
; VGPRBlocks: 13
; NumSGPRsForWavesPerEU: 106
; NumVGPRsForWavesPerEU: 107
; AccumOffset: 108
; Occupancy: 4
; WaveLimiterHint : 1
; COMPUTE_PGM_RSRC2:SCRATCH_EN: 0
; COMPUTE_PGM_RSRC2:USER_SGPR: 2
; COMPUTE_PGM_RSRC2:TRAP_HANDLER: 0
; COMPUTE_PGM_RSRC2:TGID_X_EN: 1
; COMPUTE_PGM_RSRC2:TGID_Y_EN: 1
; COMPUTE_PGM_RSRC2:TGID_Z_EN: 1
; COMPUTE_PGM_RSRC2:TIDIG_COMP_CNT: 1
; COMPUTE_PGM_RSRC3_GFX90A:ACCUM_OFFSET: 26
; COMPUTE_PGM_RSRC3_GFX90A:TG_SPLIT: 0
	.section	.text._ZL9mul_mat_fIfLi64ELi13ELi6ELb1EEvPKT_PKfPKiPfiiiiiiiiiiiiiiii,"axG",@progbits,_ZL9mul_mat_fIfLi64ELi13ELi6ELb1EEvPKT_PKfPKiPfiiiiiiiiiiiiiiii,comdat
	.globl	_ZL9mul_mat_fIfLi64ELi13ELi6ELb1EEvPKT_PKfPKiPfiiiiiiiiiiiiiiii ; -- Begin function _ZL9mul_mat_fIfLi64ELi13ELi6ELb1EEvPKT_PKfPKiPfiiiiiiiiiiiiiiii
	.p2align	8
	.type	_ZL9mul_mat_fIfLi64ELi13ELi6ELb1EEvPKT_PKfPKiPfiiiiiiiiiiiiiiii,@function
_ZL9mul_mat_fIfLi64ELi13ELi6ELb1EEvPKT_PKfPKiPfiiiiiiiiiiiiiiii: ; @_ZL9mul_mat_fIfLi64ELi13ELi6ELb1EEvPKT_PKfPKiPfiiiiiiiiiiiiiiii
; %bb.0:
	s_load_dwordx8 s[40:47], s[0:1], 0x20
	s_mov_b32 s22, s4
	v_and_b32_e32 v16, 0x3ff, v0
	v_bfe_u32 v17, v0, 10, 10
	s_waitcnt lgkmcnt(0)
	s_add_i32 s4, s41, 12
	s_mul_hi_i32 s4, s4, 0x4ec4ec4f
	s_lshr_b32 s5, s4, 31
	s_ashr_i32 s4, s4, 2
	s_add_i32 s4, s4, s5
	v_cvt_f32_u32_e32 v1, s4
	s_load_dword s5, s[0:1], 0x64
	s_add_u32 s12, s0, 0x60
	s_addc_u32 s13, s1, 0
	v_rcp_iflag_f32_e32 v1, v1
	s_sub_i32 s6, 0, s4
	s_load_dwordx4 s[48:51], s[0:1], 0x44
	s_load_dwordx2 s[8:9], s[0:1], 0x10
	v_mul_f32_e32 v1, 0x4f7ffffe, v1
	v_cvt_u32_f32_e32 v1, v1
	v_mul_lo_u32 v2, s6, v1
	v_mul_hi_u32 v2, v1, v2
	v_add_u32_e32 v1, v1, v2
	s_waitcnt lgkmcnt(0)
	v_mul_hi_u32 v1, s5, v1
	v_mul_lo_u32 v2, v1, s4
	v_sub_u32_e32 v2, s5, v2
	v_add_u32_e32 v3, 1, v1
	v_subrev_u32_e32 v4, s4, v2
	v_cmp_le_u32_e32 vcc, s4, v2
	s_nop 1
	v_cndmask_b32_e32 v1, v1, v3, vcc
	v_cndmask_b32_e32 v2, v2, v4, vcc
	v_add_u32_e32 v3, 1, v1
	v_cmp_le_u32_e32 vcc, s4, v2
	s_abs_i32 s4, s51
	s_nop 0
	v_cndmask_b32_e32 v1, v1, v3, vcc
	v_cvt_f32_u32_e32 v2, v1
	v_cvt_f32_u32_e32 v3, s4
	v_sub_u32_e32 v4, 0, v1
	v_cmp_eq_u32_e32 vcc, 0, v16
	v_rcp_iflag_f32_e32 v2, v2
	v_rcp_iflag_f32_e32 v3, v3
	v_mul_f32_e32 v2, 0x4f7ffffe, v2
	v_cvt_u32_f32_e32 v2, v2
	v_mul_lo_u32 v4, v4, v2
	v_mul_hi_u32 v4, v2, v4
	v_add_u32_e32 v2, v2, v4
	v_mul_hi_u32 v2, s3, v2
	s_and_saveexec_b64 s[6:7], vcc
; %bb.1:
	v_mov_b32_e32 v4, 0x100
	v_lshl_add_u32 v4, v17, 2, v4
	v_mov_b32_e32 v5, -1
	ds_write_b32 v4, v5
; %bb.2:
	s_or_b64 exec, exec, s[6:7]
	v_mul_f32_e32 v8, 0x4f7ffffe, v3
	v_mul_lo_u32 v3, v2, v1
	v_sub_u32_e32 v3, s3, v3
	v_add_u32_e32 v4, 1, v2
	v_sub_u32_e32 v5, v3, v1
	v_cmp_ge_u32_e64 s[6:7], v3, v1
	s_nop 1
	v_cndmask_b32_e64 v2, v2, v4, s[6:7]
	v_cndmask_b32_e64 v3, v3, v5, s[6:7]
	v_add_u32_e32 v4, 1, v2
	v_cmp_ge_u32_e64 s[6:7], v3, v1
	s_nop 1
	v_cndmask_b32_e64 v2, v2, v4, s[6:7]
	v_mul_lo_u32 v90, v2, 13
	v_mul_lo_u32 v1, v2, v1
	v_mul_hi_i32 v3, v90, s47
	v_mul_lo_u32 v2, v90, s47
	v_sub_u32_e32 v18, s3, v1
	v_lshlrev_b64 v[2:3], 2, v[2:3]
	v_add_u32_e32 v1, v17, v90
	v_lshl_add_u64 v[2:3], s[8:9], 0, v[2:3]
	v_cmp_gt_i32_e64 s[6:7], s42, v16
	v_cmp_gt_i32_e64 s[24:25], s41, v1
	v_mov_b32_e32 v1, 0
	s_and_saveexec_b64 s[14:15], s[24:25]
	s_cbranch_execz .LBB91_10
; %bb.3:
	v_mov_b32_e32 v1, 0
	s_and_saveexec_b64 s[16:17], s[6:7]
	s_cbranch_execz .LBB91_9
; %bb.4:
	v_mul_lo_u32 v4, v17, s47
	v_ashrrev_i32_e32 v5, 31, v4
	v_mov_b32_e32 v1, 0x100
	v_lshl_add_u64 v[4:5], v[4:5], 2, v[2:3]
	v_lshl_add_u32 v9, v17, 2, v1
	v_mul_lo_u32 v6, v16, s46
	s_lshl_b32 s3, s46, 6
	v_mov_b32_e32 v1, 0
	s_mov_b64 s[18:19], 0
	v_mov_b32_e32 v10, v16
	s_branch .LBB91_6
.LBB91_5:                               ;   in Loop: Header=BB91_6 Depth=1
	s_or_b64 exec, exec, s[20:21]
	v_add_u32_e32 v10, 64, v10
	v_cmp_le_i32_e64 s[10:11], s42, v10
	s_xor_b64 s[8:9], s[8:9], -1
	s_or_b64 s[8:9], s[8:9], s[10:11]
	s_and_b64 s[8:9], exec, s[8:9]
	s_or_b64 s[18:19], s[8:9], s[18:19]
	v_add_u32_e32 v6, s3, v6
	s_andn2_b64 exec, exec, s[18:19]
	s_cbranch_execz .LBB91_8
.LBB91_6:                               ; =>This Inner Loop Header: Depth=1
	v_ashrrev_i32_e32 v7, 31, v6
	v_lshl_add_u64 v[12:13], v[6:7], 2, v[4:5]
	global_load_dword v7, v[12:13], off
	s_waitcnt vmcnt(0)
	v_cmp_ne_u32_e64 s[8:9], v7, v18
	v_cmp_eq_u32_e64 s[10:11], v7, v18
	s_and_saveexec_b64 s[20:21], s[10:11]
	s_cbranch_execz .LBB91_5
; %bb.7:                                ;   in Loop: Header=BB91_6 Depth=1
	v_mov_b32_e32 v1, 1
	ds_write_b32 v9, v10
	s_branch .LBB91_5
.LBB91_8:
	s_or_b64 exec, exec, s[18:19]
.LBB91_9:
	s_or_b64 exec, exec, s[16:17]
.LBB91_10:
	s_or_b64 exec, exec, s[14:15]
	v_cvt_u32_f32_e32 v8, v8
	s_sub_i32 s3, 0, s4
	s_and_saveexec_b64 s[8:9], vcc
; %bb.11:
	v_mov_b32_e32 v4, 0x100
	v_lshl_add_u32 v4, v17, 2, v4
	v_mov_b32_e32 v5, -1
	ds_write_b32 v4, v5 offset:24
; %bb.12:
	s_or_b64 exec, exec, s[8:9]
	v_add_u32_e32 v91, 6, v17
	v_mul_lo_u32 v9, s3, v8
	v_add_u32_e32 v4, v91, v90
	v_cmp_gt_i32_e64 s[8:9], s41, v4
	s_mov_b64 s[14:15], exec
                                        ; implicit-def: $vgpr111 : SGPR spill to VGPR lane
	s_nop 0
	v_writelane_b32 v111, s8, 0
	s_nop 1
	v_writelane_b32 v111, s9, 1
	s_and_b64 s[8:9], s[14:15], s[8:9]
	s_mov_b64 exec, s[8:9]
	s_cbranch_execz .LBB91_20
; %bb.13:
	s_and_saveexec_b64 s[16:17], s[6:7]
	s_cbranch_execz .LBB91_19
; %bb.14:
	v_mul_lo_u32 v4, v91, s47
	v_ashrrev_i32_e32 v5, 31, v4
	v_mov_b32_e32 v6, 0x100
	v_lshl_add_u64 v[4:5], v[4:5], 2, v[2:3]
	v_lshl_add_u32 v10, v17, 2, v6
	v_mul_lo_u32 v6, v16, s46
	s_lshl_b32 s3, s46, 6
	s_mov_b64 s[18:19], 0
	v_mov_b32_e32 v11, v16
	s_branch .LBB91_16
.LBB91_15:                              ;   in Loop: Header=BB91_16 Depth=1
	s_or_b64 exec, exec, s[20:21]
	v_add_u32_e32 v11, 64, v11
	v_cmp_le_i32_e64 s[10:11], s42, v11
	s_xor_b64 s[8:9], s[8:9], -1
	s_or_b64 s[8:9], s[8:9], s[10:11]
	s_and_b64 s[8:9], exec, s[8:9]
	s_or_b64 s[18:19], s[8:9], s[18:19]
	v_add_u32_e32 v6, s3, v6
	s_andn2_b64 exec, exec, s[18:19]
	s_cbranch_execz .LBB91_18
.LBB91_16:                              ; =>This Inner Loop Header: Depth=1
	v_ashrrev_i32_e32 v7, 31, v6
	v_lshl_add_u64 v[12:13], v[6:7], 2, v[4:5]
	global_load_dword v7, v[12:13], off
	s_waitcnt vmcnt(0)
	v_cmp_ne_u32_e64 s[8:9], v7, v18
	v_cmp_eq_u32_e64 s[10:11], v7, v18
	s_and_saveexec_b64 s[20:21], s[10:11]
	s_cbranch_execz .LBB91_15
; %bb.17:                               ;   in Loop: Header=BB91_16 Depth=1
	v_mov_b32_e32 v1, 1
	ds_write_b32 v10, v11 offset:24
	s_branch .LBB91_15
.LBB91_18:
	s_or_b64 exec, exec, s[18:19]
.LBB91_19:
	s_or_b64 exec, exec, s[16:17]
.LBB91_20:
	s_or_b64 exec, exec, s[14:15]
	v_mul_hi_u32 v4, v8, v9
	s_and_saveexec_b64 s[8:9], vcc
; %bb.21:
	v_mov_b32_e32 v5, 0x100
	v_lshl_add_u32 v5, v17, 2, v5
	v_mov_b32_e32 v6, -1
	ds_write_b32 v5, v6 offset:48
; %bb.22:
	s_or_b64 exec, exec, s[8:9]
	s_load_dwordx4 s[28:31], s[0:1], 0x54
	v_add_u32_e32 v6, v8, v4
	v_add_u32_e32 v4, 12, v17
	s_abs_i32 s3, s22
	v_add_u32_e32 v5, v4, v90
	v_cmp_gt_i32_e64 s[10:11], s41, v5
	s_mov_b64 s[8:9], exec
	s_nop 0
	v_writelane_b32 v111, s10, 2
	s_nop 1
	v_writelane_b32 v111, s11, 3
	s_and_b64 s[10:11], s[8:9], s[10:11]
	s_mov_b64 exec, s[10:11]
	s_cbranch_execz .LBB91_30
; %bb.23:
	s_and_saveexec_b64 s[10:11], s[6:7]
	s_cbranch_execz .LBB91_29
; %bb.24:
	v_mul_lo_u32 v4, v4, s47
	v_ashrrev_i32_e32 v5, 31, v4
	v_lshl_add_u64 v[2:3], v[4:5], 2, v[2:3]
	v_mov_b32_e32 v4, 0x100
	v_lshl_add_u32 v7, v17, 2, v4
	v_mul_lo_u32 v4, v16, s46
	s_lshl_b32 s5, s46, 6
	s_mov_b64 s[14:15], 0
	v_mov_b32_e32 v8, v16
	s_branch .LBB91_26
.LBB91_25:                              ;   in Loop: Header=BB91_26 Depth=1
	s_or_b64 exec, exec, s[16:17]
	v_add_u32_e32 v8, 64, v8
	v_cmp_le_i32_e64 s[6:7], s42, v8
	s_xor_b64 s[16:17], vcc, -1
	s_or_b64 s[6:7], s[16:17], s[6:7]
	s_and_b64 s[6:7], exec, s[6:7]
	s_or_b64 s[14:15], s[6:7], s[14:15]
	v_add_u32_e32 v4, s5, v4
	s_andn2_b64 exec, exec, s[14:15]
	s_cbranch_execz .LBB91_28
.LBB91_26:                              ; =>This Inner Loop Header: Depth=1
	v_ashrrev_i32_e32 v5, 31, v4
	v_lshl_add_u64 v[10:11], v[4:5], 2, v[2:3]
	global_load_dword v5, v[10:11], off
	s_waitcnt vmcnt(0)
	v_cmp_ne_u32_e32 vcc, v5, v18
	v_cmp_eq_u32_e64 s[6:7], v5, v18
	s_and_saveexec_b64 s[16:17], s[6:7]
	s_cbranch_execz .LBB91_25
; %bb.27:                               ;   in Loop: Header=BB91_26 Depth=1
	v_mov_b32_e32 v1, 1
	ds_write_b32 v7, v8 offset:48
	s_branch .LBB91_25
.LBB91_28:
	s_or_b64 exec, exec, s[14:15]
.LBB91_29:
	s_or_b64 exec, exec, s[10:11]
.LBB91_30:
	s_or_b64 exec, exec, s[8:9]
	s_load_dwordx2 s[6:7], s[12:13], 0xc
	s_load_dwordx2 s[8:9], s[0:1], 0x8
	;; [unrolled: 1-line block ×3, first 2 shown]
	v_or_b32_dpp v1, v1, v1 row_shl:1 row_mask:0xf bank_mask:0xf bound_ctrl:1
	v_mul_hi_u32 v19, s3, v6
	s_waitcnt lgkmcnt(0)
	s_and_b32 s5, s7, 0xffff
	s_lshr_b32 s7, s6, 16
	v_writelane_b32 v111, s10, 4
	s_and_b32 s6, s6, 0xffff
	v_or_b32_dpp v1, v1, v1 row_shl:2 row_mask:0xf bank_mask:0xf bound_ctrl:1
	v_writelane_b32 v111, s11, 5
	s_mul_i32 s10, s7, s6
	v_or_b32_dpp v1, v1, v1 row_shl:4 row_mask:0xf bank_mask:0xf bound_ctrl:1
	s_bfe_i32 s10, s10, 0x180000
	s_mul_i32 s5, s10, s5
	v_or_b32_dpp v1, v1, v1 row_shl:8 row_mask:0xf bank_mask:0xf bound_ctrl:1
	s_add_i32 s10, s5, 63
	s_bitcmp1_b32 exec_hi, 0
	v_mov_b32_dpp v2, v1 wave_shl:1 row_mask:0xf bank_mask:0xf bound_ctrl:1
                                        ; kill: killed $sgpr12 killed $sgpr13
	s_nop 1
	v_or_b32_dpp v1, v2, v1 row_mirror row_mask:0xf bank_mask:0xf bound_ctrl:1
	s_nop 0
	v_readlane_b32 s5, v1, 32
	s_cselect_b32 s5, s5, 0
	v_readlane_b32 s11, v1, 0
	s_or_b32 s5, s5, s11
	s_andn2_b32 s10, s10, 63
	s_cmp_lg_u32 s10, 64
	v_mov_b32_e32 v1, s5
	s_cbranch_scc0 .LBB91_37
; %bb.31:
	v_bfe_u32 v0, v0, 20, 10
	v_mbcnt_lo_u32_b32 v1, -1, 0
	v_mad_u32_u24 v0, v0, s7, v17
	v_mbcnt_hi_u32_b32 v2, -1, v1
	v_mad_u64_u32 v[0:1], s[6:7], v0, s6, v[16:17]
	v_lshrrev_b32_e32 v1, 6, v0
	v_or_b32_e32 v1, v2, v1
	v_cmp_eq_u32_e32 vcc, 0, v1
	s_and_saveexec_b64 s[6:7], vcc
; %bb.32:
	v_mov_b32_e32 v1, 0
	v_mov_b32_e32 v3, s5
	ds_write_b32 v1, v3
; %bb.33:
	s_or_b64 exec, exec, s[6:7]
	v_cmp_eq_u32_e32 vcc, 0, v2
	v_cmp_lt_u32_e64 s[6:7], 63, v0
	s_and_b64 s[10:11], s[6:7], vcc
	s_waitcnt lgkmcnt(0)
	s_barrier
	s_and_saveexec_b64 s[6:7], s[10:11]
	s_cbranch_execz .LBB91_36
; %bb.34:
	v_mbcnt_lo_u32_b32 v0, exec_lo, 0
	v_mbcnt_hi_u32_b32 v0, exec_hi, v0
	v_cmp_eq_u32_e32 vcc, 0, v0
	s_and_b64 exec, exec, vcc
; %bb.35:
	v_mov_b32_e32 v0, 0
	v_mov_b32_e32 v1, s5
	ds_or_b32 v0, v1
.LBB91_36:
	s_or_b64 exec, exec, s[6:7]
	v_mov_b32_e32 v0, 0
	s_waitcnt lgkmcnt(0)
	s_barrier
	ds_read_b32 v1, v0
	s_waitcnt lgkmcnt(0)
	s_barrier
.LBB91_37:
	s_load_dwordx2 s[6:7], s[0:1], 0x0
	v_cmp_ne_u32_e32 vcc, 0, v1
	s_ashr_i32 s5, s22, 31
	s_ashr_i32 s10, s51, 31
	s_cbranch_vccz .LBB91_107
; %bb.38:
	v_lshlrev_b32_e32 v92, 6, v17
	v_add_u32_e32 v94, v92, v16
	v_cmp_le_i32_e32 vcc, s40, v94
	v_and_b32_e32 v93, 15, v16
	s_and_saveexec_b64 s[0:1], vcc
	s_xor_b64 s[0:1], exec, s[0:1]
; %bb.39:
	v_and_b32_e32 v93, 15, v16
                                        ; implicit-def: $vgpr94
                                        ; implicit-def: $vgpr19
                                        ; implicit-def: $vgpr18
; %bb.40:
	s_or_saveexec_b64 s[0:1], s[0:1]
	v_mov_b32_e32 v11, 0
	s_lshl_b32 s11, s2, 6
	v_mov_b32_e32 v10, v11
	v_mov_b32_e32 v9, v11
	v_mov_b32_e32 v8, v11
	v_mov_b32_e32 v7, v11
	v_mov_b32_e32 v6, v11
	v_mov_b32_e32 v5, v11
	v_mov_b32_e32 v4, v11
	v_mov_b32_e32 v3, v11
	v_mov_b32_e32 v2, v11
	v_mov_b32_e32 v1, v11
	v_mov_b32_e32 v0, v11
	v_mov_b32_e32 v15, v11
	v_mov_b32_e32 v14, v11
	v_mov_b32_e32 v13, v11
	v_mov_b32_e32 v12, v11
	v_writelane_b32 v111, s0, 6
	s_nop 1
	v_writelane_b32 v111, s1, 7
	s_xor_b64 exec, exec, s[0:1]
	s_cbranch_execz .LBB91_96
; %bb.41:
	v_mul_lo_u32 v0, v19, s4
	v_sub_u32_e32 v0, s3, v0
	v_add_u32_e32 v1, 1, v19
	v_subrev_u32_e32 v2, s4, v0
	v_cmp_le_u32_e32 vcc, s4, v0
	s_xor_b32 s0, s5, s10
	v_writelane_b32 v111, s24, 8
	v_cndmask_b32_e32 v1, v19, v1, vcc
	v_cndmask_b32_e32 v0, v0, v2, vcc
	v_add_u32_e32 v2, 1, v1
	v_cmp_le_u32_e32 vcc, s4, v0
	v_writelane_b32 v111, s25, 9
	v_writelane_b32 v111, s11, 10
	v_cndmask_b32_e32 v0, v1, v2, vcc
	v_xor_b32_e32 v0, s0, v0
	v_subrev_u32_e32 v0, s0, v0
	s_mul_i32 s0, s43, s11
	v_mul_hi_i32 v1, v0, s28
	v_mul_lo_u32 v0, v0, s28
	v_mul_lo_u32 v2, v18, s48
	s_ashr_i32 s1, s0, 31
	v_ashrrev_i32_e32 v3, 31, v2
	v_lshlrev_b64 v[0:1], 2, v[0:1]
	s_lshl_b64 s[2:3], s[0:1], 2
	s_movk_i32 s0, 0x1080
	v_mov_b32_e32 v95, 0x100
	v_writelane_b32 v111, s22, 11
	s_waitcnt lgkmcnt(0)
	v_lshl_add_u64 v[4:5], s[6:7], 0, v[0:1]
	v_lshlrev_b64 v[2:3], 2, v[2:3]
	v_mad_u32_u24 v6, v17, s0, v95
	s_mul_hi_i32 s1, s29, s22
	v_writelane_b32 v111, s28, 12
	s_mul_i32 s0, s29, s22
	v_lshl_add_u64 v[4:5], v[4:5], 0, v[2:3]
	s_lshl_b64 s[0:1], s[0:1], 2
	v_lshl_add_u64 v[18:19], v[4:5], 0, s[2:3]
	v_writelane_b32 v111, s29, 13
	v_mul_hi_i32 v5, v90, s44
	v_mul_lo_u32 v4, v90, s44
	s_add_u32 s0, s8, s0
	v_writelane_b32 v111, s30, 14
	s_addc_u32 s1, s9, s1
	v_lshlrev_b64 v[4:5], 2, v[4:5]
	v_writelane_b32 v111, s31, 15
	v_lshl_add_u64 v[20:21], s[0:1], 0, v[4:5]
	s_lshl_b32 s0, s44, 1
	v_lshl_add_u64 v[0:1], v[0:1], 0, s[2:3]
	v_lshrrev_b32_e32 v5, 1, v16
	v_writelane_b32 v111, s0, 16
	s_lshl_b32 s0, s44, 2
	v_lshl_add_u64 v[0:1], v[0:1], 0, v[2:3]
	v_mul_u32_u24_e32 v4, 0x108, v93
	v_and_b32_e32 v5, 0x1f8, v5
	v_add_u32_e32 v26, 1, v90
	v_add_u32_e32 v27, 2, v90
	;; [unrolled: 1-line block ×4, first 2 shown]
	v_writelane_b32 v111, s0, 17
	v_add_u32_e32 v30, 5, v90
	v_add_u32_e32 v31, 6, v90
	;; [unrolled: 1-line block ×8, first 2 shown]
	s_ashr_i32 s1, s43, 31
	s_mov_b32 s0, s43
	v_lshl_add_u64 v[0:1], s[6:7], 0, v[0:1]
	v_lshlrev_b32_e32 v22, 2, v94
	v_mov_b32_e32 v23, 0
	v_lshl_add_u32 v96, v16, 2, v6
	v_add3_u32 v97, v6, v4, v5
	s_lshl_b32 s51, s44, 3
	s_add_i32 s52, s43, s43
	s_mul_i32 s53, s43, 3
	s_lshl_b32 s55, s43, 2
	s_mul_i32 s56, s43, 5
	s_mul_i32 s57, s43, 6
	;; [unrolled: 1-line block ×3, first 2 shown]
	s_lshl_b32 s59, s43, 3
	s_mul_i32 s60, s43, 9
	s_mul_i32 s61, s43, 10
	;; [unrolled: 1-line block ×7, first 2 shown]
	s_lshl_b32 s67, s43, 4
	s_mul_i32 s68, s43, 17
	s_mul_i32 s69, s43, 18
	;; [unrolled: 1-line block ×15, first 2 shown]
	s_lshl_b32 s83, s43, 5
	s_mul_i32 s84, s43, 33
	s_mul_i32 s85, s43, 34
	s_mul_i32 s86, s43, 35
	s_mul_i32 s87, s43, 36
	s_mul_i32 s88, s43, 37
	s_mul_i32 s89, s43, 38
	s_mul_i32 s90, s43, 39
	s_mul_i32 s91, s43, 40
	s_mul_i32 s92, s43, 41
	s_mul_i32 s93, s43, 42
	s_mul_i32 s94, s43, 43
	s_mul_i32 s95, s43, 44
	v_cmp_gt_i32_e64 s[6:7], s41, v90
	s_mul_i32 s96, s43, 45
	s_mul_i32 s97, s43, 46
	s_lshl_b64 s[2:3], s[0:1], 2
	v_lshl_add_u64 v[24:25], v[0:1], 0, v[22:23]
	v_mov_b32_e32 v12, 0
	v_mov_b32_e32 v13, v23
	;; [unrolled: 1-line block ×16, first 2 shown]
	s_mul_i32 s98, s43, 47
	s_mul_i32 s99, s43, 48
	;; [unrolled: 1-line block ×17, first 2 shown]
	v_cmp_gt_i32_e64 s[8:9], s41, v26
	v_cmp_gt_i32_e64 s[10:11], s41, v27
	v_cmp_gt_i32_e64 s[12:13], s41, v28
	v_cmp_gt_i32_e64 s[14:15], s41, v29
	v_cmp_gt_i32_e64 s[16:17], s41, v30
	v_cmp_gt_i32_e64 s[18:19], s41, v31
	v_cmp_gt_i32_e64 s[20:21], s41, v32
	v_cmp_gt_i32_e64 s[22:23], s41, v33
	v_cmp_gt_i32_e64 s[24:25], s41, v34
	v_cmp_gt_i32_e64 s[26:27], s41, v35
	v_cmp_gt_i32_e64 s[28:29], s41, v36
	v_cmp_gt_i32_e64 s[30:31], s41, v37
	s_mov_b64 s[42:43], 0
	s_branch .LBB91_44
.LBB91_42:                              ;   in Loop: Header=BB91_44 Depth=1
	v_mul_lo_u32 v22, v22, s49
	s_mul_i32 s41, s44, 12
	v_add_u32_e32 v22, s41, v22
	v_add_u32_e32 v98, v22, v94
	v_ashrrev_i32_e32 v99, 31, v98
	v_lshl_add_u64 v[98:99], v[98:99], 2, v[20:21]
	global_load_dword v22, v[98:99], off
.LBB91_43:                              ;   in Loop: Header=BB91_44 Depth=1
	v_add_u32_e32 v98, 0xc00, v96
	s_waitcnt vmcnt(0)
	ds_write2_b32 v98, v22, v23 offset0:40 offset1:106
	ds_write2_b32 v98, v23, v23 offset0:172 offset1:238
	ds_read2_b64 v[98:101], v97 offset0:8 offset1:12
	v_add_u32_e32 v94, 0x180, v94
	s_mov_b64 vcc, 0x600
	v_lshl_add_u64 v[24:25], v[24:25], 0, vcc
	v_cmp_le_i32_e32 vcc, s40, v94
	s_waitcnt lgkmcnt(0)
	v_mfma_f32_16x16x4_f32 v[8:11], v56, v98, v[8:11]
	s_or_b64 s[42:43], vcc, s[42:43]
	v_mfma_f32_16x16x4_f32 v[4:7], v68, v98, v[4:7]
	v_mfma_f32_16x16x4_f32 v[0:3], v82, v98, v[0:3]
	;; [unrolled: 1-line block ×15, first 2 shown]
	ds_read2_b64 v[86:89], v97 offset0:16 offset1:20
	s_waitcnt lgkmcnt(0)
	v_mfma_f32_16x16x4_f32 v[8:11], v42, v86, v[8:11]
	v_mfma_f32_16x16x4_f32 v[4:7], v60, v86, v[4:7]
	;; [unrolled: 1-line block ×14, first 2 shown]
	ds_read2_b64 v[54:57], v97 offset0:24 offset1:28
	v_mfma_f32_16x16x4_f32 v[0:3], v67, v89, v[0:3]
	v_mfma_f32_16x16x4_f32 v[12:15], v81, v89, v[12:15]
	s_waitcnt lgkmcnt(0)
	v_mfma_f32_16x16x4_f32 v[8:11], v34, v54, v[8:11]
	v_mfma_f32_16x16x4_f32 v[4:7], v46, v54, v[4:7]
	;; [unrolled: 1-line block ×14, first 2 shown]
	ds_read2_b64 v[38:41], v97 offset0:32 offset1:36
	v_mfma_f32_16x16x4_f32 v[0:3], v59, v57, v[0:3]
	v_mfma_f32_16x16x4_f32 v[12:15], v75, v57, v[12:15]
	s_waitcnt lgkmcnt(0)
	v_mfma_f32_16x16x4_f32 v[8:11], v28, v38, v[8:11]
	v_mfma_f32_16x16x4_f32 v[4:7], v36, v38, v[4:7]
	;; [unrolled: 1-line block ×16, first 2 shown]
	s_andn2_b64 exec, exec, s[42:43]
	s_cbranch_execz .LBB91_95
.LBB91_44:                              ; =>This Inner Loop Header: Depth=1
	v_lshl_add_u64 v[26:27], v[24:25], 0, s[2:3]
	global_load_dword v22, v[24:25], off
	global_load_dword v52, v[26:27], off
	v_add_u32_e32 v26, s52, v94
	v_ashrrev_i32_e32 v27, 31, v26
	v_add_u32_e32 v28, s53, v94
	v_add_u32_e32 v30, s55, v94
	;; [unrolled: 1-line block ×5, first 2 shown]
	v_lshl_add_u64 v[26:27], v[26:27], 2, v[18:19]
	v_ashrrev_i32_e32 v29, 31, v28
	v_ashrrev_i32_e32 v31, 31, v30
	v_ashrrev_i32_e32 v33, 31, v32
	v_ashrrev_i32_e32 v35, 31, v34
	v_ashrrev_i32_e32 v37, 31, v36
	v_lshl_add_u64 v[28:29], v[28:29], 2, v[18:19]
	v_lshl_add_u64 v[30:31], v[30:31], 2, v[18:19]
	;; [unrolled: 1-line block ×5, first 2 shown]
	global_load_dword v53, v[26:27], off
	global_load_dword v54, v[28:29], off
	;; [unrolled: 1-line block ×6, first 2 shown]
	v_add_u32_e32 v26, s59, v94
	v_add_u32_e32 v44, s68, v94
	;; [unrolled: 1-line block ×10, first 2 shown]
	v_ashrrev_i32_e32 v27, 31, v26
	v_ashrrev_i32_e32 v45, 31, v44
	v_ashrrev_i32_e32 v29, 31, v28
	v_ashrrev_i32_e32 v31, 31, v30
	v_ashrrev_i32_e32 v33, 31, v32
	v_ashrrev_i32_e32 v35, 31, v34
	v_ashrrev_i32_e32 v37, 31, v36
	v_ashrrev_i32_e32 v39, 31, v38
	v_ashrrev_i32_e32 v41, 31, v40
	v_ashrrev_i32_e32 v43, 31, v42
	v_lshl_add_u64 v[26:27], v[26:27], 2, v[18:19]
	v_lshl_add_u64 v[44:45], v[44:45], 2, v[18:19]
	v_add_u32_e32 v46, s69, v94
	v_add_u32_e32 v50, s71, v94
	v_lshl_add_u64 v[28:29], v[28:29], 2, v[18:19]
	v_lshl_add_u64 v[30:31], v[30:31], 2, v[18:19]
	;; [unrolled: 1-line block ×8, first 2 shown]
	global_load_dword v59, v[26:27], off
	global_load_dword v60, v[28:29], off
	;; [unrolled: 1-line block ×9, first 2 shown]
	s_nop 0
	global_load_dword v44, v[44:45], off
	v_add_u32_e32 v26, s72, v94
	v_add_u32_e32 v48, s70, v94
	v_ashrrev_i32_e32 v47, 31, v46
	v_ashrrev_i32_e32 v51, 31, v50
	;; [unrolled: 1-line block ×3, first 2 shown]
	v_add_u32_e32 v28, s73, v94
	v_add_u32_e32 v30, s74, v94
	;; [unrolled: 1-line block ×4, first 2 shown]
	v_ashrrev_i32_e32 v49, 31, v48
	v_lshl_add_u64 v[46:47], v[46:47], 2, v[18:19]
	v_lshl_add_u64 v[50:51], v[50:51], 2, v[18:19]
	;; [unrolled: 1-line block ×3, first 2 shown]
	v_ashrrev_i32_e32 v29, 31, v28
	v_ashrrev_i32_e32 v31, 31, v30
	;; [unrolled: 1-line block ×4, first 2 shown]
	v_lshl_add_u64 v[48:49], v[48:49], 2, v[18:19]
	v_lshl_add_u64 v[28:29], v[28:29], 2, v[18:19]
	;; [unrolled: 1-line block ×5, first 2 shown]
	v_add_u32_e32 v36, s82, v94
	v_add_u32_e32 v38, s83, v94
	v_add_u32_e32 v40, s84, v94
	v_ashrrev_i32_e32 v37, 31, v36
	v_ashrrev_i32_e32 v39, 31, v38
	;; [unrolled: 1-line block ×3, first 2 shown]
	v_lshl_add_u64 v[36:37], v[36:37], 2, v[18:19]
	s_waitcnt vmcnt(17)
	ds_write_b32 v96, v22 offset:64
	s_waitcnt vmcnt(16)
	ds_write_b32 v96, v52 offset:328
	;; [unrolled: 2-line block ×8, first 2 shown]
	global_load_dword v22, v[46:47], off
	global_load_dword v45, v[48:49], off
	s_nop 0
	global_load_dword v46, v[50:51], off
	global_load_dword v47, v[26:27], off
	s_nop 0
	global_load_dword v50, v[28:29], off
	global_load_dword v51, v[30:31], off
	;; [unrolled: 1-line block ×4, first 2 shown]
	v_add_u32_e32 v26, s77, v94
	v_ashrrev_i32_e32 v27, 31, v26
	v_add_u32_e32 v28, s78, v94
	v_add_u32_e32 v30, s79, v94
	;; [unrolled: 1-line block ×4, first 2 shown]
	v_lshl_add_u64 v[26:27], v[26:27], 2, v[18:19]
	v_ashrrev_i32_e32 v29, 31, v28
	v_ashrrev_i32_e32 v31, 31, v30
	;; [unrolled: 1-line block ×4, first 2 shown]
	v_lshl_add_u64 v[28:29], v[28:29], 2, v[18:19]
	v_lshl_add_u64 v[30:31], v[30:31], 2, v[18:19]
	v_lshl_add_u64 v[32:33], v[32:33], 2, v[18:19]
	v_lshl_add_u64 v[34:35], v[34:35], 2, v[18:19]
	v_lshl_add_u64 v[38:39], v[38:39], 2, v[18:19]
	v_lshl_add_u64 v[40:41], v[40:41], 2, v[18:19]
	global_load_dword v54, v[26:27], off
	global_load_dword v55, v[28:29], off
	global_load_dword v58, v[30:31], off
	global_load_dword v68, v[32:33], off
	global_load_dword v69, v[34:35], off
	global_load_dword v70, v[36:37], off
	global_load_dword v71, v[38:39], off
	global_load_dword v72, v[40:41], off
	v_add_u32_e32 v26, s85, v94
	v_ashrrev_i32_e32 v27, 31, v26
	v_add_u32_e32 v28, s86, v94
	v_add_u32_e32 v30, s87, v94
	v_add_u32_e32 v32, s88, v94
	v_add_u32_e32 v34, s89, v94
	v_add_u32_e32 v36, s90, v94
	v_add_u32_e32 v38, s91, v94
	v_add_u32_e32 v40, s92, v94
	v_lshl_add_u64 v[26:27], v[26:27], 2, v[18:19]
	v_ashrrev_i32_e32 v29, 31, v28
	v_ashrrev_i32_e32 v31, 31, v30
	v_ashrrev_i32_e32 v33, 31, v32
	v_ashrrev_i32_e32 v35, 31, v34
	v_ashrrev_i32_e32 v37, 31, v36
	v_ashrrev_i32_e32 v39, 31, v38
	v_ashrrev_i32_e32 v41, 31, v40
	v_lshl_add_u64 v[28:29], v[28:29], 2, v[18:19]
	v_lshl_add_u64 v[30:31], v[30:31], 2, v[18:19]
	v_lshl_add_u64 v[32:33], v[32:33], 2, v[18:19]
	v_lshl_add_u64 v[34:35], v[34:35], 2, v[18:19]
	v_lshl_add_u64 v[36:37], v[36:37], 2, v[18:19]
	v_lshl_add_u64 v[38:39], v[38:39], 2, v[18:19]
	v_lshl_add_u64 v[40:41], v[40:41], 2, v[18:19]
	global_load_dword v73, v[26:27], off
	global_load_dword v74, v[28:29], off
	global_load_dword v75, v[30:31], off
	global_load_dword v76, v[32:33], off
	global_load_dword v77, v[34:35], off
	global_load_dword v78, v[36:37], off
	global_load_dword v79, v[38:39], off
	global_load_dword v80, v[40:41], off
	v_add_u32_e32 v26, s93, v94
	v_ashrrev_i32_e32 v27, 31, v26
	v_add_u32_e32 v28, s94, v94
	v_add_u32_e32 v30, s95, v94
	v_add_u32_e32 v32, s96, v94
	v_add_u32_e32 v34, s97, v94
	v_add_u32_e32 v36, s98, v94
	v_add_u32_e32 v38, s99, v94
	v_add_u32_e32 v40, s5, v94
	v_lshl_add_u64 v[26:27], v[26:27], 2, v[18:19]
	v_ashrrev_i32_e32 v29, 31, v28
	v_ashrrev_i32_e32 v31, 31, v30
	v_ashrrev_i32_e32 v33, 31, v32
	v_ashrrev_i32_e32 v35, 31, v34
	v_ashrrev_i32_e32 v37, 31, v36
	v_ashrrev_i32_e32 v39, 31, v38
	v_ashrrev_i32_e32 v41, 31, v40
	v_lshl_add_u64 v[28:29], v[28:29], 2, v[18:19]
	;; [unrolled: 32-line block ×3, first 2 shown]
	v_lshl_add_u64 v[30:31], v[30:31], 2, v[18:19]
	v_lshl_add_u64 v[32:33], v[32:33], 2, v[18:19]
	;; [unrolled: 1-line block ×6, first 2 shown]
	global_load_dword v89, v[26:27], off
	global_load_dword v98, v[28:29], off
	;; [unrolled: 1-line block ×8, first 2 shown]
	v_add_u32_e32 v26, s38, v94
	v_ashrrev_i32_e32 v27, 31, v26
	v_add_u32_e32 v28, s39, v94
	v_add_u32_e32 v30, s54, v94
	;; [unrolled: 1-line block ×5, first 2 shown]
	v_lshl_add_u64 v[26:27], v[26:27], 2, v[18:19]
	v_ashrrev_i32_e32 v29, 31, v28
	v_ashrrev_i32_e32 v31, 31, v30
	;; [unrolled: 1-line block ×5, first 2 shown]
	v_lshl_add_u64 v[28:29], v[28:29], 2, v[18:19]
	v_lshl_add_u64 v[30:31], v[30:31], 2, v[18:19]
	;; [unrolled: 1-line block ×5, first 2 shown]
	global_load_dword v105, v[26:27], off
	global_load_dword v106, v[28:29], off
	;; [unrolled: 1-line block ×6, first 2 shown]
	s_waitcnt vmcnt(55)
	ds_write_b32 v96, v59 offset:2176
	s_waitcnt vmcnt(54)
	ds_write_b32 v96, v60 offset:2440
	s_waitcnt vmcnt(53)
	ds_write_b32 v96, v61 offset:2704
	s_waitcnt vmcnt(52)
	ds_write_b32 v96, v62 offset:2968
	s_waitcnt vmcnt(51)
	ds_write_b32 v96, v63 offset:3232
	s_waitcnt vmcnt(50)
	ds_write_b32 v96, v64 offset:3496
	s_waitcnt vmcnt(49)
	ds_write_b32 v96, v65 offset:3760
	s_waitcnt vmcnt(48)
	ds_write_b32 v96, v66 offset:4024
	ds_read_b64 v[56:57], v97 offset:64
	ds_read_b64 v[48:49], v97 offset:96
	ds_read_b64 v[42:43], v97 offset:128
	ds_read_b64 v[38:39], v97 offset:160
	ds_read_b64 v[34:35], v97 offset:192
	ds_read_b64 v[30:31], v97 offset:224
	ds_read_b64 v[28:29], v97 offset:256
	ds_read_b64 v[26:27], v97 offset:288
	s_waitcnt vmcnt(47)
	ds_write_b32 v96, v67 offset:64
	s_waitcnt vmcnt(46)
	ds_write_b32 v96, v44 offset:328
	s_waitcnt vmcnt(45)
	ds_write_b32 v96, v22 offset:592
	s_waitcnt vmcnt(44)
	ds_write_b32 v96, v45 offset:856
	s_waitcnt vmcnt(43)
	ds_write_b32 v96, v46 offset:1120
	s_waitcnt vmcnt(42)
	ds_write_b32 v96, v47 offset:1384
	s_waitcnt vmcnt(41)
	ds_write_b32 v96, v50 offset:1648
	s_waitcnt vmcnt(40)
	ds_write_b32 v96, v51 offset:1912
	s_waitcnt vmcnt(39)
	ds_write_b32 v96, v52 offset:2176
	s_waitcnt vmcnt(38)
	ds_write_b32 v96, v53 offset:2440
	s_waitcnt vmcnt(37)
	ds_write_b32 v96, v54 offset:2704
	s_waitcnt vmcnt(36)
	ds_write_b32 v96, v55 offset:2968
	s_waitcnt vmcnt(35)
	ds_write_b32 v96, v58 offset:3232
	s_waitcnt vmcnt(34)
	ds_write_b32 v96, v68 offset:3496
	s_waitcnt vmcnt(33)
	ds_write_b32 v96, v69 offset:3760
	s_waitcnt vmcnt(32)
	ds_write_b32 v96, v70 offset:4024
	ds_read_b64 v[68:69], v97 offset:64
	ds_read_b64 v[64:65], v97 offset:96
	ds_read_b64 v[60:61], v97 offset:128
	ds_read_b64 v[54:55], v97 offset:160
	ds_read_b64 v[46:47], v97 offset:192
	ds_read_b64 v[40:41], v97 offset:224
	ds_read_b64 v[36:37], v97 offset:256
	ds_read_b64 v[32:33], v97 offset:288
	s_waitcnt vmcnt(31)
	ds_write_b32 v96, v71 offset:64
	s_waitcnt vmcnt(30)
	ds_write_b32 v96, v72 offset:328
	s_waitcnt vmcnt(29)
	ds_write_b32 v96, v73 offset:592
	s_waitcnt vmcnt(28)
	ds_write_b32 v96, v74 offset:856
	s_waitcnt vmcnt(27)
	ds_write_b32 v96, v75 offset:1120
	s_waitcnt vmcnt(26)
	ds_write_b32 v96, v76 offset:1384
	s_waitcnt vmcnt(25)
	ds_write_b32 v96, v77 offset:1648
	s_waitcnt vmcnt(24)
	ds_write_b32 v96, v78 offset:1912
	;; [unrolled: 40-line block ×3, first 2 shown]
	s_waitcnt vmcnt(7)
	ds_write_b32 v96, v103 offset:2176
	s_waitcnt vmcnt(6)
	ds_write_b32 v96, v104 offset:2440
	;; [unrolled: 2-line block ×8, first 2 shown]
	ds_read_b64 v[88:89], v97 offset:64
	ds_read_b64 v[86:87], v97 offset:96
	;; [unrolled: 1-line block ×8, first 2 shown]
	s_andn2_b64 vcc, exec, s[6:7]
	v_mov_b32_e32 v22, 0
	s_cbranch_vccnz .LBB91_48
; %bb.45:                               ;   in Loop: Header=BB91_44 Depth=1
	ds_read_b32 v22, v95
	s_waitcnt lgkmcnt(0)
	v_cmp_gt_i32_e32 vcc, 0, v22
	s_cbranch_vccnz .LBB91_47
; %bb.46:                               ;   in Loop: Header=BB91_44 Depth=1
	v_mul_lo_u32 v22, v22, s49
	v_add_u32_e32 v98, v94, v22
	v_ashrrev_i32_e32 v99, 31, v98
	v_lshl_add_u64 v[98:99], v[98:99], 2, v[20:21]
	global_load_dword v22, v[98:99], off
	s_branch .LBB91_48
.LBB91_47:                              ;   in Loop: Header=BB91_44 Depth=1
	v_mov_b32_e32 v22, 0
.LBB91_48:                              ;   in Loop: Header=BB91_44 Depth=1
	s_waitcnt vmcnt(0)
	ds_write_b32 v96, v22 offset:64
	v_mov_b32_e32 v22, 0
	s_andn2_b64 vcc, exec, s[8:9]
	v_mov_b32_e32 v98, 0
	s_cbranch_vccnz .LBB91_51
; %bb.49:                               ;   in Loop: Header=BB91_44 Depth=1
	ds_read_b32 v98, v95 offset:4
	s_waitcnt lgkmcnt(0)
	v_cmp_gt_i32_e32 vcc, 0, v98
	s_cbranch_vccnz .LBB91_54
; %bb.50:                               ;   in Loop: Header=BB91_44 Depth=1
	v_mul_lo_u32 v98, v98, s49
	v_add_u32_e32 v98, s44, v98
	v_add_u32_e32 v98, v98, v94
	v_ashrrev_i32_e32 v99, 31, v98
	v_lshl_add_u64 v[98:99], v[98:99], 2, v[20:21]
	global_load_dword v98, v[98:99], off
.LBB91_51:                              ;   in Loop: Header=BB91_44 Depth=1
	s_andn2_b64 vcc, exec, s[10:11]
	s_waitcnt vmcnt(0)
	ds_write_b32 v96, v98 offset:328
	s_cbranch_vccnz .LBB91_56
.LBB91_52:                              ;   in Loop: Header=BB91_44 Depth=1
	ds_read_b32 v22, v95 offset:8
	s_waitcnt lgkmcnt(0)
	v_cmp_gt_i32_e32 vcc, 0, v22
	s_cbranch_vccnz .LBB91_55
; %bb.53:                               ;   in Loop: Header=BB91_44 Depth=1
	v_mul_lo_u32 v22, v22, s49
	v_readlane_b32 s41, v111, 16
	s_nop 1
	v_add_u32_e32 v22, s41, v22
	v_add_u32_e32 v98, v22, v94
	v_ashrrev_i32_e32 v99, 31, v98
	v_lshl_add_u64 v[98:99], v[98:99], 2, v[20:21]
	global_load_dword v22, v[98:99], off
	s_branch .LBB91_56
.LBB91_54:                              ;   in Loop: Header=BB91_44 Depth=1
	v_mov_b32_e32 v98, 0
	s_andn2_b64 vcc, exec, s[10:11]
	ds_write_b32 v96, v98 offset:328
	s_cbranch_vccz .LBB91_52
	s_branch .LBB91_56
.LBB91_55:                              ;   in Loop: Header=BB91_44 Depth=1
	v_mov_b32_e32 v22, 0
.LBB91_56:                              ;   in Loop: Header=BB91_44 Depth=1
	s_waitcnt vmcnt(0)
	ds_write_b32 v96, v22 offset:592
	v_mov_b32_e32 v22, 0
	s_andn2_b64 vcc, exec, s[12:13]
	v_mov_b32_e32 v98, 0
	s_cbranch_vccnz .LBB91_59
; %bb.57:                               ;   in Loop: Header=BB91_44 Depth=1
	ds_read_b32 v98, v95 offset:12
	s_waitcnt lgkmcnt(0)
	v_cmp_gt_i32_e32 vcc, 0, v98
	s_cbranch_vccnz .LBB91_62
; %bb.58:                               ;   in Loop: Header=BB91_44 Depth=1
	v_mul_lo_u32 v98, v98, s49
	s_mul_i32 s41, s44, 3
	v_add_u32_e32 v98, s41, v98
	v_add_u32_e32 v98, v98, v94
	v_ashrrev_i32_e32 v99, 31, v98
	v_lshl_add_u64 v[98:99], v[98:99], 2, v[20:21]
	global_load_dword v98, v[98:99], off
.LBB91_59:                              ;   in Loop: Header=BB91_44 Depth=1
	s_andn2_b64 vcc, exec, s[14:15]
	s_waitcnt vmcnt(0)
	ds_write_b32 v96, v98 offset:856
	s_cbranch_vccnz .LBB91_64
.LBB91_60:                              ;   in Loop: Header=BB91_44 Depth=1
	ds_read_b32 v22, v95 offset:16
	s_waitcnt lgkmcnt(0)
	v_cmp_gt_i32_e32 vcc, 0, v22
	s_cbranch_vccnz .LBB91_63
; %bb.61:                               ;   in Loop: Header=BB91_44 Depth=1
	v_mul_lo_u32 v22, v22, s49
	v_readlane_b32 s41, v111, 17
	s_nop 1
	v_add_u32_e32 v22, s41, v22
	v_add_u32_e32 v98, v22, v94
	v_ashrrev_i32_e32 v99, 31, v98
	v_lshl_add_u64 v[98:99], v[98:99], 2, v[20:21]
	global_load_dword v22, v[98:99], off
	s_branch .LBB91_64
.LBB91_62:                              ;   in Loop: Header=BB91_44 Depth=1
	v_mov_b32_e32 v98, 0
	s_andn2_b64 vcc, exec, s[14:15]
	ds_write_b32 v96, v98 offset:856
	s_cbranch_vccz .LBB91_60
	s_branch .LBB91_64
.LBB91_63:                              ;   in Loop: Header=BB91_44 Depth=1
	v_mov_b32_e32 v22, 0
.LBB91_64:                              ;   in Loop: Header=BB91_44 Depth=1
	s_waitcnt vmcnt(0)
	ds_write_b32 v96, v22 offset:1120
	v_mov_b32_e32 v22, 0
	s_andn2_b64 vcc, exec, s[16:17]
	v_mov_b32_e32 v98, 0
	s_cbranch_vccnz .LBB91_67
; %bb.65:                               ;   in Loop: Header=BB91_44 Depth=1
	ds_read_b32 v98, v95 offset:20
	s_waitcnt lgkmcnt(0)
	v_cmp_gt_i32_e32 vcc, 0, v98
	s_cbranch_vccnz .LBB91_70
; %bb.66:                               ;   in Loop: Header=BB91_44 Depth=1
	v_mul_lo_u32 v98, v98, s49
	s_mul_i32 s41, s44, 5
	v_add_u32_e32 v98, s41, v98
	v_add_u32_e32 v98, v98, v94
	v_ashrrev_i32_e32 v99, 31, v98
	v_lshl_add_u64 v[98:99], v[98:99], 2, v[20:21]
	global_load_dword v98, v[98:99], off
.LBB91_67:                              ;   in Loop: Header=BB91_44 Depth=1
	s_andn2_b64 vcc, exec, s[18:19]
	s_waitcnt vmcnt(0)
	ds_write_b32 v96, v98 offset:1384
	s_cbranch_vccnz .LBB91_72
.LBB91_68:                              ;   in Loop: Header=BB91_44 Depth=1
	ds_read_b32 v22, v95 offset:24
	s_waitcnt lgkmcnt(0)
	v_cmp_gt_i32_e32 vcc, 0, v22
	s_cbranch_vccnz .LBB91_71
; %bb.69:                               ;   in Loop: Header=BB91_44 Depth=1
	v_mul_lo_u32 v22, v22, s49
	s_mul_i32 s41, s44, 6
	v_add_u32_e32 v22, s41, v22
	v_add_u32_e32 v98, v22, v94
	v_ashrrev_i32_e32 v99, 31, v98
	v_lshl_add_u64 v[98:99], v[98:99], 2, v[20:21]
	global_load_dword v22, v[98:99], off
	s_branch .LBB91_72
.LBB91_70:                              ;   in Loop: Header=BB91_44 Depth=1
	v_mov_b32_e32 v98, 0
	s_andn2_b64 vcc, exec, s[18:19]
	ds_write_b32 v96, v98 offset:1384
	s_cbranch_vccz .LBB91_68
	s_branch .LBB91_72
.LBB91_71:                              ;   in Loop: Header=BB91_44 Depth=1
	v_mov_b32_e32 v22, 0
.LBB91_72:                              ;   in Loop: Header=BB91_44 Depth=1
	s_waitcnt vmcnt(0)
	ds_write_b32 v96, v22 offset:1648
	v_mov_b32_e32 v22, 0
	s_andn2_b64 vcc, exec, s[20:21]
	v_mov_b32_e32 v98, 0
	s_cbranch_vccnz .LBB91_75
; %bb.73:                               ;   in Loop: Header=BB91_44 Depth=1
	ds_read_b32 v98, v95 offset:28
	s_waitcnt lgkmcnt(0)
	v_cmp_gt_i32_e32 vcc, 0, v98
	s_cbranch_vccnz .LBB91_78
; %bb.74:                               ;   in Loop: Header=BB91_44 Depth=1
	v_mul_lo_u32 v98, v98, s49
	s_mul_i32 s41, s44, 7
	v_add_u32_e32 v98, s41, v98
	v_add_u32_e32 v98, v98, v94
	v_ashrrev_i32_e32 v99, 31, v98
	v_lshl_add_u64 v[98:99], v[98:99], 2, v[20:21]
	global_load_dword v98, v[98:99], off
.LBB91_75:                              ;   in Loop: Header=BB91_44 Depth=1
	s_andn2_b64 vcc, exec, s[22:23]
	s_waitcnt vmcnt(0)
	ds_write_b32 v96, v98 offset:1912
	s_cbranch_vccnz .LBB91_80
.LBB91_76:                              ;   in Loop: Header=BB91_44 Depth=1
	ds_read_b32 v22, v95 offset:32
	s_waitcnt lgkmcnt(0)
	v_cmp_gt_i32_e32 vcc, 0, v22
	s_cbranch_vccnz .LBB91_79
; %bb.77:                               ;   in Loop: Header=BB91_44 Depth=1
	v_mul_lo_u32 v22, v22, s49
	v_add_u32_e32 v22, s51, v22
	v_add_u32_e32 v98, v22, v94
	v_ashrrev_i32_e32 v99, 31, v98
	v_lshl_add_u64 v[98:99], v[98:99], 2, v[20:21]
	global_load_dword v22, v[98:99], off
	s_branch .LBB91_80
.LBB91_78:                              ;   in Loop: Header=BB91_44 Depth=1
	v_mov_b32_e32 v98, 0
	s_andn2_b64 vcc, exec, s[22:23]
	ds_write_b32 v96, v98 offset:1912
	s_cbranch_vccz .LBB91_76
	s_branch .LBB91_80
.LBB91_79:                              ;   in Loop: Header=BB91_44 Depth=1
	v_mov_b32_e32 v22, 0
.LBB91_80:                              ;   in Loop: Header=BB91_44 Depth=1
	s_waitcnt vmcnt(0)
	ds_write_b32 v96, v22 offset:2176
	v_mov_b32_e32 v22, 0
	s_andn2_b64 vcc, exec, s[24:25]
	v_mov_b32_e32 v98, 0
	s_cbranch_vccnz .LBB91_83
; %bb.81:                               ;   in Loop: Header=BB91_44 Depth=1
	ds_read_b32 v98, v95 offset:36
	s_waitcnt lgkmcnt(0)
	v_cmp_gt_i32_e32 vcc, 0, v98
	s_cbranch_vccnz .LBB91_86
; %bb.82:                               ;   in Loop: Header=BB91_44 Depth=1
	v_mul_lo_u32 v98, v98, s49
	s_mul_i32 s41, s44, 9
	v_add_u32_e32 v98, s41, v98
	v_add_u32_e32 v98, v98, v94
	v_ashrrev_i32_e32 v99, 31, v98
	v_lshl_add_u64 v[98:99], v[98:99], 2, v[20:21]
	global_load_dword v98, v[98:99], off
.LBB91_83:                              ;   in Loop: Header=BB91_44 Depth=1
	s_andn2_b64 vcc, exec, s[26:27]
	s_waitcnt vmcnt(0)
	ds_write_b32 v96, v98 offset:2440
	s_cbranch_vccnz .LBB91_88
.LBB91_84:                              ;   in Loop: Header=BB91_44 Depth=1
	ds_read_b32 v22, v95 offset:40
	s_waitcnt lgkmcnt(0)
	v_cmp_gt_i32_e32 vcc, 0, v22
	s_cbranch_vccnz .LBB91_87
; %bb.85:                               ;   in Loop: Header=BB91_44 Depth=1
	v_mul_lo_u32 v22, v22, s49
	s_mul_i32 s41, s44, 10
	v_add_u32_e32 v22, s41, v22
	v_add_u32_e32 v98, v22, v94
	v_ashrrev_i32_e32 v99, 31, v98
	v_lshl_add_u64 v[98:99], v[98:99], 2, v[20:21]
	global_load_dword v22, v[98:99], off
	s_branch .LBB91_88
.LBB91_86:                              ;   in Loop: Header=BB91_44 Depth=1
	v_mov_b32_e32 v98, 0
	s_andn2_b64 vcc, exec, s[26:27]
	ds_write_b32 v96, v98 offset:2440
	s_cbranch_vccz .LBB91_84
	s_branch .LBB91_88
.LBB91_87:                              ;   in Loop: Header=BB91_44 Depth=1
	v_mov_b32_e32 v22, 0
.LBB91_88:                              ;   in Loop: Header=BB91_44 Depth=1
	s_waitcnt vmcnt(0)
	ds_write_b32 v96, v22 offset:2704
	v_mov_b32_e32 v22, 0
	s_andn2_b64 vcc, exec, s[28:29]
	v_mov_b32_e32 v98, 0
	s_cbranch_vccnz .LBB91_91
; %bb.89:                               ;   in Loop: Header=BB91_44 Depth=1
	ds_read_b32 v98, v95 offset:44
	s_waitcnt lgkmcnt(0)
	v_cmp_gt_i32_e32 vcc, 0, v98
	s_cbranch_vccnz .LBB91_94
; %bb.90:                               ;   in Loop: Header=BB91_44 Depth=1
	v_mul_lo_u32 v98, v98, s49
	s_mul_i32 s41, s44, 11
	v_add_u32_e32 v98, s41, v98
	v_add_u32_e32 v98, v98, v94
	v_ashrrev_i32_e32 v99, 31, v98
	v_lshl_add_u64 v[98:99], v[98:99], 2, v[20:21]
	global_load_dword v98, v[98:99], off
.LBB91_91:                              ;   in Loop: Header=BB91_44 Depth=1
	s_andn2_b64 vcc, exec, s[30:31]
	s_waitcnt vmcnt(0)
	ds_write_b32 v96, v98 offset:2968
	s_cbranch_vccnz .LBB91_43
.LBB91_92:                              ;   in Loop: Header=BB91_44 Depth=1
	ds_read_b32 v22, v95 offset:48
	s_waitcnt lgkmcnt(0)
	v_cmp_gt_i32_e32 vcc, 0, v22
	s_cbranch_vccz .LBB91_42
; %bb.93:                               ;   in Loop: Header=BB91_44 Depth=1
	v_mov_b32_e32 v22, 0
	s_branch .LBB91_43
.LBB91_94:                              ;   in Loop: Header=BB91_44 Depth=1
	v_mov_b32_e32 v98, 0
	s_andn2_b64 vcc, exec, s[30:31]
	ds_write_b32 v96, v98 offset:2968
	s_cbranch_vccnz .LBB91_43
	s_branch .LBB91_92
.LBB91_95:
	s_or_b64 exec, exec, s[42:43]
	v_readlane_b32 s24, v111, 8
	v_readlane_b32 s28, v111, 12
	;; [unrolled: 1-line block ×8, first 2 shown]
.LBB91_96:
	v_readlane_b32 s0, v111, 6
	v_readlane_b32 s1, v111, 7
	s_or_b64 exec, exec, s[0:1]
	v_mov_b32_e32 v19, 0x100
	v_lshl_add_u32 v18, v92, 2, v19
	v_mul_u32_u24_e32 v20, 0x608, v93
	v_and_b32_e32 v21, 0x3f0, v16
	v_add3_u32 v20, v18, v20, v21
	s_waitcnt lgkmcnt(0)
	s_barrier
	s_movk_i32 s0, 0x608
	ds_write2_b32 v20, v8, v9 offset0:16 offset1:17
	ds_write2_b32 v20, v10, v11 offset0:18 offset1:19
	;; [unrolled: 1-line block ×8, first 2 shown]
	v_lshl_add_u32 v8, v16, 2, v19
	v_mad_u32_u24 v0, v17, s0, v8
	s_waitcnt lgkmcnt(0)
	s_barrier
	ds_read2_b32 v[6:7], v0 offset0:16 offset1:80
	ds_read2_b32 v[2:3], v0 offset0:144 offset1:208
	v_add_u32_e32 v0, 64, v0
	ds_read2st64_b32 v[4:5], v0 offset0:4 offset1:5
	v_cmp_gt_u32_e32 vcc, 13, v17
	v_mov_b32_e32 v10, -1
	s_and_saveexec_b64 s[0:1], vcc
; %bb.97:
	s_movk_i32 s2, 0xff04
	v_mad_i32_i24 v0, v17, s2, v18
	ds_read_b32 v10, v0
; %bb.98:
	s_or_b64 exec, exec, s[0:1]
	s_mul_hi_i32 s1, s30, s22
	s_mul_i32 s0, s30, s22
	s_lshl_b64 s[0:1], s[0:1], 2
	v_readlane_b32 s2, v111, 4
	v_mul_hi_i32 v1, v90, s45
	v_mul_lo_u32 v0, v90, s45
	v_readlane_b32 s3, v111, 5
	s_add_u32 s0, s2, s0
	s_addc_u32 s1, s3, s1
	v_lshlrev_b64 v[0:1], 2, v[0:1]
	s_waitcnt lgkmcnt(0)
	v_cmp_lt_i32_e32 vcc, -1, v10
	v_mul_u32_u24_e32 v11, 0x608, v17
	v_add_u32_e32 v9, s11, v16
	v_lshl_add_u64 v[0:1], s[0:1], 0, v[0:1]
	s_and_b64 s[2:3], vcc, s[24:25]
	s_and_saveexec_b64 s[0:1], s[2:3]
	s_cbranch_execz .LBB91_100
; %bb.99:
	v_add_f32_e32 v6, 0, v6
	v_add_f32_e32 v6, v6, v7
	;; [unrolled: 1-line block ×6, first 2 shown]
	v_mul_lo_u32 v2, v10, s50
	v_mul_lo_u32 v3, v17, s45
	v_add3_u32 v2, v9, v3, v2
	v_mov_b32_e32 v3, 0
	v_lshl_add_u64 v[2:3], v[2:3], 2, v[0:1]
	global_store_dword v[2:3], v4, off
.LBB91_100:
	s_or_b64 exec, exec, s[0:1]
	v_add_u32_e32 v2, v11, v8
	v_add_u32_e32 v2, 0x70, v2
	ds_read2st64_b32 v[6:7], v2 offset0:36 offset1:37
	ds_read2st64_b32 v[4:5], v2 offset0:38 offset1:39
	;; [unrolled: 1-line block ×3, first 2 shown]
	v_cmp_gt_u32_e32 vcc, 7, v17
	v_mov_b32_e32 v10, -1
	s_and_saveexec_b64 s[0:1], vcc
; %bb.101:
	v_mov_b32_e32 v10, 0x100
	v_lshl_add_u32 v10, v17, 2, v10
	ds_read_b32 v10, v10 offset:24
; %bb.102:
	s_or_b64 exec, exec, s[0:1]
	v_readlane_b32 s0, v111, 0
	s_waitcnt lgkmcnt(0)
	v_cmp_lt_i32_e32 vcc, -1, v10
	v_readlane_b32 s1, v111, 1
	s_and_b64 s[2:3], vcc, s[0:1]
	s_and_saveexec_b64 s[0:1], s[2:3]
	s_cbranch_execz .LBB91_104
; %bb.103:
	v_add_f32_e32 v6, 0, v6
	v_add_f32_e32 v6, v6, v7
	;; [unrolled: 1-line block ×6, first 2 shown]
	v_mul_lo_u32 v2, v10, s50
	v_mul_lo_u32 v3, v91, s45
	v_add3_u32 v2, v9, v3, v2
	v_mov_b32_e32 v3, 0
	v_lshl_add_u64 v[2:3], v[2:3], 2, v[0:1]
	global_store_dword v[2:3], v4, off
.LBB91_104:
	s_or_b64 exec, exec, s[0:1]
	v_cmp_eq_u32_e32 vcc, 0, v17
	s_and_saveexec_b64 s[0:1], vcc
	s_cbranch_execz .LBB91_107
; %bb.105:
	v_mov_b32_e32 v2, 0x100
	ds_read_b32 v2, v2 offset:48
	v_readlane_b32 s2, v111, 2
	v_readlane_b32 s3, v111, 3
	s_waitcnt lgkmcnt(0)
	v_readfirstlane_b32 s0, v2
	s_cmp_gt_i32 s0, -1
	s_cselect_b64 s[0:1], -1, 0
	s_and_b64 s[0:1], s[0:1], s[2:3]
	s_and_b64 exec, exec, s[0:1]
	s_cbranch_execz .LBB91_107
; %bb.106:
	v_add_u32_e32 v6, 0xa0, v8
	ds_read2st64_b32 v[4:5], v6 offset0:72 offset1:73
	v_mul_lo_u32 v8, v2, s50
	ds_read2st64_b32 v[2:3], v6 offset0:74 offset1:75
	ds_read2st64_b32 v[6:7], v6 offset0:76 offset1:77
	s_mul_i32 s0, s45, 12
	s_waitcnt lgkmcnt(2)
	v_add_f32_e32 v4, 0, v4
	v_add_f32_e32 v4, v4, v5
	s_waitcnt lgkmcnt(1)
	v_add_f32_e32 v2, v4, v2
	v_add_f32_e32 v2, v2, v3
	s_waitcnt lgkmcnt(0)
	v_add_f32_e32 v2, v2, v6
	v_add_f32_e32 v4, v2, v7
	v_add_u32_e32 v2, s0, v8
	v_add_u32_e32 v2, v2, v9
	v_mov_b32_e32 v3, 0
	v_lshl_add_u64 v[0:1], v[2:3], 2, v[0:1]
	global_store_dword v[0:1], v4, off
.LBB91_107:
	s_endpgm
	.section	.rodata,"a",@progbits
	.p2align	6, 0x0
	.amdhsa_kernel _ZL9mul_mat_fIfLi64ELi13ELi6ELb1EEvPKT_PKfPKiPfiiiiiiiiiiiiiiii
		.amdhsa_group_segment_fixed_size 256
		.amdhsa_private_segment_fixed_size 0
		.amdhsa_kernarg_size 352
		.amdhsa_user_sgpr_count 2
		.amdhsa_user_sgpr_dispatch_ptr 0
		.amdhsa_user_sgpr_queue_ptr 0
		.amdhsa_user_sgpr_kernarg_segment_ptr 1
		.amdhsa_user_sgpr_dispatch_id 0
		.amdhsa_user_sgpr_kernarg_preload_length 0
		.amdhsa_user_sgpr_kernarg_preload_offset 0
		.amdhsa_user_sgpr_private_segment_size 0
		.amdhsa_uses_dynamic_stack 0
		.amdhsa_enable_private_segment 0
		.amdhsa_system_sgpr_workgroup_id_x 1
		.amdhsa_system_sgpr_workgroup_id_y 1
		.amdhsa_system_sgpr_workgroup_id_z 1
		.amdhsa_system_sgpr_workgroup_info 0
		.amdhsa_system_vgpr_workitem_id 2
		.amdhsa_next_free_vgpr 112
		.amdhsa_next_free_sgpr 100
		.amdhsa_accum_offset 112
		.amdhsa_reserve_vcc 1
		.amdhsa_float_round_mode_32 0
		.amdhsa_float_round_mode_16_64 0
		.amdhsa_float_denorm_mode_32 3
		.amdhsa_float_denorm_mode_16_64 3
		.amdhsa_dx10_clamp 1
		.amdhsa_ieee_mode 1
		.amdhsa_fp16_overflow 0
		.amdhsa_tg_split 0
		.amdhsa_exception_fp_ieee_invalid_op 0
		.amdhsa_exception_fp_denorm_src 0
		.amdhsa_exception_fp_ieee_div_zero 0
		.amdhsa_exception_fp_ieee_overflow 0
		.amdhsa_exception_fp_ieee_underflow 0
		.amdhsa_exception_fp_ieee_inexact 0
		.amdhsa_exception_int_div_zero 0
	.end_amdhsa_kernel
	.section	.text._ZL9mul_mat_fIfLi64ELi13ELi6ELb1EEvPKT_PKfPKiPfiiiiiiiiiiiiiiii,"axG",@progbits,_ZL9mul_mat_fIfLi64ELi13ELi6ELb1EEvPKT_PKfPKiPfiiiiiiiiiiiiiiii,comdat
.Lfunc_end91:
	.size	_ZL9mul_mat_fIfLi64ELi13ELi6ELb1EEvPKT_PKfPKiPfiiiiiiiiiiiiiiii, .Lfunc_end91-_ZL9mul_mat_fIfLi64ELi13ELi6ELb1EEvPKT_PKfPKiPfiiiiiiiiiiiiiiii
                                        ; -- End function
	.set _ZL9mul_mat_fIfLi64ELi13ELi6ELb1EEvPKT_PKfPKiPfiiiiiiiiiiiiiiii.num_vgpr, 112
	.set _ZL9mul_mat_fIfLi64ELi13ELi6ELb1EEvPKT_PKfPKiPfiiiiiiiiiiiiiiii.num_agpr, 0
	.set _ZL9mul_mat_fIfLi64ELi13ELi6ELb1EEvPKT_PKfPKiPfiiiiiiiiiiiiiiii.numbered_sgpr, 100
	.set _ZL9mul_mat_fIfLi64ELi13ELi6ELb1EEvPKT_PKfPKiPfiiiiiiiiiiiiiiii.num_named_barrier, 0
	.set _ZL9mul_mat_fIfLi64ELi13ELi6ELb1EEvPKT_PKfPKiPfiiiiiiiiiiiiiiii.private_seg_size, 0
	.set _ZL9mul_mat_fIfLi64ELi13ELi6ELb1EEvPKT_PKfPKiPfiiiiiiiiiiiiiiii.uses_vcc, 1
	.set _ZL9mul_mat_fIfLi64ELi13ELi6ELb1EEvPKT_PKfPKiPfiiiiiiiiiiiiiiii.uses_flat_scratch, 0
	.set _ZL9mul_mat_fIfLi64ELi13ELi6ELb1EEvPKT_PKfPKiPfiiiiiiiiiiiiiiii.has_dyn_sized_stack, 0
	.set _ZL9mul_mat_fIfLi64ELi13ELi6ELb1EEvPKT_PKfPKiPfiiiiiiiiiiiiiiii.has_recursion, 0
	.set _ZL9mul_mat_fIfLi64ELi13ELi6ELb1EEvPKT_PKfPKiPfiiiiiiiiiiiiiiii.has_indirect_call, 0
	.section	.AMDGPU.csdata,"",@progbits
; Kernel info:
; codeLenInByte = 7936
; TotalNumSgprs: 106
; NumVgprs: 112
; NumAgprs: 0
; TotalNumVgprs: 112
; ScratchSize: 0
; MemoryBound: 0
; FloatMode: 240
; IeeeMode: 1
; LDSByteSize: 256 bytes/workgroup (compile time only)
; SGPRBlocks: 13
; VGPRBlocks: 13
; NumSGPRsForWavesPerEU: 106
; NumVGPRsForWavesPerEU: 112
; AccumOffset: 112
; Occupancy: 4
; WaveLimiterHint : 0
; COMPUTE_PGM_RSRC2:SCRATCH_EN: 0
; COMPUTE_PGM_RSRC2:USER_SGPR: 2
; COMPUTE_PGM_RSRC2:TRAP_HANDLER: 0
; COMPUTE_PGM_RSRC2:TGID_X_EN: 1
; COMPUTE_PGM_RSRC2:TGID_Y_EN: 1
; COMPUTE_PGM_RSRC2:TGID_Z_EN: 1
; COMPUTE_PGM_RSRC2:TIDIG_COMP_CNT: 2
; COMPUTE_PGM_RSRC3_GFX90A:ACCUM_OFFSET: 27
; COMPUTE_PGM_RSRC3_GFX90A:TG_SPLIT: 0
	.section	.text._ZL9mul_mat_fIfLi64ELi13ELi6ELb0EEvPKT_PKfPKiPfiiiiiiiiiiiiiiii,"axG",@progbits,_ZL9mul_mat_fIfLi64ELi13ELi6ELb0EEvPKT_PKfPKiPfiiiiiiiiiiiiiiii,comdat
	.globl	_ZL9mul_mat_fIfLi64ELi13ELi6ELb0EEvPKT_PKfPKiPfiiiiiiiiiiiiiiii ; -- Begin function _ZL9mul_mat_fIfLi64ELi13ELi6ELb0EEvPKT_PKfPKiPfiiiiiiiiiiiiiiii
	.p2align	8
	.type	_ZL9mul_mat_fIfLi64ELi13ELi6ELb0EEvPKT_PKfPKiPfiiiiiiiiiiiiiiii,@function
_ZL9mul_mat_fIfLi64ELi13ELi6ELb0EEvPKT_PKfPKiPfiiiiiiiiiiiiiiii: ; @_ZL9mul_mat_fIfLi64ELi13ELi6ELb0EEvPKT_PKfPKiPfiiiiiiiiiiiiiiii
; %bb.0:
	s_load_dword s5, s[0:1], 0x20
	s_load_dwordx4 s[16:19], s[0:1], 0x2c
	v_bfe_u32 v62, v0, 10, 10
	v_lshlrev_b32_e32 v64, 6, v62
	v_and_b32_e32 v63, 0x3ff, v0
	v_add_u32_e32 v66, v64, v63
	s_waitcnt lgkmcnt(0)
	s_ashr_i32 s19, s4, 31
	v_cmp_le_i32_e32 vcc, s5, v66
	v_and_b32_e32 v65, 15, v63
	s_and_saveexec_b64 s[6:7], vcc
	s_xor_b64 s[6:7], exec, s[6:7]
; %bb.1:
	v_and_b32_e32 v65, 15, v63
                                        ; implicit-def: $vgpr66
; %bb.2:
	s_or_saveexec_b64 s[24:25], s[6:7]
	s_load_dwordx8 s[8:15], s[0:1], 0x40
	s_load_dwordx2 s[6:7], s[0:1], 0x18
	v_mov_b32_e32 v11, 0
	s_lshl_b32 s2, s2, 6
	v_mov_b32_e32 v10, v11
	v_mov_b32_e32 v9, v11
	;; [unrolled: 1-line block ×15, first 2 shown]
	s_xor_b64 exec, exec, s[24:25]
	s_cbranch_execz .LBB92_6
; %bb.3:
	s_waitcnt lgkmcnt(0)
	s_abs_i32 s26, s8
	v_cvt_f32_u32_e32 v0, s26
	s_abs_i32 s27, s12
	v_cvt_f32_u32_e32 v1, s27
	s_sub_i32 s20, 0, s26
	v_rcp_iflag_f32_e32 v0, v0
	s_abs_i32 s28, s3
	v_rcp_iflag_f32_e32 v1, v1
	s_sub_i32 s21, 0, s27
	v_mul_f32_e32 v0, 0x4f7ffffe, v0
	v_cvt_u32_f32_e32 v0, v0
	v_mul_f32_e32 v1, 0x4f7ffffe, v1
	v_cvt_u32_f32_e32 v1, v1
	s_abs_i32 s29, s4
	v_mul_lo_u32 v2, s20, v0
	v_mul_hi_u32 v2, v0, v2
	v_add_u32_e32 v0, v0, v2
	v_mul_hi_u32 v0, s28, v0
	v_mul_lo_u32 v3, s21, v1
	v_mul_lo_u32 v2, v0, s26
	v_mul_hi_u32 v3, v1, v3
	v_sub_u32_e32 v2, s28, v2
	v_add_u32_e32 v1, v1, v3
	v_add_u32_e32 v3, 1, v0
	v_subrev_u32_e32 v4, s26, v2
	v_cmp_le_u32_e32 vcc, s26, v2
	s_load_dwordx4 s[20:23], s[0:1], 0x0
	s_ashr_i32 s0, s3, 31
	v_cndmask_b32_e32 v0, v0, v3, vcc
	v_cndmask_b32_e32 v2, v2, v4, vcc
	s_ashr_i32 s1, s8, 31
	v_add_u32_e32 v3, 1, v0
	v_cmp_le_u32_e32 vcc, s26, v2
	s_xor_b32 s0, s0, s1
	v_mul_hi_u32 v1, s29, v1
	v_cndmask_b32_e32 v0, v0, v3, vcc
	v_xor_b32_e32 v0, s0, v0
	v_subrev_u32_e32 v2, s0, v0
	v_mul_lo_u32 v0, v1, s27
	v_sub_u32_e32 v0, s29, v0
	v_add_u32_e32 v3, 1, v1
	v_subrev_u32_e32 v4, s27, v0
	v_cmp_le_u32_e32 vcc, s27, v0
	s_ashr_i32 s8, s12, 31
	s_xor_b32 s0, s19, s8
	v_cndmask_b32_e32 v1, v1, v3, vcc
	v_cndmask_b32_e32 v0, v0, v4, vcc
	v_add_u32_e32 v3, 1, v1
	v_cmp_le_u32_e32 vcc, s27, v0
	v_mul_lo_u32 v2, v2, s9
	s_mul_hi_i32 s9, s14, s4
	v_cndmask_b32_e32 v0, v1, v3, vcc
	s_mul_i32 s8, s14, s4
	v_xor_b32_e32 v0, s0, v0
	s_lshl_b64 s[8:9], s[8:9], 2
	v_subrev_u32_e32 v0, s0, v0
	s_mul_i32 s0, s16, s2
	s_mul_i32 s26, s10, s3
	s_waitcnt lgkmcnt(0)
	s_add_u32 s10, s22, s8
	v_mul_hi_i32 v1, v0, s13
	v_mul_lo_u32 v0, v0, s13
	s_addc_u32 s14, s23, s9
	s_ashr_i32 s1, s0, 31
	s_ashr_i32 s27, s26, 31
	v_ashrrev_i32_e32 v3, 31, v2
	v_lshlrev_b64 v[0:1], 2, v[0:1]
	s_lshl_b64 s[12:13], s[0:1], 2
	s_lshl_b64 s[26:27], s[26:27], 2
	v_lshl_add_u64 v[4:5], s[20:21], 0, v[0:1]
	v_lshlrev_b64 v[2:3], 2, v[2:3]
	s_add_u32 s0, s10, s26
	v_lshl_add_u64 v[4:5], v[4:5], 0, v[2:3]
	s_addc_u32 s1, s14, s27
	s_movk_i32 s10, 0x1080
	s_ashr_i32 s69, s16, 31
	s_mov_b32 s68, s16
	s_ashr_i32 s71, s17, 31
	s_mov_b32 s70, s17
	v_lshl_add_u64 v[16:17], v[4:5], 0, s[12:13]
	v_mad_u32_u24 v4, v62, s10, 0
	v_lshrrev_b32_e32 v6, 1, v63
	s_add_i32 s10, s16, s16
	s_add_i32 s14, s17, s17
	s_lshl_b32 s28, s17, 2
	s_lshl_b32 s33, s17, 3
	;; [unrolled: 1-line block ×6, first 2 shown]
	s_lshl_b64 s[72:73], s[68:69], 2
	s_lshl_b64 s[74:75], s[70:71], 2
	v_mul_u32_u24_e32 v5, 0x108, v65
	v_and_b32_e32 v6, 0x1f8, v6
	s_add_u32 s76, s22, s26
	v_mov_b32_e32 v19, 0
	v_add3_u32 v68, v4, v5, v6
	s_addc_u32 s77, s23, s27
	v_lshl_add_u64 v[2:3], s[20:21], 0, v[2:3]
	v_lshlrev_b32_e32 v6, 8, v62
	v_mov_b32_e32 v7, v19
	v_lshlrev_b32_e32 v18, 2, v63
	v_lshl_add_u64 v[2:3], v[2:3], 0, s[12:13]
	v_lshl_add_u64 v[8:9], s[8:9], 0, v[6:7]
	s_add_u32 s8, s76, s74
	v_add_u32_e32 v67, v4, v18
	v_lshl_add_u64 v[4:5], v[2:3], 0, s[72:73]
	s_addc_u32 s9, s77, s75
	v_lshl_add_u64 v[0:1], v[0:1], 0, v[6:7]
	s_mul_i32 s19, s17, 3
	s_mul_i32 s29, s17, 5
	;; [unrolled: 1-line block ×47, first 2 shown]
	v_lshl_add_u64 v[20:21], s[8:9], 0, v[8:9]
	s_mul_i32 s74, s16, 46
	s_mul_i32 s75, s16, 47
	v_lshl_add_u64 v[22:23], s[76:77], 0, v[8:9]
	s_mul_i32 s76, s16, 48
	s_mul_i32 s77, s16, 49
	v_lshl_add_u64 v[24:25], v[4:5], 0, v[0:1]
	v_lshl_add_u64 v[26:27], v[2:3], 0, v[0:1]
	v_mov_b32_e32 v12, v19
	v_mov_b32_e32 v13, v19
	;; [unrolled: 1-line block ×15, first 2 shown]
	s_mul_i32 s78, s16, 50
	s_mul_i32 s79, s16, 51
	;; [unrolled: 1-line block ×14, first 2 shown]
	s_mov_b64 s[8:9], 0
	s_mov_b64 s[12:13], 0x600
.LBB92_4:                               ; =>This Inner Loop Header: Depth=1
	v_add_u32_e32 v52, s10, v66
	v_add_u32_e32 v48, s38, v66
	;; [unrolled: 1-line block ×16, first 2 shown]
	v_ashrrev_i32_e32 v53, 31, v52
	v_ashrrev_i32_e32 v49, 31, v48
	;; [unrolled: 1-line block ×8, first 2 shown]
	v_lshl_add_u64 v[58:59], v[26:27], 0, v[18:19]
	v_lshl_add_u64 v[60:61], v[24:25], 0, v[18:19]
	;; [unrolled: 1-line block ×3, first 2 shown]
	v_add_u32_e32 v76, s52, v66
	v_add_u32_e32 v78, s53, v66
	v_ashrrev_i32_e32 v57, 31, v56
	v_lshl_add_u64 v[52:53], v[52:53], 2, v[16:17]
	v_ashrrev_i32_e32 v55, 31, v54
	v_lshl_add_u64 v[48:49], v[48:49], 2, v[16:17]
	;; [unrolled: 2-line block ×6, first 2 shown]
	v_lshl_add_u64 v[28:29], v[28:29], 2, v[16:17]
	v_lshl_add_u64 v[34:35], v[34:35], 2, v[16:17]
	v_ashrrev_i32_e32 v37, 31, v36
	v_ashrrev_i32_e32 v75, 31, v74
	v_lshl_add_u64 v[72:73], v[20:21], 0, v[18:19]
	v_add_u32_e32 v80, s54, v66
	v_add_u32_e32 v82, s55, v66
	global_load_dword v69, v[58:59], off
	s_nop 0
	global_load_dword v60, v[60:61], off
	s_nop 0
	global_load_dword v58, v[70:71], off
	global_load_dword v59, v[72:73], off
	v_lshl_add_u64 v[56:57], v[56:57], 2, v[16:17]
	global_load_dword v52, v[52:53], off
	s_nop 0
	global_load_dword v53, v[56:57], off
	v_lshl_add_u64 v[54:55], v[54:55], 2, v[16:17]
	global_load_dword v48, v[48:49], off
	s_nop 0
	;; [unrolled: 4-line block ×6, first 2 shown]
	global_load_dword v31, v[38:39], off
	s_nop 0
	global_load_dword v28, v[28:29], off
	s_nop 0
	global_load_dword v29, v[34:35], off
	v_lshl_add_u64 v[34:35], v[36:37], 2, v[16:17]
	v_lshl_add_u64 v[36:37], v[74:75], 2, v[16:17]
	v_ashrrev_i32_e32 v77, 31, v76
	v_ashrrev_i32_e32 v79, 31, v78
	v_add_u32_e32 v84, s56, v66
	v_add_u32_e32 v86, s57, v66
	global_load_dword v34, v[34:35], off
	s_nop 0
	global_load_dword v35, v[36:37], off
	v_lshl_add_u64 v[36:37], v[76:77], 2, v[16:17]
	v_lshl_add_u64 v[42:43], v[78:79], 2, v[16:17]
	v_ashrrev_i32_e32 v81, 31, v80
	v_ashrrev_i32_e32 v83, 31, v82
	v_add_u32_e32 v88, s58, v66
	v_add_u32_e32 v90, s59, v66
	;; [unrolled: 9-line block ×6, first 2 shown]
	v_add_u32_e32 v74, s22, v66
	v_add_u32_e32 v76, s23, v66
	global_load_dword v54, v[54:55], off
	s_nop 0
	global_load_dword v55, v[56:57], off
	v_lshl_add_u64 v[56:57], v[72:73], 2, v[16:17]
	v_lshl_add_u64 v[70:71], v[92:93], 2, v[16:17]
	v_ashrrev_i32_e32 v95, 31, v94
	v_ashrrev_i32_e32 v97, 31, v96
	v_add_u32_e32 v78, s20, v66
	v_add_u32_e32 v80, s21, v66
	global_load_dword v56, v[56:57], off
	s_nop 0
	global_load_dword v57, v[70:71], off
	v_lshl_add_u64 v[70:71], v[94:95], 2, v[16:17]
	v_lshl_add_u64 v[72:73], v[96:97], 2, v[16:17]
	v_ashrrev_i32_e32 v39, 31, v38
	v_ashrrev_i32_e32 v99, 31, v98
	;; [unrolled: 1-line block ×4, first 2 shown]
	v_add_u32_e32 v82, s26, v66
	v_add_u32_e32 v84, s27, v66
	global_load_dword v61, v[70:71], off
	s_nop 0
	global_load_dword v70, v[72:73], off
	v_lshl_add_u64 v[38:39], v[38:39], 2, v[16:17]
	v_lshl_add_u64 v[72:73], v[98:99], 2, v[16:17]
	;; [unrolled: 1-line block ×4, first 2 shown]
	v_ashrrev_i32_e32 v79, 31, v78
	v_ashrrev_i32_e32 v81, 31, v80
	v_add_u32_e32 v86, s68, v66
	v_add_u32_e32 v88, s69, v66
	global_load_dword v71, v[38:39], off
	s_nop 0
	global_load_dword v72, v[72:73], off
	s_nop 0
	;; [unrolled: 2-line block ×3, first 2 shown]
	global_load_dword v74, v[76:77], off
	v_lshl_add_u64 v[76:77], v[78:79], 2, v[16:17]
	v_lshl_add_u64 v[78:79], v[80:81], 2, v[16:17]
	v_ashrrev_i32_e32 v83, 31, v82
	v_ashrrev_i32_e32 v85, 31, v84
	v_add_u32_e32 v38, s70, v66
	v_add_u32_e32 v90, s71, v66
	global_load_dword v75, v[76:77], off
	s_nop 0
	global_load_dword v76, v[78:79], off
	v_lshl_add_u64 v[78:79], v[82:83], 2, v[16:17]
	v_lshl_add_u64 v[80:81], v[84:85], 2, v[16:17]
	v_ashrrev_i32_e32 v87, 31, v86
	v_ashrrev_i32_e32 v89, 31, v88
	global_load_dword v77, v[78:79], off
	s_nop 0
	global_load_dword v78, v[80:81], off
	v_lshl_add_u64 v[80:81], v[86:87], 2, v[16:17]
	v_lshl_add_u64 v[82:83], v[88:89], 2, v[16:17]
	v_ashrrev_i32_e32 v39, 31, v38
	v_ashrrev_i32_e32 v91, 31, v90
	global_load_dword v79, v[80:81], off
	s_nop 0
	global_load_dword v80, v[82:83], off
	v_lshl_add_u64 v[38:39], v[38:39], 2, v[16:17]
	v_lshl_add_u64 v[82:83], v[90:91], 2, v[16:17]
	v_add_u32_e32 v92, s72, v66
	v_add_u32_e32 v84, s73, v66
	;; [unrolled: 1-line block ×3, first 2 shown]
	global_load_dword v81, v[38:39], off
	s_nop 0
	global_load_dword v82, v[82:83], off
	v_add_u32_e32 v38, s75, v66
	v_ashrrev_i32_e32 v93, 31, v92
	v_ashrrev_i32_e32 v85, 31, v84
	;; [unrolled: 1-line block ×4, first 2 shown]
	v_lshl_add_u64 v[88:89], v[92:93], 2, v[16:17]
	v_lshl_add_u64 v[84:85], v[84:85], 2, v[16:17]
	;; [unrolled: 1-line block ×4, first 2 shown]
	global_load_dword v83, v[88:89], off
	s_nop 0
	global_load_dword v88, v[84:85], off
	v_add_u32_e32 v84, s76, v66
	global_load_dword v89, v[86:87], off
	global_load_dword v90, v[38:39], off
	v_add_u32_e32 v38, s77, v66
	v_ashrrev_i32_e32 v85, 31, v84
	v_ashrrev_i32_e32 v39, 31, v38
	v_lshl_add_u64 v[84:85], v[84:85], 2, v[16:17]
	v_lshl_add_u64 v[38:39], v[38:39], 2, v[16:17]
	global_load_dword v91, v[84:85], off
	global_load_dword v92, v[38:39], off
	v_add_u32_e32 v38, s78, v66
	v_ashrrev_i32_e32 v39, 31, v38
	v_lshl_add_u64 v[38:39], v[38:39], 2, v[16:17]
	global_load_dword v93, v[38:39], off
	v_add_u32_e32 v38, s79, v66
	v_ashrrev_i32_e32 v39, 31, v38
	v_lshl_add_u64 v[38:39], v[38:39], 2, v[16:17]
	;; [unrolled: 4-line block ×25, first 2 shown]
	global_load_dword v117, v[38:39], off
	s_waitcnt vmcnt(62)
	ds_write_b32 v67, v69
	ds_write_b32 v67, v60 offset:264
	ds_write_b32 v67, v52 offset:528
	;; [unrolled: 1-line block ×12, first 2 shown]
	s_waitcnt vmcnt(61)
	ds_write_b32 v67, v31 offset:3432
	s_waitcnt vmcnt(60)
	ds_write_b32 v67, v28 offset:3696
	s_waitcnt vmcnt(59)
	ds_write_b32 v67, v29 offset:3960
	ds_read_b64 v[44:45], v68
	ds_read_b64 v[48:49], v68 offset:32
	ds_read_b64 v[52:53], v68 offset:64
	ds_read_b64 v[84:85], v68 offset:96
	ds_read_b64 v[86:87], v68 offset:128
	ds_read_b64 v[38:39], v68 offset:160
	ds_read_b64 v[32:33], v68 offset:192
	ds_read_b64 v[28:29], v68 offset:224
	s_waitcnt vmcnt(58)
	ds_write_b32 v67, v34
	s_waitcnt vmcnt(57)
	ds_write_b32 v67, v35 offset:264
	s_waitcnt vmcnt(56)
	ds_write_b32 v67, v36 offset:528
	s_waitcnt vmcnt(55)
	ds_write_b32 v67, v37 offset:792
	s_waitcnt vmcnt(54)
	ds_write_b32 v67, v42 offset:1056
	s_waitcnt vmcnt(53)
	ds_write_b32 v67, v43 offset:1320
	s_waitcnt vmcnt(52)
	ds_write_b32 v67, v46 offset:1584
	s_waitcnt vmcnt(51)
	ds_write_b32 v67, v47 offset:1848
	s_waitcnt vmcnt(50)
	ds_write_b32 v67, v50 offset:2112
	s_waitcnt vmcnt(49)
	ds_write_b32 v67, v51 offset:2376
	s_waitcnt vmcnt(48)
	ds_write_b32 v67, v54 offset:2640
	s_waitcnt vmcnt(47)
	ds_write_b32 v67, v55 offset:2904
	s_waitcnt vmcnt(46)
	ds_write_b32 v67, v56 offset:3168
	s_waitcnt vmcnt(45)
	ds_write_b32 v67, v57 offset:3432
	s_waitcnt vmcnt(44)
	ds_write_b32 v67, v61 offset:3696
	s_waitcnt vmcnt(43)
	ds_write_b32 v67, v70 offset:3960
	ds_read_b64 v[42:43], v68
	ds_read_b64 v[46:47], v68 offset:32
	ds_read_b64 v[50:51], v68 offset:64
	ds_read_b64 v[54:55], v68 offset:96
	ds_read_b64 v[56:57], v68 offset:128
	ds_read_b64 v[60:61], v68 offset:160
	ds_read_b64 v[40:41], v68 offset:192
	ds_read_b64 v[30:31], v68 offset:224
	s_waitcnt vmcnt(42)
	ds_write_b32 v67, v71
	s_waitcnt vmcnt(41)
	ds_write_b32 v67, v72 offset:264
	s_waitcnt vmcnt(40)
	ds_write_b32 v67, v73 offset:528
	s_waitcnt vmcnt(39)
	ds_write_b32 v67, v74 offset:792
	s_waitcnt vmcnt(38)
	ds_write_b32 v67, v75 offset:1056
	s_waitcnt vmcnt(37)
	ds_write_b32 v67, v76 offset:1320
	s_waitcnt vmcnt(36)
	ds_write_b32 v67, v77 offset:1584
	s_waitcnt vmcnt(35)
	ds_write_b32 v67, v78 offset:1848
	s_waitcnt vmcnt(34)
	ds_write_b32 v67, v79 offset:2112
	s_waitcnt vmcnt(33)
	ds_write_b32 v67, v80 offset:2376
	s_waitcnt vmcnt(32)
	ds_write_b32 v67, v81 offset:2640
	s_waitcnt vmcnt(31)
	ds_write_b32 v67, v82 offset:2904
	s_waitcnt vmcnt(30)
	ds_write_b32 v67, v83 offset:3168
	;; [unrolled: 40-line block ×3, first 2 shown]
	s_waitcnt vmcnt(13)
	ds_write_b32 v67, v104 offset:3432
	s_waitcnt vmcnt(12)
	ds_write_b32 v67, v105 offset:3696
	;; [unrolled: 2-line block ×3, first 2 shown]
	ds_read_b64 v[88:89], v68
	ds_read_b64 v[90:91], v68 offset:32
	ds_read_b64 v[92:93], v68 offset:64
	;; [unrolled: 1-line block ×7, first 2 shown]
	ds_write_b32 v67, v58
	ds_write_b32 v67, v59 offset:264
	s_waitcnt vmcnt(10)
	ds_write_b32 v67, v107 offset:528
	s_waitcnt vmcnt(9)
	ds_write_b32 v67, v108 offset:792
	s_waitcnt vmcnt(8)
	ds_write_b32 v67, v109 offset:1056
	s_waitcnt vmcnt(7)
	ds_write_b32 v67, v110 offset:1320
	s_waitcnt vmcnt(6)
	ds_write_b32 v67, v111 offset:1584
	s_waitcnt vmcnt(5)
	ds_write_b32 v67, v112 offset:1848
	s_waitcnt vmcnt(4)
	ds_write_b32 v67, v113 offset:2112
	s_waitcnt vmcnt(3)
	ds_write_b32 v67, v114 offset:2376
	s_waitcnt vmcnt(2)
	ds_write_b32 v67, v115 offset:2640
	s_waitcnt vmcnt(1)
	ds_write_b32 v67, v116 offset:2904
	s_waitcnt vmcnt(0)
	ds_write_b32 v67, v117 offset:3168
	ds_write_b32 v67, v19 offset:3432
	;; [unrolled: 1-line block ×4, first 2 shown]
	ds_read_b64 v[58:59], v68
	s_waitcnt lgkmcnt(0)
	v_mfma_f32_16x16x4_f32 v[8:11], v44, v58, v[8:11]
	v_add_u32_e32 v66, 0x180, v66
	v_cmp_le_i32_e32 vcc, s5, v66
	v_lshl_add_u64 v[24:25], v[24:25], 0, s[12:13]
	v_lshl_add_u64 v[26:27], v[26:27], 0, s[12:13]
	;; [unrolled: 1-line block ×3, first 2 shown]
	s_or_b64 s[8:9], vcc, s[8:9]
	v_lshl_add_u64 v[22:23], v[22:23], 0, s[12:13]
	v_mfma_f32_16x16x4_f32 v[4:7], v42, v58, v[4:7]
	v_mfma_f32_16x16x4_f32 v[0:3], v70, v58, v[0:3]
	v_mfma_f32_16x16x4_f32 v[12:15], v88, v58, v[12:15]
	v_mfma_f32_16x16x4_f32 v[8:11], v45, v59, v[8:11]
	v_mfma_f32_16x16x4_f32 v[4:7], v43, v59, v[4:7]
	ds_read_b64 v[42:43], v68 offset:32
	v_mfma_f32_16x16x4_f32 v[0:3], v71, v59, v[0:3]
	v_mfma_f32_16x16x4_f32 v[12:15], v89, v59, v[12:15]
	s_waitcnt lgkmcnt(0)
	v_mfma_f32_16x16x4_f32 v[8:11], v48, v42, v[8:11]
	v_mfma_f32_16x16x4_f32 v[4:7], v46, v42, v[4:7]
	v_mfma_f32_16x16x4_f32 v[0:3], v72, v42, v[0:3]
	v_mfma_f32_16x16x4_f32 v[12:15], v90, v42, v[12:15]
	v_mfma_f32_16x16x4_f32 v[8:11], v49, v43, v[8:11]
	v_mfma_f32_16x16x4_f32 v[4:7], v47, v43, v[4:7]
	v_mfma_f32_16x16x4_f32 v[0:3], v73, v43, v[0:3]
	v_mfma_f32_16x16x4_f32 v[12:15], v91, v43, v[12:15]
	ds_read_b64 v[42:43], v68 offset:64
	s_waitcnt lgkmcnt(0)
	v_mfma_f32_16x16x4_f32 v[8:11], v52, v42, v[8:11]
	v_mfma_f32_16x16x4_f32 v[4:7], v50, v42, v[4:7]
	v_mfma_f32_16x16x4_f32 v[0:3], v74, v42, v[0:3]
	v_mfma_f32_16x16x4_f32 v[12:15], v92, v42, v[12:15]
	v_mfma_f32_16x16x4_f32 v[8:11], v53, v43, v[8:11]
	v_mfma_f32_16x16x4_f32 v[4:7], v51, v43, v[4:7]
	v_mfma_f32_16x16x4_f32 v[0:3], v75, v43, v[0:3]
	v_mfma_f32_16x16x4_f32 v[12:15], v93, v43, v[12:15]
	ds_read_b64 v[42:43], v68 offset:96
	;; [unrolled: 10-line block ×4, first 2 shown]
	s_waitcnt lgkmcnt(0)
	v_mfma_f32_16x16x4_f32 v[8:11], v38, v42, v[8:11]
	v_mfma_f32_16x16x4_f32 v[4:7], v60, v42, v[4:7]
	;; [unrolled: 1-line block ×5, first 2 shown]
	ds_read_b64 v[38:39], v68 offset:192
	v_mfma_f32_16x16x4_f32 v[4:7], v61, v43, v[4:7]
	v_mfma_f32_16x16x4_f32 v[0:3], v81, v43, v[0:3]
	;; [unrolled: 1-line block ×3, first 2 shown]
	s_waitcnt lgkmcnt(0)
	v_mfma_f32_16x16x4_f32 v[8:11], v32, v38, v[8:11]
	v_mfma_f32_16x16x4_f32 v[4:7], v40, v38, v[4:7]
	;; [unrolled: 1-line block ×5, first 2 shown]
	ds_read_b64 v[32:33], v68 offset:224
	v_mfma_f32_16x16x4_f32 v[4:7], v41, v39, v[4:7]
	v_mfma_f32_16x16x4_f32 v[0:3], v83, v39, v[0:3]
	;; [unrolled: 1-line block ×3, first 2 shown]
	s_waitcnt lgkmcnt(0)
	v_mfma_f32_16x16x4_f32 v[8:11], v28, v32, v[8:11]
	v_mfma_f32_16x16x4_f32 v[4:7], v30, v32, v[4:7]
	;; [unrolled: 1-line block ×8, first 2 shown]
	s_andn2_b64 exec, exec, s[8:9]
	s_cbranch_execnz .LBB92_4
; %bb.5:
	s_or_b64 exec, exec, s[8:9]
.LBB92_6:
	s_or_b64 exec, exec, s[24:25]
	s_waitcnt lgkmcnt(0)
	s_mul_hi_i32 s1, s15, s4
	s_mul_i32 s0, s15, s4
	s_lshl_b64 s[0:1], s[0:1], 2
	s_mul_i32 s4, s11, s3
	s_add_u32 s3, s6, s0
	s_addc_u32 s6, s7, s1
	s_ashr_i32 s5, s4, 31
	v_lshl_add_u32 v16, v64, 2, 0
	v_mul_u32_u24_e32 v17, 0x608, v65
	v_and_b32_e32 v18, 0x3f0, v63
	s_lshl_b64 s[0:1], s[4:5], 2
	v_add3_u32 v16, v16, v17, v18
	s_add_u32 s0, s3, s0
	s_barrier
	s_movk_i32 s3, 0x608
	ds_write2_b32 v16, v8, v9 offset1:1
	ds_write2_b32 v16, v10, v11 offset0:2 offset1:3
	ds_write2_b32 v16, v4, v5 offset0:16 offset1:17
	;; [unrolled: 1-line block ×7, first 2 shown]
	v_lshl_add_u32 v1, v63, 2, 0
	v_mad_u32_u24 v8, v62, s3, v1
	s_waitcnt lgkmcnt(0)
	s_barrier
	ds_read2st64_b32 v[2:3], v8 offset1:1
	ds_read2st64_b32 v[4:5], v8 offset0:2 offset1:3
	ds_read2st64_b32 v[6:7], v8 offset0:4 offset1:5
	v_add_u32_e32 v11, 48, v8
	v_add_u32_e32 v0, s2, v63
	s_waitcnt lgkmcnt(2)
	v_add_f32_e32 v2, 0, v2
	v_add_f32_e32 v2, v2, v3
	s_waitcnt lgkmcnt(1)
	v_add_f32_e32 v2, v2, v4
	v_add_f32_e32 v2, v2, v5
	s_waitcnt lgkmcnt(0)
	v_add_f32_e32 v2, v2, v6
	ds_read2st64_b32 v[4:5], v11 offset0:36 offset1:37
	ds_read2st64_b32 v[8:9], v11 offset0:38 offset1:39
	v_add_f32_e32 v10, v2, v7
	v_mad_u64_u32 v[2:3], s[2:3], v62, s18, v[0:1]
	s_addc_u32 s1, s6, s1
	v_mov_b32_e32 v3, 0
	v_lshl_add_u64 v[6:7], v[2:3], 2, s[0:1]
	global_store_dword v[6:7], v10, off
	ds_read2st64_b32 v[6:7], v11 offset0:40 offset1:41
	s_waitcnt lgkmcnt(2)
	v_add_f32_e32 v4, 0, v4
	v_add_f32_e32 v4, v4, v5
	s_waitcnt lgkmcnt(1)
	v_add_f32_e32 v4, v4, v8
	v_add_f32_e32 v4, v4, v9
	s_waitcnt lgkmcnt(0)
	v_add_f32_e32 v4, v4, v6
	v_add_f32_e32 v6, v4, v7
	v_mad_u64_u32 v[4:5], s[2:3], s18, 6, v[2:3]
	v_mov_b32_e32 v5, v3
	v_lshl_add_u64 v[4:5], v[4:5], 2, s[0:1]
	v_cmp_eq_u32_e32 vcc, 0, v62
	global_store_dword v[4:5], v6, off
	s_and_saveexec_b64 s[2:3], vcc
	s_cbranch_execz .LBB92_8
; %bb.7:
	v_add_u32_e32 v2, 0x60, v1
	ds_read2st64_b32 v[4:5], v2 offset0:72 offset1:73
	ds_read2st64_b32 v[6:7], v2 offset0:74 offset1:75
	v_mad_u64_u32 v[0:1], s[2:3], s18, 12, v[0:1]
	ds_read2st64_b32 v[8:9], v2 offset0:76 offset1:77
	s_waitcnt lgkmcnt(2)
	v_add_f32_e32 v1, 0, v4
	v_add_f32_e32 v1, v1, v5
	s_waitcnt lgkmcnt(1)
	v_add_f32_e32 v1, v1, v6
	v_add_f32_e32 v1, v1, v7
	;; [unrolled: 3-line block ×3, first 2 shown]
	v_mov_b32_e32 v1, v3
	v_lshl_add_u64 v[0:1], v[0:1], 2, s[0:1]
	global_store_dword v[0:1], v2, off
.LBB92_8:
	s_endpgm
	.section	.rodata,"a",@progbits
	.p2align	6, 0x0
	.amdhsa_kernel _ZL9mul_mat_fIfLi64ELi13ELi6ELb0EEvPKT_PKfPKiPfiiiiiiiiiiiiiiii
		.amdhsa_group_segment_fixed_size 0
		.amdhsa_private_segment_fixed_size 0
		.amdhsa_kernarg_size 96
		.amdhsa_user_sgpr_count 2
		.amdhsa_user_sgpr_dispatch_ptr 0
		.amdhsa_user_sgpr_queue_ptr 0
		.amdhsa_user_sgpr_kernarg_segment_ptr 1
		.amdhsa_user_sgpr_dispatch_id 0
		.amdhsa_user_sgpr_kernarg_preload_length 0
		.amdhsa_user_sgpr_kernarg_preload_offset 0
		.amdhsa_user_sgpr_private_segment_size 0
		.amdhsa_uses_dynamic_stack 0
		.amdhsa_enable_private_segment 0
		.amdhsa_system_sgpr_workgroup_id_x 1
		.amdhsa_system_sgpr_workgroup_id_y 1
		.amdhsa_system_sgpr_workgroup_id_z 1
		.amdhsa_system_sgpr_workgroup_info 0
		.amdhsa_system_vgpr_workitem_id 1
		.amdhsa_next_free_vgpr 118
		.amdhsa_next_free_sgpr 91
		.amdhsa_accum_offset 120
		.amdhsa_reserve_vcc 1
		.amdhsa_float_round_mode_32 0
		.amdhsa_float_round_mode_16_64 0
		.amdhsa_float_denorm_mode_32 3
		.amdhsa_float_denorm_mode_16_64 3
		.amdhsa_dx10_clamp 1
		.amdhsa_ieee_mode 1
		.amdhsa_fp16_overflow 0
		.amdhsa_tg_split 0
		.amdhsa_exception_fp_ieee_invalid_op 0
		.amdhsa_exception_fp_denorm_src 0
		.amdhsa_exception_fp_ieee_div_zero 0
		.amdhsa_exception_fp_ieee_overflow 0
		.amdhsa_exception_fp_ieee_underflow 0
		.amdhsa_exception_fp_ieee_inexact 0
		.amdhsa_exception_int_div_zero 0
	.end_amdhsa_kernel
	.section	.text._ZL9mul_mat_fIfLi64ELi13ELi6ELb0EEvPKT_PKfPKiPfiiiiiiiiiiiiiiii,"axG",@progbits,_ZL9mul_mat_fIfLi64ELi13ELi6ELb0EEvPKT_PKfPKiPfiiiiiiiiiiiiiiii,comdat
.Lfunc_end92:
	.size	_ZL9mul_mat_fIfLi64ELi13ELi6ELb0EEvPKT_PKfPKiPfiiiiiiiiiiiiiiii, .Lfunc_end92-_ZL9mul_mat_fIfLi64ELi13ELi6ELb0EEvPKT_PKfPKiPfiiiiiiiiiiiiiiii
                                        ; -- End function
	.set _ZL9mul_mat_fIfLi64ELi13ELi6ELb0EEvPKT_PKfPKiPfiiiiiiiiiiiiiiii.num_vgpr, 118
	.set _ZL9mul_mat_fIfLi64ELi13ELi6ELb0EEvPKT_PKfPKiPfiiiiiiiiiiiiiiii.num_agpr, 0
	.set _ZL9mul_mat_fIfLi64ELi13ELi6ELb0EEvPKT_PKfPKiPfiiiiiiiiiiiiiiii.numbered_sgpr, 91
	.set _ZL9mul_mat_fIfLi64ELi13ELi6ELb0EEvPKT_PKfPKiPfiiiiiiiiiiiiiiii.num_named_barrier, 0
	.set _ZL9mul_mat_fIfLi64ELi13ELi6ELb0EEvPKT_PKfPKiPfiiiiiiiiiiiiiiii.private_seg_size, 0
	.set _ZL9mul_mat_fIfLi64ELi13ELi6ELb0EEvPKT_PKfPKiPfiiiiiiiiiiiiiiii.uses_vcc, 1
	.set _ZL9mul_mat_fIfLi64ELi13ELi6ELb0EEvPKT_PKfPKiPfiiiiiiiiiiiiiiii.uses_flat_scratch, 0
	.set _ZL9mul_mat_fIfLi64ELi13ELi6ELb0EEvPKT_PKfPKiPfiiiiiiiiiiiiiiii.has_dyn_sized_stack, 0
	.set _ZL9mul_mat_fIfLi64ELi13ELi6ELb0EEvPKT_PKfPKiPfiiiiiiiiiiiiiiii.has_recursion, 0
	.set _ZL9mul_mat_fIfLi64ELi13ELi6ELb0EEvPKT_PKfPKiPfiiiiiiiiiiiiiiii.has_indirect_call, 0
	.section	.AMDGPU.csdata,"",@progbits
; Kernel info:
; codeLenInByte = 5288
; TotalNumSgprs: 97
; NumVgprs: 118
; NumAgprs: 0
; TotalNumVgprs: 118
; ScratchSize: 0
; MemoryBound: 0
; FloatMode: 240
; IeeeMode: 1
; LDSByteSize: 0 bytes/workgroup (compile time only)
; SGPRBlocks: 12
; VGPRBlocks: 14
; NumSGPRsForWavesPerEU: 97
; NumVGPRsForWavesPerEU: 118
; AccumOffset: 120
; Occupancy: 4
; WaveLimiterHint : 0
; COMPUTE_PGM_RSRC2:SCRATCH_EN: 0
; COMPUTE_PGM_RSRC2:USER_SGPR: 2
; COMPUTE_PGM_RSRC2:TRAP_HANDLER: 0
; COMPUTE_PGM_RSRC2:TGID_X_EN: 1
; COMPUTE_PGM_RSRC2:TGID_Y_EN: 1
; COMPUTE_PGM_RSRC2:TGID_Z_EN: 1
; COMPUTE_PGM_RSRC2:TIDIG_COMP_CNT: 1
; COMPUTE_PGM_RSRC3_GFX90A:ACCUM_OFFSET: 29
; COMPUTE_PGM_RSRC3_GFX90A:TG_SPLIT: 0
	.section	.text._ZL13mul_mat_f_idsIfLi64ELi13ELi7EEvPKT_PKfPKiS6_S6_Pfiiiiiiiiiiiiii15HIP_vector_typeIjLj3EES9_,"axG",@progbits,_ZL13mul_mat_f_idsIfLi64ELi13ELi7EEvPKT_PKfPKiS6_S6_Pfiiiiiiiiiiiiii15HIP_vector_typeIjLj3EES9_,comdat
	.globl	_ZL13mul_mat_f_idsIfLi64ELi13ELi7EEvPKT_PKfPKiS6_S6_Pfiiiiiiiiiiiiii15HIP_vector_typeIjLj3EES9_ ; -- Begin function _ZL13mul_mat_f_idsIfLi64ELi13ELi7EEvPKT_PKfPKiS6_S6_Pfiiiiiiiiiiiiii15HIP_vector_typeIjLj3EES9_
	.p2align	8
	.type	_ZL13mul_mat_f_idsIfLi64ELi13ELi7EEvPKT_PKfPKiS6_S6_Pfiiiiiiiiiiiiii15HIP_vector_typeIjLj3EES9_,@function
_ZL13mul_mat_f_idsIfLi64ELi13ELi7EEvPKT_PKfPKiS6_S6_Pfiiiiiiiiiiiiii15HIP_vector_typeIjLj3EES9_: ; @_ZL13mul_mat_f_idsIfLi64ELi13ELi7EEvPKT_PKfPKiS6_S6_Pfiiiiiiiiiiiiii15HIP_vector_typeIjLj3EES9_
; %bb.0:
	s_load_dwordx2 s[6:7], s[0:1], 0x20
	s_mov_b32 s34, s3
	s_ashr_i32 s35, s3, 31
	s_lshl_b64 s[8:9], s[34:35], 2
	s_waitcnt lgkmcnt(0)
	s_add_u32 s6, s6, s8
	s_addc_u32 s7, s7, s9
	s_load_dwordx2 s[30:31], s[6:7], 0x0
	s_waitcnt lgkmcnt(0)
	s_sub_i32 s26, s31, s30
	s_add_i32 s3, s26, 12
	s_mul_hi_i32 s3, s3, 0x4ec4ec4f
	s_lshr_b32 s5, s3, 31
	s_ashr_i32 s3, s3, 2
	s_add_i32 s3, s3, s5
	s_cmp_ge_i32 s4, s3
	s_cbranch_scc1 .LBB93_53
; %bb.1:
	v_bfe_u32 v16, v0, 10, 10
	v_lshlrev_b32_e32 v86, 6, v16
	v_and_b32_e32 v17, 0x3ff, v0
	s_load_dwordx4 s[12:15], s[0:1], 0x30
	s_load_dwordx2 s[20:21], s[0:1], 0x40
	s_load_dwordx4 s[8:11], s[0:1], 0x4c
	s_load_dwordx4 s[16:19], s[0:1], 0x68
	s_load_dwordx2 s[24:25], s[0:1], 0x78
	v_add_u32_e32 v88, v86, v17
	s_ashr_i32 s31, s30, 31
	s_waitcnt lgkmcnt(0)
	v_cmp_le_i32_e32 vcc, s12, v88
	v_and_b32_e32 v87, 15, v17
	s_and_saveexec_b64 s[6:7], vcc
	s_xor_b64 s[6:7], exec, s[6:7]
; %bb.2:
	v_and_b32_e32 v87, 15, v17
                                        ; implicit-def: $vgpr88
; %bb.3:
	s_or_saveexec_b64 s[36:37], s[6:7]
	s_load_dwordx2 s[22:23], s[0:1], 0x18
	s_load_dwordx2 s[6:7], s[0:1], 0x28
                                        ; implicit-def: $vgpr106 : SGPR spill to VGPR lane
	v_mov_b32_e32 v11, 0
	s_lshl_b32 s11, s2, 6
	s_mul_i32 s28, s4, 13
	v_mov_b32_e32 v10, v11
	s_waitcnt lgkmcnt(0)
	v_writelane_b32 v106, s6, 0
	v_mov_b32_e32 v9, v11
	v_mov_b32_e32 v8, v11
	;; [unrolled: 1-line block ×14, first 2 shown]
	v_writelane_b32 v106, s7, 1
	s_xor_b64 exec, exec, s[36:37]
	s_cbranch_execz .LBB93_46
; %bb.4:
	s_load_dwordx4 s[4:7], s[0:1], 0x0
	s_load_dwordx2 s[2:3], s[0:1], 0x10
	v_writelane_b32 v106, s36, 2
	s_mul_i32 s0, s8, s34
	s_ashr_i32 s1, s0, 31
	v_writelane_b32 v106, s37, 3
	v_writelane_b32 v106, s22, 4
	s_lshl_b64 s[64:65], s[0:1], 2
	s_waitcnt lgkmcnt(0)
	s_add_u32 s0, s4, s64
	v_writelane_b32 v106, s23, 5
	s_mul_i32 s22, s15, s11
	v_writelane_b32 v106, s24, 6
	s_addc_u32 s1, s5, s65
	s_ashr_i32 s23, s22, 31
	v_writelane_b32 v106, s25, 7
	s_lshl_b64 s[66:67], s[22:23], 2
	v_writelane_b32 v106, s11, 8
	s_add_u32 s0, s0, s66
	s_addc_u32 s1, s1, s67
	v_writelane_b32 v106, s30, 9
	s_lshl_b64 s[22:23], s[30:31], 2
	s_add_u32 s8, s2, s22
	s_addc_u32 s11, s3, s23
	s_movk_i32 s2, 0x1080
	s_cmp_lt_i32 s28, s26
	v_writelane_b32 v106, s31, 10
	v_mad_u32_u24 v1, v16, s2, 0
	s_cselect_b64 s[2:3], -1, 0
	v_writelane_b32 v106, s2, 11
	s_ashr_i32 s29, s28, 31
	s_mov_b32 s22, s15
	v_writelane_b32 v106, s3, 12
	s_lshl_b64 s[2:3], s[28:29], 2
	s_add_u32 s36, s8, s2
	s_addc_u32 s37, s11, s3
	s_add_i32 s2, s28, 1
	s_cmp_lt_i32 s2, s26
	s_cselect_b64 s[2:3], -1, 0
	v_writelane_b32 v106, s2, 13
	v_lshrrev_b32_e32 v3, 1, v17
	v_lshlrev_b32_e32 v0, 2, v17
	v_writelane_b32 v106, s3, 14
	s_add_i32 s2, s28, 2
	s_cmp_lt_i32 s2, s26
	s_cselect_b64 s[2:3], -1, 0
	v_writelane_b32 v106, s2, 15
	v_mul_u32_u24_e32 v2, 0x108, v87
	v_and_b32_e32 v3, 0x1f8, v3
	v_writelane_b32 v106, s3, 16
	s_add_i32 s2, s28, 3
	s_cmp_lt_i32 s2, s26
	s_cselect_b64 s[2:3], -1, 0
	v_writelane_b32 v106, s2, 17
	v_lshlrev_b32_e32 v18, 8, v16
	v_mov_b32_e32 v19, 0
	v_writelane_b32 v106, s3, 18
	s_add_i32 s2, s28, 4
	s_cmp_lt_i32 s2, s26
	s_cselect_b64 s[2:3], -1, 0
	v_writelane_b32 v106, s2, 19
	v_add_u32_e32 v89, v1, v0
	v_add3_u32 v90, v1, v2, v3
	v_writelane_b32 v106, s3, 20
	s_add_i32 s2, s28, 5
	s_cmp_lt_i32 s2, s26
	s_cselect_b64 s[2:3], -1, 0
	v_writelane_b32 v106, s2, 21
	v_mov_b32_e32 v1, v19
	s_mul_i32 s8, s15, 3
	v_writelane_b32 v106, s3, 22
	s_add_i32 s2, s28, 6
	s_cmp_lt_i32 s2, s26
	s_cselect_b64 s[48:49], -1, 0
	s_add_i32 s2, s28, 7
	s_cmp_lt_i32 s2, s26
	s_cselect_b64 s[50:51], -1, 0
	s_add_i32 s2, s28, 8
	s_cmp_lt_i32 s2, s26
	s_cselect_b64 s[52:53], -1, 0
	s_add_i32 s2, s28, 9
	s_cmp_lt_i32 s2, s26
	s_cselect_b64 s[54:55], -1, 0
	s_add_i32 s2, s28, 10
	s_cmp_lt_i32 s2, s26
	s_cselect_b64 s[56:57], -1, 0
	s_add_i32 s2, s28, 11
	s_cmp_lt_i32 s2, s26
	s_mov_b32 s2, s28
	v_writelane_b32 v106, s2, 23
	s_cselect_b64 s[58:59], -1, 0
	s_mul_i32 s69, s15, 5
	v_writelane_b32 v106, s3, 24
	s_add_i32 s2, s28, 12
	s_cmp_lt_i32 s2, s26
	s_cselect_b64 s[60:61], -1, 0
	s_ashr_i32 s23, s15, 31
	s_add_i32 s3, s15, s15
	s_lshl_b32 s68, s15, 2
	s_lshl_b32 s72, s15, 3
	;; [unrolled: 1-line block ×4, first 2 shown]
	s_lshl_b64 s[62:63], s[22:23], 2
	s_add_u32 s22, s64, s66
	s_addc_u32 s23, s65, s67
	v_lshl_add_u64 v[2:3], s[22:23], 0, v[18:19]
	v_lshl_add_u64 v[0:1], v[2:3], 0, v[0:1]
	v_writelane_b32 v106, s26, 25
	s_mul_i32 s70, s15, 6
	s_mul_i32 s71, s15, 7
	;; [unrolled: 1-line block ×21, first 2 shown]
	v_lshl_add_u64 v[20:21], s[4:5], 0, v[0:1]
	v_mov_b32_e32 v12, 0
	v_mov_b32_e32 v13, v19
	;; [unrolled: 1-line block ×16, first 2 shown]
	s_mul_i32 s90, s15, 29
	s_mul_i32 s91, s15, 30
	;; [unrolled: 1-line block ×34, first 2 shown]
	s_mov_b64 s[4:5], 0
	s_branch .LBB93_6
.LBB93_5:                               ;   in Loop: Header=BB93_6 Depth=1
	s_waitcnt vmcnt(0)
	ds_write2_b32 v89, v18, v92 offset1:66
	ds_write2_b32 v89, v91, v94 offset0:132 offset1:198
	v_add_u32_e32 v18, 0x400, v89
	ds_write2_b32 v18, v93, v96 offset0:8 offset1:74
	ds_write2_b32 v18, v95, v98 offset0:140 offset1:206
	v_add_u32_e32 v18, 0x800, v89
	ds_write2_b32 v18, v97, v100 offset0:16 offset1:82
	;; [unrolled: 3-line block ×3, first 2 shown]
	ds_write2_b32 v18, v19, v19 offset0:156 offset1:222
	ds_read2_b64 v[92:95], v90 offset1:4
	v_add_u32_e32 v88, 0x1c0, v88
	s_waitcnt lgkmcnt(0)
	v_mfma_f32_16x16x4_f32 v[8:11], v52, v92, v[8:11]
	s_mov_b64 vcc, 0x700
	v_lshl_add_u64 v[20:21], v[20:21], 0, vcc
	v_cmp_le_i32_e32 vcc, s12, v88
	s_or_b64 s[4:5], vcc, s[4:5]
	v_mfma_f32_16x16x4_f32 v[4:7], v64, v92, v[4:7]
	v_mfma_f32_16x16x4_f32 v[0:3], v78, v92, v[0:3]
	;; [unrolled: 1-line block ×15, first 2 shown]
	ds_read2_b64 v[82:85], v90 offset0:8 offset1:12
	s_waitcnt lgkmcnt(0)
	v_mfma_f32_16x16x4_f32 v[8:11], v38, v82, v[8:11]
	v_mfma_f32_16x16x4_f32 v[4:7], v56, v82, v[4:7]
	;; [unrolled: 1-line block ×14, first 2 shown]
	ds_read2_b64 v[50:53], v90 offset0:16 offset1:20
	v_mfma_f32_16x16x4_f32 v[0:3], v63, v85, v[0:3]
	v_mfma_f32_16x16x4_f32 v[12:15], v77, v85, v[12:15]
	s_waitcnt lgkmcnt(0)
	v_mfma_f32_16x16x4_f32 v[8:11], v30, v50, v[8:11]
	v_mfma_f32_16x16x4_f32 v[4:7], v42, v50, v[4:7]
	;; [unrolled: 1-line block ×14, first 2 shown]
	ds_read2_b64 v[34:37], v90 offset0:24 offset1:28
	v_mfma_f32_16x16x4_f32 v[0:3], v55, v53, v[0:3]
	v_mfma_f32_16x16x4_f32 v[12:15], v71, v53, v[12:15]
	s_waitcnt lgkmcnt(0)
	v_mfma_f32_16x16x4_f32 v[8:11], v24, v34, v[8:11]
	v_mfma_f32_16x16x4_f32 v[4:7], v32, v34, v[4:7]
	;; [unrolled: 1-line block ×16, first 2 shown]
	s_andn2_b64 exec, exec, s[4:5]
	s_cbranch_execz .LBB93_45
.LBB93_6:                               ; =>This Inner Loop Header: Depth=1
	v_lshl_add_u64 v[22:23], v[20:21], 0, s[62:63]
	global_load_dword v18, v[20:21], off
	global_load_dword v48, v[22:23], off
	v_add_u32_e32 v22, s3, v88
	v_ashrrev_i32_e32 v23, 31, v22
	v_add_u32_e32 v24, s8, v88
	v_add_u32_e32 v26, s68, v88
	;; [unrolled: 1-line block ×5, first 2 shown]
	v_lshl_add_u64 v[22:23], v[22:23], 2, s[0:1]
	v_ashrrev_i32_e32 v25, 31, v24
	v_ashrrev_i32_e32 v27, 31, v26
	;; [unrolled: 1-line block ×5, first 2 shown]
	v_lshl_add_u64 v[24:25], v[24:25], 2, s[0:1]
	v_lshl_add_u64 v[26:27], v[26:27], 2, s[0:1]
	;; [unrolled: 1-line block ×5, first 2 shown]
	global_load_dword v49, v[22:23], off
	global_load_dword v50, v[24:25], off
	;; [unrolled: 1-line block ×6, first 2 shown]
	v_add_u32_e32 v22, s72, v88
	v_add_u32_e32 v40, s81, v88
	;; [unrolled: 1-line block ×10, first 2 shown]
	v_ashrrev_i32_e32 v23, 31, v22
	v_ashrrev_i32_e32 v41, 31, v40
	;; [unrolled: 1-line block ×10, first 2 shown]
	v_lshl_add_u64 v[22:23], v[22:23], 2, s[0:1]
	v_lshl_add_u64 v[40:41], v[40:41], 2, s[0:1]
	v_add_u32_e32 v42, s82, v88
	v_add_u32_e32 v46, s84, v88
	v_lshl_add_u64 v[24:25], v[24:25], 2, s[0:1]
	v_lshl_add_u64 v[26:27], v[26:27], 2, s[0:1]
	;; [unrolled: 1-line block ×8, first 2 shown]
	global_load_dword v55, v[22:23], off
	global_load_dword v56, v[24:25], off
	;; [unrolled: 1-line block ×9, first 2 shown]
	s_nop 0
	global_load_dword v40, v[40:41], off
	v_add_u32_e32 v22, s64, v88
	v_add_u32_e32 v44, s83, v88
	v_ashrrev_i32_e32 v43, 31, v42
	v_ashrrev_i32_e32 v47, 31, v46
	;; [unrolled: 1-line block ×3, first 2 shown]
	v_add_u32_e32 v24, s65, v88
	v_add_u32_e32 v26, s66, v88
	;; [unrolled: 1-line block ×4, first 2 shown]
	v_ashrrev_i32_e32 v45, 31, v44
	v_lshl_add_u64 v[42:43], v[42:43], 2, s[0:1]
	v_lshl_add_u64 v[46:47], v[46:47], 2, s[0:1]
	;; [unrolled: 1-line block ×3, first 2 shown]
	v_ashrrev_i32_e32 v25, 31, v24
	v_ashrrev_i32_e32 v27, 31, v26
	v_ashrrev_i32_e32 v29, 31, v28
	v_ashrrev_i32_e32 v31, 31, v30
	v_lshl_add_u64 v[44:45], v[44:45], 2, s[0:1]
	v_lshl_add_u64 v[24:25], v[24:25], 2, s[0:1]
	;; [unrolled: 1-line block ×5, first 2 shown]
	v_add_u32_e32 v32, s92, v88
	v_add_u32_e32 v34, s85, v88
	;; [unrolled: 1-line block ×3, first 2 shown]
	v_ashrrev_i32_e32 v33, 31, v32
	v_ashrrev_i32_e32 v35, 31, v34
	;; [unrolled: 1-line block ×3, first 2 shown]
	v_lshl_add_u64 v[32:33], v[32:33], 2, s[0:1]
	s_waitcnt vmcnt(17)
	ds_write_b32 v89, v18
	s_waitcnt vmcnt(16)
	ds_write_b32 v89, v48 offset:264
	s_waitcnt vmcnt(15)
	ds_write_b32 v89, v49 offset:528
	;; [unrolled: 2-line block ×7, first 2 shown]
	global_load_dword v18, v[42:43], off
	global_load_dword v41, v[44:45], off
	s_nop 0
	global_load_dword v42, v[46:47], off
	global_load_dword v43, v[22:23], off
	s_nop 0
	global_load_dword v46, v[24:25], off
	global_load_dword v47, v[26:27], off
	;; [unrolled: 1-line block ×4, first 2 shown]
	v_add_u32_e32 v22, s87, v88
	v_ashrrev_i32_e32 v23, 31, v22
	v_add_u32_e32 v24, s88, v88
	v_add_u32_e32 v26, s89, v88
	v_add_u32_e32 v28, s90, v88
	v_add_u32_e32 v30, s91, v88
	v_lshl_add_u64 v[22:23], v[22:23], 2, s[0:1]
	v_ashrrev_i32_e32 v25, 31, v24
	v_ashrrev_i32_e32 v27, 31, v26
	;; [unrolled: 1-line block ×4, first 2 shown]
	v_lshl_add_u64 v[24:25], v[24:25], 2, s[0:1]
	v_lshl_add_u64 v[26:27], v[26:27], 2, s[0:1]
	v_lshl_add_u64 v[28:29], v[28:29], 2, s[0:1]
	v_lshl_add_u64 v[30:31], v[30:31], 2, s[0:1]
	v_lshl_add_u64 v[34:35], v[34:35], 2, s[0:1]
	v_lshl_add_u64 v[36:37], v[36:37], 2, s[0:1]
	global_load_dword v50, v[22:23], off
	global_load_dword v51, v[24:25], off
	global_load_dword v54, v[26:27], off
	global_load_dword v64, v[28:29], off
	global_load_dword v65, v[30:31], off
	global_load_dword v66, v[32:33], off
	global_load_dword v67, v[34:35], off
	global_load_dword v68, v[36:37], off
	v_add_u32_e32 v22, s94, v88
	v_ashrrev_i32_e32 v23, 31, v22
	v_add_u32_e32 v24, s95, v88
	v_add_u32_e32 v26, s96, v88
	v_add_u32_e32 v28, s97, v88
	v_add_u32_e32 v30, s98, v88
	v_add_u32_e32 v32, s99, v88
	v_add_u32_e32 v34, s24, v88
	v_add_u32_e32 v36, s25, v88
	v_lshl_add_u64 v[22:23], v[22:23], 2, s[0:1]
	v_ashrrev_i32_e32 v25, 31, v24
	v_ashrrev_i32_e32 v27, 31, v26
	v_ashrrev_i32_e32 v29, 31, v28
	v_ashrrev_i32_e32 v31, 31, v30
	v_ashrrev_i32_e32 v33, 31, v32
	v_ashrrev_i32_e32 v35, 31, v34
	v_ashrrev_i32_e32 v37, 31, v36
	v_lshl_add_u64 v[24:25], v[24:25], 2, s[0:1]
	v_lshl_add_u64 v[26:27], v[26:27], 2, s[0:1]
	v_lshl_add_u64 v[28:29], v[28:29], 2, s[0:1]
	v_lshl_add_u64 v[30:31], v[30:31], 2, s[0:1]
	v_lshl_add_u64 v[32:33], v[32:33], 2, s[0:1]
	v_lshl_add_u64 v[34:35], v[34:35], 2, s[0:1]
	v_lshl_add_u64 v[36:37], v[36:37], 2, s[0:1]
	global_load_dword v69, v[22:23], off
	global_load_dword v70, v[24:25], off
	global_load_dword v71, v[26:27], off
	global_load_dword v72, v[28:29], off
	global_load_dword v73, v[30:31], off
	global_load_dword v74, v[32:33], off
	global_load_dword v75, v[34:35], off
	global_load_dword v76, v[36:37], off
	v_add_u32_e32 v22, s22, v88
	v_ashrrev_i32_e32 v23, 31, v22
	v_add_u32_e32 v24, s23, v88
	v_add_u32_e32 v26, s11, v88
	v_add_u32_e32 v28, s28, v88
	v_add_u32_e32 v30, s29, v88
	v_add_u32_e32 v32, s30, v88
	v_add_u32_e32 v34, s31, v88
	v_add_u32_e32 v36, s26, v88
	v_lshl_add_u64 v[22:23], v[22:23], 2, s[0:1]
	v_ashrrev_i32_e32 v25, 31, v24
	v_ashrrev_i32_e32 v27, 31, v26
	v_ashrrev_i32_e32 v29, 31, v28
	v_ashrrev_i32_e32 v31, 31, v30
	v_ashrrev_i32_e32 v33, 31, v32
	v_ashrrev_i32_e32 v35, 31, v34
	v_ashrrev_i32_e32 v37, 31, v36
	v_lshl_add_u64 v[24:25], v[24:25], 2, s[0:1]
	;; [unrolled: 32-line block ×3, first 2 shown]
	v_lshl_add_u64 v[26:27], v[26:27], 2, s[0:1]
	v_lshl_add_u64 v[28:29], v[28:29], 2, s[0:1]
	;; [unrolled: 1-line block ×6, first 2 shown]
	global_load_dword v85, v[22:23], off
	global_load_dword v91, v[24:25], off
	;; [unrolled: 1-line block ×8, first 2 shown]
	v_add_u32_e32 v22, s41, v88
	v_ashrrev_i32_e32 v23, 31, v22
	v_add_u32_e32 v24, s42, v88
	v_add_u32_e32 v26, s43, v88
	v_add_u32_e32 v28, s44, v88
	v_add_u32_e32 v30, s45, v88
	v_add_u32_e32 v32, s15, v88
	v_lshl_add_u64 v[22:23], v[22:23], 2, s[0:1]
	v_ashrrev_i32_e32 v25, 31, v24
	v_ashrrev_i32_e32 v27, 31, v26
	;; [unrolled: 1-line block ×5, first 2 shown]
	v_lshl_add_u64 v[24:25], v[24:25], 2, s[0:1]
	v_lshl_add_u64 v[26:27], v[26:27], 2, s[0:1]
	;; [unrolled: 1-line block ×5, first 2 shown]
	global_load_dword v98, v[22:23], off
	global_load_dword v99, v[24:25], off
	;; [unrolled: 1-line block ×6, first 2 shown]
	s_waitcnt vmcnt(55)
	ds_write_b32 v89, v55 offset:2112
	s_waitcnt vmcnt(54)
	ds_write_b32 v89, v56 offset:2376
	s_waitcnt vmcnt(53)
	ds_write_b32 v89, v57 offset:2640
	s_waitcnt vmcnt(52)
	ds_write_b32 v89, v58 offset:2904
	s_waitcnt vmcnt(51)
	ds_write_b32 v89, v59 offset:3168
	s_waitcnt vmcnt(50)
	ds_write_b32 v89, v60 offset:3432
	s_waitcnt vmcnt(49)
	ds_write_b32 v89, v61 offset:3696
	s_waitcnt vmcnt(48)
	ds_write_b32 v89, v62 offset:3960
	ds_read_b64 v[52:53], v90
	ds_read_b64 v[44:45], v90 offset:32
	ds_read_b64 v[38:39], v90 offset:64
	ds_read_b64 v[34:35], v90 offset:96
	ds_read_b64 v[30:31], v90 offset:128
	ds_read_b64 v[26:27], v90 offset:160
	ds_read_b64 v[24:25], v90 offset:192
	ds_read_b64 v[22:23], v90 offset:224
	s_waitcnt vmcnt(47)
	ds_write_b32 v89, v63
	s_waitcnt vmcnt(46)
	ds_write_b32 v89, v40 offset:264
	s_waitcnt vmcnt(45)
	ds_write_b32 v89, v18 offset:528
	s_waitcnt vmcnt(44)
	ds_write_b32 v89, v41 offset:792
	s_waitcnt vmcnt(43)
	ds_write_b32 v89, v42 offset:1056
	s_waitcnt vmcnt(42)
	ds_write_b32 v89, v43 offset:1320
	s_waitcnt vmcnt(41)
	ds_write_b32 v89, v46 offset:1584
	s_waitcnt vmcnt(40)
	ds_write_b32 v89, v47 offset:1848
	s_waitcnt vmcnt(39)
	ds_write_b32 v89, v48 offset:2112
	s_waitcnt vmcnt(38)
	ds_write_b32 v89, v49 offset:2376
	s_waitcnt vmcnt(37)
	ds_write_b32 v89, v50 offset:2640
	s_waitcnt vmcnt(36)
	ds_write_b32 v89, v51 offset:2904
	s_waitcnt vmcnt(35)
	ds_write_b32 v89, v54 offset:3168
	s_waitcnt vmcnt(34)
	ds_write_b32 v89, v64 offset:3432
	s_waitcnt vmcnt(33)
	ds_write_b32 v89, v65 offset:3696
	s_waitcnt vmcnt(32)
	ds_write_b32 v89, v66 offset:3960
	ds_read_b64 v[64:65], v90
	ds_read_b64 v[60:61], v90 offset:32
	ds_read_b64 v[56:57], v90 offset:64
	ds_read_b64 v[50:51], v90 offset:96
	ds_read_b64 v[42:43], v90 offset:128
	ds_read_b64 v[36:37], v90 offset:160
	ds_read_b64 v[32:33], v90 offset:192
	ds_read_b64 v[28:29], v90 offset:224
	s_waitcnt vmcnt(31)
	ds_write_b32 v89, v67
	s_waitcnt vmcnt(30)
	ds_write_b32 v89, v68 offset:264
	s_waitcnt vmcnt(29)
	ds_write_b32 v89, v69 offset:528
	s_waitcnt vmcnt(28)
	ds_write_b32 v89, v70 offset:792
	s_waitcnt vmcnt(27)
	ds_write_b32 v89, v71 offset:1056
	s_waitcnt vmcnt(26)
	ds_write_b32 v89, v72 offset:1320
	s_waitcnt vmcnt(25)
	ds_write_b32 v89, v73 offset:1584
	s_waitcnt vmcnt(24)
	ds_write_b32 v89, v74 offset:1848
	;; [unrolled: 40-line block ×3, first 2 shown]
	s_waitcnt vmcnt(7)
	ds_write_b32 v89, v96 offset:2112
	s_waitcnt vmcnt(6)
	ds_write_b32 v89, v97 offset:2376
	;; [unrolled: 2-line block ×8, first 2 shown]
	ds_read_b64 v[84:85], v90
	ds_read_b64 v[82:83], v90 offset:32
	ds_read_b64 v[80:81], v90 offset:64
	;; [unrolled: 1-line block ×7, first 2 shown]
	v_readlane_b32 s46, v106, 11
	v_readlane_b32 s47, v106, 12
	s_andn2_b64 vcc, exec, s[46:47]
	v_mov_b32_e32 v18, 0
	s_cbranch_vccnz .LBB93_9
; %bb.7:                                ;   in Loop: Header=BB93_6 Depth=1
	s_load_dword vcc_lo, s[36:37], 0x0
	v_mov_b32_e32 v18, 0
	s_waitcnt lgkmcnt(0)
	s_mul_hi_u32 vcc_hi, vcc_lo, s16
	s_add_i32 vcc_hi, vcc_lo, vcc_hi
	s_lshr_b32 s46, vcc_hi, s17
	s_cmp_ge_i32 s46, s13
	s_cbranch_scc1 .LBB93_9
; %bb.8:                                ;   in Loop: Header=BB93_6 Depth=1
	s_mul_i32 vcc_hi, s46, s18
	s_sub_i32 s47, vcc_lo, vcc_hi
	s_mul_i32 s47, s47, s9
	s_mul_i32 s46, s46, s20
	s_add_i32 s46, s46, s47
	v_add_u32_e32 v92, s46, v88
	v_ashrrev_i32_e32 v93, 31, v92
	v_lshl_add_u64 v[92:93], v[92:93], 2, s[6:7]
	global_load_dword v18, v[92:93], off
.LBB93_9:                               ;   in Loop: Header=BB93_6 Depth=1
	v_readlane_b32 s46, v106, 13
	v_readlane_b32 s47, v106, 14
	v_mov_b32_e32 v91, 0
	s_andn2_b64 vcc, exec, s[46:47]
	v_mov_b32_e32 v92, 0
	s_cbranch_vccnz .LBB93_12
; %bb.10:                               ;   in Loop: Header=BB93_6 Depth=1
	s_load_dword vcc_lo, s[36:37], 0x4
	v_mov_b32_e32 v92, 0
	s_waitcnt lgkmcnt(0)
	s_mul_hi_u32 s46, vcc_lo, s16
	s_add_i32 s46, vcc_lo, s46
	s_lshr_b32 vcc_hi, s46, s17
	s_cmp_ge_i32 vcc_hi, s13
	s_cbranch_scc1 .LBB93_12
; %bb.11:                               ;   in Loop: Header=BB93_6 Depth=1
	s_mul_i32 s46, vcc_hi, s18
	s_sub_i32 s46, vcc_lo, s46
	s_mul_i32 s46, s46, s9
	s_mul_i32 s47, vcc_hi, s20
	s_add_i32 s47, s47, s46
	v_add_u32_e32 v92, s47, v88
	v_ashrrev_i32_e32 v93, 31, v92
	v_lshl_add_u64 v[92:93], v[92:93], 2, s[6:7]
	global_load_dword v92, v[92:93], off
.LBB93_12:                              ;   in Loop: Header=BB93_6 Depth=1
	v_readlane_b32 s46, v106, 15
	v_readlane_b32 s47, v106, 16
	s_andn2_b64 vcc, exec, s[46:47]
	s_cbranch_vccnz .LBB93_15
; %bb.13:                               ;   in Loop: Header=BB93_6 Depth=1
	s_load_dword vcc_lo, s[36:37], 0x8
	v_mov_b32_e32 v91, 0
	s_waitcnt lgkmcnt(0)
	s_mul_hi_u32 s46, vcc_lo, s16
	s_add_i32 s46, vcc_lo, s46
	s_lshr_b32 vcc_hi, s46, s17
	s_cmp_ge_i32 vcc_hi, s13
	s_cbranch_scc1 .LBB93_15
; %bb.14:                               ;   in Loop: Header=BB93_6 Depth=1
	s_mul_i32 s46, vcc_hi, s18
	s_sub_i32 s46, vcc_lo, s46
	s_mul_i32 s46, s46, s9
	s_mul_i32 s47, vcc_hi, s20
	s_add_i32 s47, s47, s46
	v_add_u32_e32 v94, s47, v88
	v_ashrrev_i32_e32 v95, 31, v94
	v_lshl_add_u64 v[94:95], v[94:95], 2, s[6:7]
	global_load_dword v91, v[94:95], off
.LBB93_15:                              ;   in Loop: Header=BB93_6 Depth=1
	v_readlane_b32 s46, v106, 17
	v_readlane_b32 s47, v106, 18
	v_mov_b32_e32 v93, 0
	s_andn2_b64 vcc, exec, s[46:47]
	v_mov_b32_e32 v94, 0
	s_cbranch_vccnz .LBB93_18
; %bb.16:                               ;   in Loop: Header=BB93_6 Depth=1
	s_load_dword vcc_lo, s[36:37], 0xc
	v_mov_b32_e32 v94, 0
	s_waitcnt lgkmcnt(0)
	s_mul_hi_u32 s46, vcc_lo, s16
	s_add_i32 s46, vcc_lo, s46
	s_lshr_b32 vcc_hi, s46, s17
	s_cmp_ge_i32 vcc_hi, s13
	s_cbranch_scc1 .LBB93_18
; %bb.17:                               ;   in Loop: Header=BB93_6 Depth=1
	s_mul_i32 s46, vcc_hi, s18
	s_sub_i32 s46, vcc_lo, s46
	s_mul_i32 s46, s46, s9
	s_mul_i32 s47, vcc_hi, s20
	s_add_i32 s47, s47, s46
	v_add_u32_e32 v94, s47, v88
	v_ashrrev_i32_e32 v95, 31, v94
	v_lshl_add_u64 v[94:95], v[94:95], 2, s[6:7]
	global_load_dword v94, v[94:95], off
.LBB93_18:                              ;   in Loop: Header=BB93_6 Depth=1
	v_readlane_b32 s46, v106, 19
	v_readlane_b32 s47, v106, 20
	s_andn2_b64 vcc, exec, s[46:47]
	s_cbranch_vccnz .LBB93_21
; %bb.19:                               ;   in Loop: Header=BB93_6 Depth=1
	s_load_dword vcc_lo, s[36:37], 0x10
	v_mov_b32_e32 v93, 0
	s_waitcnt lgkmcnt(0)
	s_mul_hi_u32 s46, vcc_lo, s16
	s_add_i32 s46, vcc_lo, s46
	s_lshr_b32 vcc_hi, s46, s17
	s_cmp_ge_i32 vcc_hi, s13
	s_cbranch_scc1 .LBB93_21
; %bb.20:                               ;   in Loop: Header=BB93_6 Depth=1
	s_mul_i32 s46, vcc_hi, s18
	s_sub_i32 s46, vcc_lo, s46
	s_mul_i32 s46, s46, s9
	s_mul_i32 s47, vcc_hi, s20
	s_add_i32 s47, s47, s46
	v_add_u32_e32 v96, s47, v88
	v_ashrrev_i32_e32 v97, 31, v96
	v_lshl_add_u64 v[96:97], v[96:97], 2, s[6:7]
	global_load_dword v93, v[96:97], off
.LBB93_21:                              ;   in Loop: Header=BB93_6 Depth=1
	v_readlane_b32 s46, v106, 21
	v_readlane_b32 s47, v106, 22
	v_mov_b32_e32 v95, 0
	s_andn2_b64 vcc, exec, s[46:47]
	v_mov_b32_e32 v96, 0
	s_cbranch_vccnz .LBB93_24
; %bb.22:                               ;   in Loop: Header=BB93_6 Depth=1
	s_load_dword vcc_lo, s[36:37], 0x14
	v_mov_b32_e32 v96, 0
	s_waitcnt lgkmcnt(0)
	s_mul_hi_u32 s46, vcc_lo, s16
	s_add_i32 s46, vcc_lo, s46
	s_lshr_b32 vcc_hi, s46, s17
	s_cmp_ge_i32 vcc_hi, s13
	s_cbranch_scc1 .LBB93_24
; %bb.23:                               ;   in Loop: Header=BB93_6 Depth=1
	s_mul_i32 s46, vcc_hi, s18
	s_sub_i32 s46, vcc_lo, s46
	s_mul_i32 s46, s46, s9
	s_mul_i32 s47, vcc_hi, s20
	s_add_i32 s47, s47, s46
	v_add_u32_e32 v96, s47, v88
	v_ashrrev_i32_e32 v97, 31, v96
	v_lshl_add_u64 v[96:97], v[96:97], 2, s[6:7]
	global_load_dword v96, v[96:97], off
.LBB93_24:                              ;   in Loop: Header=BB93_6 Depth=1
	s_andn2_b64 vcc, exec, s[48:49]
	s_cbranch_vccnz .LBB93_27
; %bb.25:                               ;   in Loop: Header=BB93_6 Depth=1
	s_load_dword vcc_lo, s[36:37], 0x18
	v_mov_b32_e32 v95, 0
	s_waitcnt lgkmcnt(0)
	s_mul_hi_u32 s46, vcc_lo, s16
	s_add_i32 s46, vcc_lo, s46
	s_lshr_b32 vcc_hi, s46, s17
	s_cmp_ge_i32 vcc_hi, s13
	s_cbranch_scc1 .LBB93_27
; %bb.26:                               ;   in Loop: Header=BB93_6 Depth=1
	s_mul_i32 s46, vcc_hi, s18
	s_sub_i32 s46, vcc_lo, s46
	s_mul_i32 s46, s46, s9
	s_mul_i32 s47, vcc_hi, s20
	s_add_i32 s47, s47, s46
	v_add_u32_e32 v98, s47, v88
	v_ashrrev_i32_e32 v99, 31, v98
	v_lshl_add_u64 v[98:99], v[98:99], 2, s[6:7]
	global_load_dword v95, v[98:99], off
.LBB93_27:                              ;   in Loop: Header=BB93_6 Depth=1
	v_mov_b32_e32 v97, 0
	s_andn2_b64 vcc, exec, s[50:51]
	v_mov_b32_e32 v98, 0
	s_cbranch_vccnz .LBB93_30
; %bb.28:                               ;   in Loop: Header=BB93_6 Depth=1
	s_load_dword vcc_lo, s[36:37], 0x1c
	v_mov_b32_e32 v98, 0
	s_waitcnt lgkmcnt(0)
	s_mul_hi_u32 s46, vcc_lo, s16
	s_add_i32 s46, vcc_lo, s46
	s_lshr_b32 vcc_hi, s46, s17
	s_cmp_ge_i32 vcc_hi, s13
	s_cbranch_scc1 .LBB93_30
; %bb.29:                               ;   in Loop: Header=BB93_6 Depth=1
	s_mul_i32 s46, vcc_hi, s18
	s_sub_i32 s46, vcc_lo, s46
	s_mul_i32 s46, s46, s9
	s_mul_i32 s47, vcc_hi, s20
	s_add_i32 s47, s47, s46
	v_add_u32_e32 v98, s47, v88
	v_ashrrev_i32_e32 v99, 31, v98
	v_lshl_add_u64 v[98:99], v[98:99], 2, s[6:7]
	global_load_dword v98, v[98:99], off
.LBB93_30:                              ;   in Loop: Header=BB93_6 Depth=1
	s_andn2_b64 vcc, exec, s[52:53]
	s_cbranch_vccnz .LBB93_33
; %bb.31:                               ;   in Loop: Header=BB93_6 Depth=1
	s_load_dword vcc_lo, s[36:37], 0x20
	v_mov_b32_e32 v97, 0
	s_waitcnt lgkmcnt(0)
	s_mul_hi_u32 s46, vcc_lo, s16
	s_add_i32 s46, vcc_lo, s46
	s_lshr_b32 vcc_hi, s46, s17
	s_cmp_ge_i32 vcc_hi, s13
	s_cbranch_scc1 .LBB93_33
; %bb.32:                               ;   in Loop: Header=BB93_6 Depth=1
	s_mul_i32 s46, vcc_hi, s18
	s_sub_i32 s46, vcc_lo, s46
	s_mul_i32 s46, s46, s9
	s_mul_i32 s47, vcc_hi, s20
	s_add_i32 s47, s47, s46
	v_add_u32_e32 v100, s47, v88
	v_ashrrev_i32_e32 v101, 31, v100
	v_lshl_add_u64 v[100:101], v[100:101], 2, s[6:7]
	global_load_dword v97, v[100:101], off
.LBB93_33:                              ;   in Loop: Header=BB93_6 Depth=1
	;; [unrolled: 46-line block ×3, first 2 shown]
	v_mov_b32_e32 v101, 0
	s_andn2_b64 vcc, exec, s[58:59]
	v_mov_b32_e32 v102, 0
	s_cbranch_vccnz .LBB93_42
; %bb.40:                               ;   in Loop: Header=BB93_6 Depth=1
	s_load_dword vcc_lo, s[36:37], 0x2c
	v_mov_b32_e32 v102, 0
	s_waitcnt lgkmcnt(0)
	s_mul_hi_u32 s46, vcc_lo, s16
	s_add_i32 s46, vcc_lo, s46
	s_lshr_b32 vcc_hi, s46, s17
	s_cmp_ge_i32 vcc_hi, s13
	s_cbranch_scc1 .LBB93_42
; %bb.41:                               ;   in Loop: Header=BB93_6 Depth=1
	s_mul_i32 s46, vcc_hi, s18
	s_sub_i32 s46, vcc_lo, s46
	s_mul_i32 s46, s46, s9
	s_mul_i32 s47, vcc_hi, s20
	s_add_i32 s47, s47, s46
	v_add_u32_e32 v102, s47, v88
	v_ashrrev_i32_e32 v103, 31, v102
	v_lshl_add_u64 v[102:103], v[102:103], 2, s[6:7]
	global_load_dword v102, v[102:103], off
.LBB93_42:                              ;   in Loop: Header=BB93_6 Depth=1
	s_andn2_b64 vcc, exec, s[60:61]
	s_cbranch_vccnz .LBB93_5
; %bb.43:                               ;   in Loop: Header=BB93_6 Depth=1
	s_load_dword vcc_lo, s[36:37], 0x30
	v_mov_b32_e32 v101, 0
	s_waitcnt lgkmcnt(0)
	s_mul_hi_u32 s46, vcc_lo, s16
	s_add_i32 s46, vcc_lo, s46
	s_lshr_b32 vcc_hi, s46, s17
	s_cmp_ge_i32 vcc_hi, s13
	s_cbranch_scc1 .LBB93_5
; %bb.44:                               ;   in Loop: Header=BB93_6 Depth=1
	s_mul_i32 s46, vcc_hi, s18
	s_sub_i32 s46, vcc_lo, s46
	s_mul_i32 s46, s46, s9
	s_mul_i32 s47, vcc_hi, s20
	s_add_i32 s47, s47, s46
	v_add_u32_e32 v104, s47, v88
	v_ashrrev_i32_e32 v105, 31, v104
	v_lshl_add_u64 v[104:105], v[104:105], 2, s[6:7]
	global_load_dword v101, v[104:105], off
	s_branch .LBB93_5
.LBB93_45:
	s_or_b64 exec, exec, s[4:5]
	v_readlane_b32 s24, v106, 6
	v_readlane_b32 s30, v106, 9
	;; [unrolled: 1-line block ×12, first 2 shown]
.LBB93_46:
	s_or_b64 exec, exec, s[36:37]
	s_lshl_b64 s[0:1], s[30:31], 2
	s_add_u32 s4, s22, s0
	v_lshl_add_u32 v18, v86, 2, 0
	v_mul_u32_u24_e32 v19, 0x708, v87
	v_and_b32_e32 v20, 0x3f0, v17
	s_addc_u32 s5, s23, s1
	v_add3_u32 v18, v18, v19, v20
	s_barrier
	ds_write2_b32 v18, v8, v9 offset1:1
	ds_write2_b32 v18, v10, v11 offset0:2 offset1:3
	ds_write2_b32 v18, v4, v5 offset0:16 offset1:17
	;; [unrolled: 1-line block ×7, first 2 shown]
	s_cmp_gt_i32 s14, 0
	v_add_u32_e32 v0, s28, v16
	s_cselect_b64 s[6:7], -1, 0
	v_cmp_gt_i32_e64 s[0:1], s26, v0
	v_cmp_gt_u32_e32 vcc, 13, v16
	s_and_b64 s[0:1], s[6:7], s[0:1]
	v_lshl_add_u32 v3, v17, 2, 0
	v_add_u32_e32 v2, s11, v17
	v_mul_u32_u24_e32 v4, 0x708, v16
	s_and_b64 s[2:3], vcc, s[0:1]
	s_waitcnt lgkmcnt(0)
	s_barrier
	s_and_saveexec_b64 s[0:1], s[2:3]
	s_cbranch_execz .LBB93_49
; %bb.47:
	v_ashrrev_i32_e32 v1, 31, v0
	v_lshl_add_u64 v[6:7], v[0:1], 2, s[4:5]
	global_load_dword v1, v[6:7], off
	s_waitcnt vmcnt(0)
	v_mul_hi_u32 v5, v1, s19
	v_add_u32_e32 v5, v1, v5
	v_lshrrev_b32_e32 v5, s24, v5
	v_cmp_gt_i32_e32 vcc, s13, v5
	s_and_b64 exec, exec, vcc
	s_cbranch_execz .LBB93_49
; %bb.48:
	v_add_u32_e32 v12, v3, v4
	ds_read2st64_b32 v[6:7], v12 offset1:1
	ds_read2st64_b32 v[8:9], v12 offset0:2 offset1:3
	ds_read2st64_b32 v[10:11], v12 offset0:4 offset1:5
	ds_read_b32 v12, v12 offset:1536
	v_mul_lo_u32 v13, v5, s25
	v_sub_u32_e32 v1, v1, v13
	v_mul_lo_u32 v1, v1, s10
	s_waitcnt lgkmcnt(3)
	v_add_f32_e32 v6, 0, v6
	v_add_f32_e32 v6, v6, v7
	s_waitcnt lgkmcnt(2)
	v_add_f32_e32 v6, v6, v8
	v_add_f32_e32 v6, v6, v9
	;; [unrolled: 3-line block ×3, first 2 shown]
	v_mul_lo_u32 v5, v5, s21
	v_readlane_b32 s2, v106, 0
	s_waitcnt lgkmcnt(0)
	v_add_f32_e32 v8, v6, v12
	v_add3_u32 v6, v2, v5, v1
	v_mov_b32_e32 v7, 0
	v_readlane_b32 s3, v106, 1
	s_nop 1
	v_lshl_add_u64 v[6:7], v[6:7], 2, s[2:3]
	global_store_dword v[6:7], v8, off
.LBB93_49:
	s_or_b64 exec, exec, s[0:1]
	v_cmp_gt_u32_e32 vcc, 6, v16
	s_and_saveexec_b64 s[0:1], vcc
	s_cbranch_execz .LBB93_53
; %bb.50:
	v_add_u32_e32 v0, 7, v0
	v_cmp_gt_i32_e32 vcc, s26, v0
	s_and_b64 s[0:1], s[6:7], vcc
	s_and_b64 exec, exec, s[0:1]
	s_cbranch_execz .LBB93_53
; %bb.51:
	s_ashr_i32 s29, s28, 31
	v_mov_b32_e32 v17, 0
	v_lshl_add_u64 v[0:1], v[16:17], 0, s[28:29]
	v_lshl_add_u64 v[0:1], v[0:1], 2, s[4:5]
	global_load_dword v0, v[0:1], off offset:28
	s_waitcnt vmcnt(0)
	v_mul_hi_u32 v1, v0, s19
	v_add_u32_e32 v1, v0, v1
	v_lshrrev_b32_e32 v1, s24, v1
	v_cmp_gt_i32_e32 vcc, s13, v1
	s_and_b64 exec, exec, vcc
	s_cbranch_execz .LBB93_53
; %bb.52:
	v_add_u32_e32 v3, v4, v3
	v_add_u32_e32 v8, 56, v3
	ds_read2st64_b32 v[4:5], v8 offset0:49 offset1:50
	ds_read2st64_b32 v[6:7], v8 offset0:51 offset1:52
	ds_read_b32 v3, v3 offset:14136
	ds_read2st64_b32 v[8:9], v8 offset0:53 offset1:54
	v_mul_lo_u32 v10, v1, s25
	v_sub_u32_e32 v0, v0, v10
	v_mul_lo_u32 v0, v0, s10
	s_waitcnt lgkmcnt(3)
	v_add_f32_e32 v4, 0, v4
	v_add_f32_e32 v4, v4, v5
	s_waitcnt lgkmcnt(2)
	v_add_f32_e32 v4, v4, v6
	v_add_f32_e32 v4, v4, v7
	s_waitcnt lgkmcnt(0)
	v_add_f32_e32 v4, v4, v8
	v_mul_lo_u32 v1, v1, s21
	v_readlane_b32 s0, v106, 0
	v_add_f32_e32 v4, v4, v9
	v_add3_u32 v16, v2, v1, v0
	v_readlane_b32 s1, v106, 1
	v_add_f32_e32 v3, v4, v3
	s_nop 0
	v_lshl_add_u64 v[0:1], v[16:17], 2, s[0:1]
	global_store_dword v[0:1], v3, off
.LBB93_53:
	s_endpgm
	.section	.rodata,"a",@progbits
	.p2align	6, 0x0
	.amdhsa_kernel _ZL13mul_mat_f_idsIfLi64ELi13ELi7EEvPKT_PKfPKiS6_S6_Pfiiiiiiiiiiiiii15HIP_vector_typeIjLj3EES9_
		.amdhsa_group_segment_fixed_size 0
		.amdhsa_private_segment_fixed_size 0
		.amdhsa_kernarg_size 128
		.amdhsa_user_sgpr_count 2
		.amdhsa_user_sgpr_dispatch_ptr 0
		.amdhsa_user_sgpr_queue_ptr 0
		.amdhsa_user_sgpr_kernarg_segment_ptr 1
		.amdhsa_user_sgpr_dispatch_id 0
		.amdhsa_user_sgpr_kernarg_preload_length 0
		.amdhsa_user_sgpr_kernarg_preload_offset 0
		.amdhsa_user_sgpr_private_segment_size 0
		.amdhsa_uses_dynamic_stack 0
		.amdhsa_enable_private_segment 0
		.amdhsa_system_sgpr_workgroup_id_x 1
		.amdhsa_system_sgpr_workgroup_id_y 1
		.amdhsa_system_sgpr_workgroup_id_z 1
		.amdhsa_system_sgpr_workgroup_info 0
		.amdhsa_system_vgpr_workitem_id 1
		.amdhsa_next_free_vgpr 107
		.amdhsa_next_free_sgpr 100
		.amdhsa_accum_offset 108
		.amdhsa_reserve_vcc 1
		.amdhsa_float_round_mode_32 0
		.amdhsa_float_round_mode_16_64 0
		.amdhsa_float_denorm_mode_32 3
		.amdhsa_float_denorm_mode_16_64 3
		.amdhsa_dx10_clamp 1
		.amdhsa_ieee_mode 1
		.amdhsa_fp16_overflow 0
		.amdhsa_tg_split 0
		.amdhsa_exception_fp_ieee_invalid_op 0
		.amdhsa_exception_fp_denorm_src 0
		.amdhsa_exception_fp_ieee_div_zero 0
		.amdhsa_exception_fp_ieee_overflow 0
		.amdhsa_exception_fp_ieee_underflow 0
		.amdhsa_exception_fp_ieee_inexact 0
		.amdhsa_exception_int_div_zero 0
	.end_amdhsa_kernel
	.section	.text._ZL13mul_mat_f_idsIfLi64ELi13ELi7EEvPKT_PKfPKiS6_S6_Pfiiiiiiiiiiiiii15HIP_vector_typeIjLj3EES9_,"axG",@progbits,_ZL13mul_mat_f_idsIfLi64ELi13ELi7EEvPKT_PKfPKiS6_S6_Pfiiiiiiiiiiiiii15HIP_vector_typeIjLj3EES9_,comdat
.Lfunc_end93:
	.size	_ZL13mul_mat_f_idsIfLi64ELi13ELi7EEvPKT_PKfPKiS6_S6_Pfiiiiiiiiiiiiii15HIP_vector_typeIjLj3EES9_, .Lfunc_end93-_ZL13mul_mat_f_idsIfLi64ELi13ELi7EEvPKT_PKfPKiS6_S6_Pfiiiiiiiiiiiiii15HIP_vector_typeIjLj3EES9_
                                        ; -- End function
	.set _ZL13mul_mat_f_idsIfLi64ELi13ELi7EEvPKT_PKfPKiS6_S6_Pfiiiiiiiiiiiiii15HIP_vector_typeIjLj3EES9_.num_vgpr, 107
	.set _ZL13mul_mat_f_idsIfLi64ELi13ELi7EEvPKT_PKfPKiS6_S6_Pfiiiiiiiiiiiiii15HIP_vector_typeIjLj3EES9_.num_agpr, 0
	.set _ZL13mul_mat_f_idsIfLi64ELi13ELi7EEvPKT_PKfPKiS6_S6_Pfiiiiiiiiiiiiii15HIP_vector_typeIjLj3EES9_.numbered_sgpr, 100
	.set _ZL13mul_mat_f_idsIfLi64ELi13ELi7EEvPKT_PKfPKiS6_S6_Pfiiiiiiiiiiiiii15HIP_vector_typeIjLj3EES9_.num_named_barrier, 0
	.set _ZL13mul_mat_f_idsIfLi64ELi13ELi7EEvPKT_PKfPKiS6_S6_Pfiiiiiiiiiiiiii15HIP_vector_typeIjLj3EES9_.private_seg_size, 0
	.set _ZL13mul_mat_f_idsIfLi64ELi13ELi7EEvPKT_PKfPKiS6_S6_Pfiiiiiiiiiiiiii15HIP_vector_typeIjLj3EES9_.uses_vcc, 1
	.set _ZL13mul_mat_f_idsIfLi64ELi13ELi7EEvPKT_PKfPKiS6_S6_Pfiiiiiiiiiiiiii15HIP_vector_typeIjLj3EES9_.uses_flat_scratch, 0
	.set _ZL13mul_mat_f_idsIfLi64ELi13ELi7EEvPKT_PKfPKiS6_S6_Pfiiiiiiiiiiiiii15HIP_vector_typeIjLj3EES9_.has_dyn_sized_stack, 0
	.set _ZL13mul_mat_f_idsIfLi64ELi13ELi7EEvPKT_PKfPKiS6_S6_Pfiiiiiiiiiiiiii15HIP_vector_typeIjLj3EES9_.has_recursion, 0
	.set _ZL13mul_mat_f_idsIfLi64ELi13ELi7EEvPKT_PKfPKiS6_S6_Pfiiiiiiiiiiiiii15HIP_vector_typeIjLj3EES9_.has_indirect_call, 0
	.section	.AMDGPU.csdata,"",@progbits
; Kernel info:
; codeLenInByte = 6436
; TotalNumSgprs: 106
; NumVgprs: 107
; NumAgprs: 0
; TotalNumVgprs: 107
; ScratchSize: 0
; MemoryBound: 0
; FloatMode: 240
; IeeeMode: 1
; LDSByteSize: 0 bytes/workgroup (compile time only)
; SGPRBlocks: 13
; VGPRBlocks: 13
; NumSGPRsForWavesPerEU: 106
; NumVGPRsForWavesPerEU: 107
; AccumOffset: 108
; Occupancy: 4
; WaveLimiterHint : 1
; COMPUTE_PGM_RSRC2:SCRATCH_EN: 0
; COMPUTE_PGM_RSRC2:USER_SGPR: 2
; COMPUTE_PGM_RSRC2:TRAP_HANDLER: 0
; COMPUTE_PGM_RSRC2:TGID_X_EN: 1
; COMPUTE_PGM_RSRC2:TGID_Y_EN: 1
; COMPUTE_PGM_RSRC2:TGID_Z_EN: 1
; COMPUTE_PGM_RSRC2:TIDIG_COMP_CNT: 1
; COMPUTE_PGM_RSRC3_GFX90A:ACCUM_OFFSET: 26
; COMPUTE_PGM_RSRC3_GFX90A:TG_SPLIT: 0
	.section	.text._ZL9mul_mat_fIfLi64ELi13ELi7ELb1EEvPKT_PKfPKiPfiiiiiiiiiiiiiiii,"axG",@progbits,_ZL9mul_mat_fIfLi64ELi13ELi7ELb1EEvPKT_PKfPKiPfiiiiiiiiiiiiiiii,comdat
	.globl	_ZL9mul_mat_fIfLi64ELi13ELi7ELb1EEvPKT_PKfPKiPfiiiiiiiiiiiiiiii ; -- Begin function _ZL9mul_mat_fIfLi64ELi13ELi7ELb1EEvPKT_PKfPKiPfiiiiiiiiiiiiiiii
	.p2align	8
	.type	_ZL9mul_mat_fIfLi64ELi13ELi7ELb1EEvPKT_PKfPKiPfiiiiiiiiiiiiiiii,@function
_ZL9mul_mat_fIfLi64ELi13ELi7ELb1EEvPKT_PKfPKiPfiiiiiiiiiiiiiiii: ; @_ZL9mul_mat_fIfLi64ELi13ELi7ELb1EEvPKT_PKfPKiPfiiiiiiiiiiiiiiii
; %bb.0:
	s_load_dwordx8 s[36:43], s[0:1], 0x20
	s_mov_b32 s22, s4
	s_load_dwordx2 s[8:9], s[0:1], 0x10
	v_and_b32_e32 v16, 0x3ff, v0
	v_bfe_u32 v17, v0, 10, 10
	s_waitcnt lgkmcnt(0)
	s_add_i32 s4, s37, 12
	s_mul_hi_i32 s4, s4, 0x4ec4ec4f
	s_lshr_b32 s5, s4, 31
	s_ashr_i32 s4, s4, 2
	s_add_i32 s4, s4, s5
	v_cvt_f32_u32_e32 v1, s4
	s_load_dwordx4 s[44:47], s[0:1], 0x44
	s_load_dword s5, s[0:1], 0x64
	s_add_u32 s12, s0, 0x60
	s_addc_u32 s13, s1, 0
	v_rcp_iflag_f32_e32 v1, v1
	s_sub_i32 s6, 0, s4
	v_mul_f32_e32 v1, 0x4f7ffffe, v1
	v_cvt_u32_f32_e32 v1, v1
	v_mul_lo_u32 v2, s6, v1
	v_mul_hi_u32 v2, v1, v2
	v_add_u32_e32 v1, v1, v2
	s_waitcnt lgkmcnt(0)
	v_mul_hi_u32 v1, s5, v1
	v_mul_lo_u32 v2, v1, s4
	v_sub_u32_e32 v2, s5, v2
	v_add_u32_e32 v3, 1, v1
	v_subrev_u32_e32 v4, s4, v2
	v_cmp_le_u32_e32 vcc, s4, v2
	s_nop 1
	v_cndmask_b32_e32 v1, v1, v3, vcc
	v_cndmask_b32_e32 v2, v2, v4, vcc
	v_add_u32_e32 v3, 1, v1
	v_cmp_le_u32_e32 vcc, s4, v2
	s_abs_i32 s4, s47
	s_sub_i32 s5, 0, s4
	v_cndmask_b32_e32 v1, v1, v3, vcc
	v_cvt_f32_u32_e32 v2, v1
	v_cvt_f32_u32_e32 v3, s4
	v_cmp_eq_u32_e32 vcc, 0, v16
	v_rcp_iflag_f32_e32 v2, v2
	v_rcp_iflag_f32_e32 v3, v3
	v_mul_f32_e32 v2, 0x4f7ffffe, v2
	v_cvt_u32_f32_e32 v2, v2
	v_mul_f32_e32 v3, 0x4f7ffffe, v3
	v_cvt_u32_f32_e32 v8, v3
	v_sub_u32_e32 v3, 0, v1
	v_mul_lo_u32 v3, v3, v2
	v_mul_hi_u32 v3, v2, v3
	v_add_u32_e32 v2, v2, v3
	v_mul_hi_u32 v2, s3, v2
	s_and_saveexec_b64 s[6:7], vcc
; %bb.1:
	v_mov_b32_e32 v3, 0x100
	v_lshl_add_u32 v3, v17, 2, v3
	v_mov_b32_e32 v4, -1
	ds_write_b32 v3, v4
; %bb.2:
	s_or_b64 exec, exec, s[6:7]
	v_mul_lo_u32 v3, v2, v1
	v_sub_u32_e32 v3, s3, v3
	v_add_u32_e32 v4, 1, v2
	v_sub_u32_e32 v5, v3, v1
	v_cmp_ge_u32_e64 s[6:7], v3, v1
	v_mul_lo_u32 v9, s5, v8
	s_nop 0
	v_cndmask_b32_e64 v2, v2, v4, s[6:7]
	v_cndmask_b32_e64 v3, v3, v5, s[6:7]
	v_add_u32_e32 v4, 1, v2
	v_cmp_ge_u32_e64 s[6:7], v3, v1
	s_nop 1
	v_cndmask_b32_e64 v2, v2, v4, s[6:7]
	v_mul_lo_u32 v90, v2, 13
	v_mul_lo_u32 v1, v2, v1
	v_mul_hi_i32 v3, v90, s43
	v_mul_lo_u32 v2, v90, s43
	v_sub_u32_e32 v18, s3, v1
	v_lshlrev_b64 v[2:3], 2, v[2:3]
	v_add_u32_e32 v1, v17, v90
	v_lshl_add_u64 v[2:3], s[8:9], 0, v[2:3]
	v_cmp_gt_i32_e64 s[6:7], s38, v16
	v_cmp_gt_i32_e64 s[24:25], s37, v1
	v_mov_b32_e32 v1, 0
	s_and_saveexec_b64 s[14:15], s[24:25]
	s_cbranch_execz .LBB94_10
; %bb.3:
	v_mov_b32_e32 v1, 0
	s_and_saveexec_b64 s[16:17], s[6:7]
	s_cbranch_execz .LBB94_9
; %bb.4:
	v_mul_lo_u32 v4, v17, s43
	v_ashrrev_i32_e32 v5, 31, v4
	v_mov_b32_e32 v1, 0x100
	v_lshl_add_u64 v[4:5], v[4:5], 2, v[2:3]
	v_lshl_add_u32 v10, v17, 2, v1
	v_mul_lo_u32 v6, v16, s42
	s_lshl_b32 s3, s42, 6
	v_mov_b32_e32 v1, 0
	s_mov_b64 s[18:19], 0
	v_mov_b32_e32 v11, v16
	s_branch .LBB94_6
.LBB94_5:                               ;   in Loop: Header=BB94_6 Depth=1
	s_or_b64 exec, exec, s[20:21]
	v_add_u32_e32 v11, 64, v11
	v_cmp_le_i32_e64 s[10:11], s38, v11
	s_xor_b64 s[8:9], s[8:9], -1
	s_or_b64 s[8:9], s[8:9], s[10:11]
	s_and_b64 s[8:9], exec, s[8:9]
	s_or_b64 s[18:19], s[8:9], s[18:19]
	v_add_u32_e32 v6, s3, v6
	s_andn2_b64 exec, exec, s[18:19]
	s_cbranch_execz .LBB94_8
.LBB94_6:                               ; =>This Inner Loop Header: Depth=1
	v_ashrrev_i32_e32 v7, 31, v6
	v_lshl_add_u64 v[12:13], v[6:7], 2, v[4:5]
	global_load_dword v7, v[12:13], off
	s_waitcnt vmcnt(0)
	v_cmp_ne_u32_e64 s[8:9], v7, v18
	v_cmp_eq_u32_e64 s[10:11], v7, v18
	s_and_saveexec_b64 s[20:21], s[10:11]
	s_cbranch_execz .LBB94_5
; %bb.7:                                ;   in Loop: Header=BB94_6 Depth=1
	v_mov_b32_e32 v1, 1
	ds_write_b32 v10, v11
	s_branch .LBB94_5
.LBB94_8:
	s_or_b64 exec, exec, s[18:19]
.LBB94_9:
	s_or_b64 exec, exec, s[16:17]
.LBB94_10:
	s_or_b64 exec, exec, s[14:15]
	v_mul_hi_u32 v4, v8, v9
	s_and_saveexec_b64 s[8:9], vcc
; %bb.11:
	v_mov_b32_e32 v5, 0x100
	v_lshl_add_u32 v5, v17, 2, v5
	v_mov_b32_e32 v6, -1
	ds_write_b32 v5, v6 offset:28
; %bb.12:
	s_or_b64 exec, exec, s[8:9]
	s_load_dwordx4 s[28:31], s[0:1], 0x54
	v_add_u32_e32 v91, 7, v17
	s_abs_i32 s3, s22
	v_add_u32_e32 v6, v8, v4
	v_add_u32_e32 v4, v91, v90
	v_cmp_gt_i32_e64 s[10:11], s37, v4
	s_mov_b64 s[8:9], exec
                                        ; implicit-def: $vgpr111 : SGPR spill to VGPR lane
	s_nop 0
	v_writelane_b32 v111, s10, 0
	s_nop 1
	v_writelane_b32 v111, s11, 1
	s_and_b64 s[10:11], s[8:9], s[10:11]
	s_mov_b64 exec, s[10:11]
	s_cbranch_execz .LBB94_20
; %bb.13:
	s_and_saveexec_b64 s[10:11], s[6:7]
	s_cbranch_execz .LBB94_19
; %bb.14:
	v_mul_lo_u32 v4, v91, s43
	v_ashrrev_i32_e32 v5, 31, v4
	v_lshl_add_u64 v[2:3], v[4:5], 2, v[2:3]
	v_mov_b32_e32 v4, 0x100
	v_lshl_add_u32 v7, v17, 2, v4
	v_mul_lo_u32 v4, v16, s42
	s_lshl_b32 s5, s42, 6
	s_mov_b64 s[14:15], 0
	v_mov_b32_e32 v8, v16
	s_branch .LBB94_16
.LBB94_15:                              ;   in Loop: Header=BB94_16 Depth=1
	s_or_b64 exec, exec, s[16:17]
	v_add_u32_e32 v8, 64, v8
	v_cmp_le_i32_e64 s[6:7], s38, v8
	s_xor_b64 s[16:17], vcc, -1
	s_or_b64 s[6:7], s[16:17], s[6:7]
	s_and_b64 s[6:7], exec, s[6:7]
	s_or_b64 s[14:15], s[6:7], s[14:15]
	v_add_u32_e32 v4, s5, v4
	s_andn2_b64 exec, exec, s[14:15]
	s_cbranch_execz .LBB94_18
.LBB94_16:                              ; =>This Inner Loop Header: Depth=1
	v_ashrrev_i32_e32 v5, 31, v4
	v_lshl_add_u64 v[10:11], v[4:5], 2, v[2:3]
	global_load_dword v5, v[10:11], off
	s_waitcnt vmcnt(0)
	v_cmp_ne_u32_e32 vcc, v5, v18
	v_cmp_eq_u32_e64 s[6:7], v5, v18
	s_and_saveexec_b64 s[16:17], s[6:7]
	s_cbranch_execz .LBB94_15
; %bb.17:                               ;   in Loop: Header=BB94_16 Depth=1
	v_mov_b32_e32 v1, 1
	ds_write_b32 v7, v8 offset:28
	s_branch .LBB94_15
.LBB94_18:
	s_or_b64 exec, exec, s[14:15]
.LBB94_19:
	s_or_b64 exec, exec, s[10:11]
.LBB94_20:
	s_or_b64 exec, exec, s[8:9]
	s_load_dwordx2 s[6:7], s[12:13], 0xc
	s_load_dwordx2 s[8:9], s[0:1], 0x8
	;; [unrolled: 1-line block ×3, first 2 shown]
	v_or_b32_dpp v1, v1, v1 row_shl:1 row_mask:0xf bank_mask:0xf bound_ctrl:1
	v_mul_hi_u32 v19, s3, v6
	s_waitcnt lgkmcnt(0)
	s_and_b32 s5, s7, 0xffff
	s_lshr_b32 s7, s6, 16
	v_writelane_b32 v111, s10, 2
	s_and_b32 s6, s6, 0xffff
	v_or_b32_dpp v1, v1, v1 row_shl:2 row_mask:0xf bank_mask:0xf bound_ctrl:1
	v_writelane_b32 v111, s11, 3
	s_mul_i32 s10, s7, s6
	v_or_b32_dpp v1, v1, v1 row_shl:4 row_mask:0xf bank_mask:0xf bound_ctrl:1
	s_bfe_i32 s10, s10, 0x180000
	s_mul_i32 s5, s10, s5
	v_or_b32_dpp v1, v1, v1 row_shl:8 row_mask:0xf bank_mask:0xf bound_ctrl:1
	s_add_i32 s10, s5, 63
	s_bitcmp1_b32 exec_hi, 0
	v_mov_b32_dpp v2, v1 wave_shl:1 row_mask:0xf bank_mask:0xf bound_ctrl:1
                                        ; kill: killed $sgpr12 killed $sgpr13
	s_nop 1
	v_or_b32_dpp v1, v2, v1 row_mirror row_mask:0xf bank_mask:0xf bound_ctrl:1
	s_nop 0
	v_readlane_b32 s5, v1, 32
	s_cselect_b32 s5, s5, 0
	v_readlane_b32 s11, v1, 0
	s_or_b32 s5, s5, s11
	s_andn2_b32 s10, s10, 63
	s_cmp_lg_u32 s10, 64
	v_mov_b32_e32 v1, s5
	s_cbranch_scc0 .LBB94_27
; %bb.21:
	v_bfe_u32 v0, v0, 20, 10
	v_mbcnt_lo_u32_b32 v1, -1, 0
	v_mad_u32_u24 v0, v0, s7, v17
	v_mbcnt_hi_u32_b32 v2, -1, v1
	v_mad_u64_u32 v[0:1], s[6:7], v0, s6, v[16:17]
	v_lshrrev_b32_e32 v1, 6, v0
	v_or_b32_e32 v1, v2, v1
	v_cmp_eq_u32_e32 vcc, 0, v1
	s_and_saveexec_b64 s[6:7], vcc
; %bb.22:
	v_mov_b32_e32 v1, 0
	v_mov_b32_e32 v3, s5
	ds_write_b32 v1, v3
; %bb.23:
	s_or_b64 exec, exec, s[6:7]
	v_cmp_eq_u32_e32 vcc, 0, v2
	v_cmp_lt_u32_e64 s[6:7], 63, v0
	s_and_b64 s[10:11], s[6:7], vcc
	s_waitcnt lgkmcnt(0)
	s_barrier
	s_and_saveexec_b64 s[6:7], s[10:11]
	s_cbranch_execz .LBB94_26
; %bb.24:
	v_mbcnt_lo_u32_b32 v0, exec_lo, 0
	v_mbcnt_hi_u32_b32 v0, exec_hi, v0
	v_cmp_eq_u32_e32 vcc, 0, v0
	s_and_b64 exec, exec, vcc
; %bb.25:
	v_mov_b32_e32 v0, 0
	v_mov_b32_e32 v1, s5
	ds_or_b32 v0, v1
.LBB94_26:
	s_or_b64 exec, exec, s[6:7]
	v_mov_b32_e32 v0, 0
	s_waitcnt lgkmcnt(0)
	s_barrier
	ds_read_b32 v1, v0
	s_waitcnt lgkmcnt(0)
	s_barrier
.LBB94_27:
	s_load_dwordx2 s[0:1], s[0:1], 0x0
	v_cmp_ne_u32_e32 vcc, 0, v1
	s_ashr_i32 s5, s22, 31
	s_ashr_i32 s10, s47, 31
	s_cbranch_vccz .LBB94_93
; %bb.28:
	v_lshlrev_b32_e32 v92, 6, v17
	v_add_u32_e32 v94, v92, v16
	v_cmp_le_i32_e32 vcc, s36, v94
	v_and_b32_e32 v93, 15, v16
	s_and_saveexec_b64 s[6:7], vcc
	s_xor_b64 s[6:7], exec, s[6:7]
; %bb.29:
	v_and_b32_e32 v93, 15, v16
                                        ; implicit-def: $vgpr94
                                        ; implicit-def: $vgpr19
                                        ; implicit-def: $vgpr18
; %bb.30:
	s_or_saveexec_b64 s[12:13], s[6:7]
	v_mov_b32_e32 v11, 0
	s_lshl_b32 s6, s2, 6
	v_mov_b32_e32 v10, v11
	v_mov_b32_e32 v9, v11
	;; [unrolled: 1-line block ×15, first 2 shown]
	v_writelane_b32 v111, s12, 4
	s_nop 1
	v_writelane_b32 v111, s13, 5
	s_xor_b64 exec, exec, s[12:13]
	s_cbranch_execz .LBB94_86
; %bb.31:
	v_mul_lo_u32 v0, v19, s4
	v_sub_u32_e32 v0, s3, v0
	v_add_u32_e32 v1, 1, v19
	v_subrev_u32_e32 v2, s4, v0
	v_cmp_le_u32_e32 vcc, s4, v0
	s_xor_b32 s2, s5, s10
	v_writelane_b32 v111, s24, 6
	v_cndmask_b32_e32 v1, v19, v1, vcc
	v_cndmask_b32_e32 v0, v0, v2, vcc
	v_add_u32_e32 v2, 1, v1
	v_cmp_le_u32_e32 vcc, s4, v0
	v_writelane_b32 v111, s25, 7
	v_writelane_b32 v111, s6, 8
	v_cndmask_b32_e32 v0, v1, v2, vcc
	v_xor_b32_e32 v0, s2, v0
	v_subrev_u32_e32 v0, s2, v0
	v_mul_hi_i32 v1, v0, s28
	v_mul_lo_u32 v0, v0, s28
	v_mul_lo_u32 v2, v18, s44
	v_ashrrev_i32_e32 v3, 31, v2
	s_mul_i32 s2, s39, s6
	v_lshlrev_b64 v[0:1], 2, v[0:1]
	s_movk_i32 s4, 0x1080
	v_mov_b32_e32 v95, 0x100
	v_writelane_b32 v111, s22, 9
	s_waitcnt lgkmcnt(0)
	v_lshl_add_u64 v[4:5], s[0:1], 0, v[0:1]
	v_lshlrev_b64 v[2:3], 2, v[2:3]
	s_ashr_i32 s3, s2, 31
	v_mad_u32_u24 v6, v17, s4, v95
	s_mul_hi_i32 s5, s29, s22
	v_writelane_b32 v111, s28, 10
	s_mul_i32 s4, s29, s22
	v_lshl_add_u64 v[4:5], v[4:5], 0, v[2:3]
	s_lshl_b64 s[2:3], s[2:3], 2
	s_lshl_b64 s[4:5], s[4:5], 2
	v_lshl_add_u64 v[18:19], v[4:5], 0, s[2:3]
	v_writelane_b32 v111, s29, 11
	v_mul_hi_i32 v5, v90, s40
	v_mul_lo_u32 v4, v90, s40
	s_add_u32 s4, s8, s4
	v_writelane_b32 v111, s30, 12
	s_addc_u32 s5, s9, s5
	v_lshlrev_b64 v[4:5], 2, v[4:5]
	v_lshl_add_u64 v[0:1], v[0:1], 0, s[2:3]
	v_writelane_b32 v111, s31, 13
	v_lshl_add_u64 v[20:21], s[4:5], 0, v[4:5]
	v_lshrrev_b32_e32 v5, 1, v16
	s_lshl_b32 s4, s40, 1
	v_lshl_add_u64 v[0:1], v[0:1], 0, v[2:3]
	v_mul_u32_u24_e32 v4, 0x108, v93
	v_and_b32_e32 v5, 0x1f8, v5
	v_add_u32_e32 v26, 1, v90
	v_add_u32_e32 v27, 2, v90
	v_writelane_b32 v111, s4, 14
	v_add_u32_e32 v28, 3, v90
	v_add_u32_e32 v29, 4, v90
	s_lshl_b32 s4, s40, 2
	v_add_u32_e32 v30, 5, v90
	v_add_u32_e32 v31, 6, v90
	;; [unrolled: 1-line block ×8, first 2 shown]
	s_ashr_i32 s7, s39, 31
	s_mov_b32 s6, s39
	v_lshl_add_u64 v[0:1], s[0:1], 0, v[0:1]
	v_lshlrev_b32_e32 v22, 2, v94
	v_mov_b32_e32 v23, 0
	v_lshl_add_u32 v96, v16, 2, v6
	v_add3_u32 v97, v6, v4, v5
	v_writelane_b32 v111, s4, 15
	s_lshl_b32 s4, s40, 3
	s_add_i32 s48, s39, s39
	s_mul_i32 s49, s39, 3
	s_lshl_b32 s51, s39, 2
	s_mul_i32 s54, s39, 5
	s_mul_i32 s55, s39, 6
	s_mul_i32 s56, s39, 7
	s_lshl_b32 s57, s39, 3
	s_mul_i32 s58, s39, 9
	s_mul_i32 s59, s39, 10
	;; [unrolled: 1-line block ×7, first 2 shown]
	s_lshl_b32 s65, s39, 4
	s_mul_i32 s66, s39, 17
	s_mul_i32 s67, s39, 18
	;; [unrolled: 1-line block ×15, first 2 shown]
	s_lshl_b32 s81, s39, 5
	s_mul_i32 s82, s39, 33
	s_mul_i32 s83, s39, 34
	;; [unrolled: 1-line block ×12, first 2 shown]
	v_cmp_gt_i32_e64 s[0:1], s37, v90
	s_mul_i32 s94, s39, 45
	s_mul_i32 s95, s39, 46
	s_lshl_b64 s[2:3], s[6:7], 2
	v_lshl_add_u64 v[24:25], v[0:1], 0, v[22:23]
	v_mov_b32_e32 v12, 0
	v_mov_b32_e32 v13, v23
	;; [unrolled: 1-line block ×16, first 2 shown]
	s_mul_i32 s96, s39, 47
	s_mul_i32 s97, s39, 48
	s_mul_i32 s98, s39, 49
	s_mul_i32 s99, s39, 50
	s_mul_i32 s5, s39, 51
	s_mul_i32 s52, s39, 52
	s_mul_i32 s53, s39, 53
	s_mul_i32 s34, s39, 54
	s_mul_i32 s35, s39, 55
	s_mul_i32 s42, s39, 56
	s_mul_i32 s43, s39, 57
	s_mul_i32 s30, s39, 58
	s_mul_i32 s31, s39, 59
	s_mul_i32 s50, s39, 60
	s_mul_i32 s33, s39, 61
	s_mul_i32 s44, s39, 62
	s_mul_i32 s47, s39, 63
	v_cmp_gt_i32_e64 s[6:7], s37, v26
	v_cmp_gt_i32_e64 s[8:9], s37, v27
	v_cmp_gt_i32_e64 s[10:11], s37, v28
	v_cmp_gt_i32_e64 s[12:13], s37, v29
	v_cmp_gt_i32_e64 s[14:15], s37, v30
	v_cmp_gt_i32_e64 s[16:17], s37, v31
	v_cmp_gt_i32_e64 s[18:19], s37, v32
	v_cmp_gt_i32_e64 s[20:21], s37, v33
	v_cmp_gt_i32_e64 s[22:23], s37, v34
	v_cmp_gt_i32_e64 s[24:25], s37, v35
	v_cmp_gt_i32_e64 s[26:27], s37, v36
	v_cmp_gt_i32_e64 s[28:29], s37, v37
	s_mov_b64 s[38:39], 0
	s_branch .LBB94_34
.LBB94_32:                              ;   in Loop: Header=BB94_34 Depth=1
	v_mul_lo_u32 v22, v22, s45
	s_mul_i32 s37, s40, 12
	v_add_u32_e32 v22, s37, v22
	v_add_u32_e32 v98, v22, v94
	v_ashrrev_i32_e32 v99, 31, v98
	v_lshl_add_u64 v[98:99], v[98:99], 2, v[20:21]
	global_load_dword v22, v[98:99], off
.LBB94_33:                              ;   in Loop: Header=BB94_34 Depth=1
	v_add_u32_e32 v98, 0xc00, v96
	s_waitcnt vmcnt(0)
	ds_write2_b32 v98, v22, v23 offset0:40 offset1:106
	ds_write2_b32 v98, v23, v23 offset0:172 offset1:238
	ds_read2_b64 v[98:101], v97 offset0:8 offset1:12
	v_add_u32_e32 v94, 0x1c0, v94
	s_mov_b64 vcc, 0x700
	v_lshl_add_u64 v[24:25], v[24:25], 0, vcc
	v_cmp_le_i32_e32 vcc, s36, v94
	s_waitcnt lgkmcnt(0)
	v_mfma_f32_16x16x4_f32 v[8:11], v56, v98, v[8:11]
	s_or_b64 s[38:39], vcc, s[38:39]
	v_mfma_f32_16x16x4_f32 v[4:7], v68, v98, v[4:7]
	v_mfma_f32_16x16x4_f32 v[0:3], v82, v98, v[0:3]
	;; [unrolled: 1-line block ×15, first 2 shown]
	ds_read2_b64 v[86:89], v97 offset0:16 offset1:20
	s_waitcnt lgkmcnt(0)
	v_mfma_f32_16x16x4_f32 v[8:11], v42, v86, v[8:11]
	v_mfma_f32_16x16x4_f32 v[4:7], v60, v86, v[4:7]
	;; [unrolled: 1-line block ×14, first 2 shown]
	ds_read2_b64 v[54:57], v97 offset0:24 offset1:28
	v_mfma_f32_16x16x4_f32 v[0:3], v67, v89, v[0:3]
	v_mfma_f32_16x16x4_f32 v[12:15], v81, v89, v[12:15]
	s_waitcnt lgkmcnt(0)
	v_mfma_f32_16x16x4_f32 v[8:11], v34, v54, v[8:11]
	v_mfma_f32_16x16x4_f32 v[4:7], v46, v54, v[4:7]
	;; [unrolled: 1-line block ×14, first 2 shown]
	ds_read2_b64 v[38:41], v97 offset0:32 offset1:36
	v_mfma_f32_16x16x4_f32 v[0:3], v59, v57, v[0:3]
	v_mfma_f32_16x16x4_f32 v[12:15], v75, v57, v[12:15]
	s_waitcnt lgkmcnt(0)
	v_mfma_f32_16x16x4_f32 v[8:11], v28, v38, v[8:11]
	v_mfma_f32_16x16x4_f32 v[4:7], v36, v38, v[4:7]
	;; [unrolled: 1-line block ×16, first 2 shown]
	s_andn2_b64 exec, exec, s[38:39]
	s_cbranch_execz .LBB94_85
.LBB94_34:                              ; =>This Inner Loop Header: Depth=1
	v_lshl_add_u64 v[26:27], v[24:25], 0, s[2:3]
	global_load_dword v22, v[24:25], off
	global_load_dword v52, v[26:27], off
	v_add_u32_e32 v26, s48, v94
	v_ashrrev_i32_e32 v27, 31, v26
	v_add_u32_e32 v28, s49, v94
	v_add_u32_e32 v30, s51, v94
	;; [unrolled: 1-line block ×5, first 2 shown]
	v_lshl_add_u64 v[26:27], v[26:27], 2, v[18:19]
	v_ashrrev_i32_e32 v29, 31, v28
	v_ashrrev_i32_e32 v31, 31, v30
	v_ashrrev_i32_e32 v33, 31, v32
	v_ashrrev_i32_e32 v35, 31, v34
	v_ashrrev_i32_e32 v37, 31, v36
	v_lshl_add_u64 v[28:29], v[28:29], 2, v[18:19]
	v_lshl_add_u64 v[30:31], v[30:31], 2, v[18:19]
	;; [unrolled: 1-line block ×5, first 2 shown]
	global_load_dword v53, v[26:27], off
	global_load_dword v54, v[28:29], off
	;; [unrolled: 1-line block ×6, first 2 shown]
	v_add_u32_e32 v26, s57, v94
	v_add_u32_e32 v44, s66, v94
	;; [unrolled: 1-line block ×10, first 2 shown]
	v_ashrrev_i32_e32 v27, 31, v26
	v_ashrrev_i32_e32 v45, 31, v44
	;; [unrolled: 1-line block ×10, first 2 shown]
	v_lshl_add_u64 v[26:27], v[26:27], 2, v[18:19]
	v_lshl_add_u64 v[44:45], v[44:45], 2, v[18:19]
	v_add_u32_e32 v46, s67, v94
	v_add_u32_e32 v50, s69, v94
	v_lshl_add_u64 v[28:29], v[28:29], 2, v[18:19]
	v_lshl_add_u64 v[30:31], v[30:31], 2, v[18:19]
	;; [unrolled: 1-line block ×8, first 2 shown]
	global_load_dword v59, v[26:27], off
	global_load_dword v60, v[28:29], off
	;; [unrolled: 1-line block ×9, first 2 shown]
	s_nop 0
	global_load_dword v44, v[44:45], off
	v_add_u32_e32 v26, s70, v94
	v_add_u32_e32 v48, s68, v94
	v_ashrrev_i32_e32 v47, 31, v46
	v_ashrrev_i32_e32 v51, 31, v50
	;; [unrolled: 1-line block ×3, first 2 shown]
	v_add_u32_e32 v28, s71, v94
	v_add_u32_e32 v30, s72, v94
	;; [unrolled: 1-line block ×4, first 2 shown]
	v_ashrrev_i32_e32 v49, 31, v48
	v_lshl_add_u64 v[46:47], v[46:47], 2, v[18:19]
	v_lshl_add_u64 v[50:51], v[50:51], 2, v[18:19]
	;; [unrolled: 1-line block ×3, first 2 shown]
	v_ashrrev_i32_e32 v29, 31, v28
	v_ashrrev_i32_e32 v31, 31, v30
	;; [unrolled: 1-line block ×4, first 2 shown]
	v_lshl_add_u64 v[48:49], v[48:49], 2, v[18:19]
	v_lshl_add_u64 v[28:29], v[28:29], 2, v[18:19]
	;; [unrolled: 1-line block ×5, first 2 shown]
	v_add_u32_e32 v36, s80, v94
	v_add_u32_e32 v38, s81, v94
	;; [unrolled: 1-line block ×3, first 2 shown]
	v_ashrrev_i32_e32 v37, 31, v36
	v_ashrrev_i32_e32 v39, 31, v38
	;; [unrolled: 1-line block ×3, first 2 shown]
	v_lshl_add_u64 v[36:37], v[36:37], 2, v[18:19]
	s_waitcnt vmcnt(17)
	ds_write_b32 v96, v22 offset:64
	s_waitcnt vmcnt(16)
	ds_write_b32 v96, v52 offset:328
	;; [unrolled: 2-line block ×8, first 2 shown]
	global_load_dword v22, v[46:47], off
	global_load_dword v45, v[48:49], off
	s_nop 0
	global_load_dword v46, v[50:51], off
	global_load_dword v47, v[26:27], off
	s_nop 0
	global_load_dword v50, v[28:29], off
	global_load_dword v51, v[30:31], off
	;; [unrolled: 1-line block ×4, first 2 shown]
	v_add_u32_e32 v26, s75, v94
	v_ashrrev_i32_e32 v27, 31, v26
	v_add_u32_e32 v28, s76, v94
	v_add_u32_e32 v30, s77, v94
	;; [unrolled: 1-line block ×4, first 2 shown]
	v_lshl_add_u64 v[26:27], v[26:27], 2, v[18:19]
	v_ashrrev_i32_e32 v29, 31, v28
	v_ashrrev_i32_e32 v31, 31, v30
	;; [unrolled: 1-line block ×4, first 2 shown]
	v_lshl_add_u64 v[28:29], v[28:29], 2, v[18:19]
	v_lshl_add_u64 v[30:31], v[30:31], 2, v[18:19]
	v_lshl_add_u64 v[32:33], v[32:33], 2, v[18:19]
	v_lshl_add_u64 v[34:35], v[34:35], 2, v[18:19]
	v_lshl_add_u64 v[38:39], v[38:39], 2, v[18:19]
	v_lshl_add_u64 v[40:41], v[40:41], 2, v[18:19]
	global_load_dword v54, v[26:27], off
	global_load_dword v55, v[28:29], off
	global_load_dword v58, v[30:31], off
	global_load_dword v68, v[32:33], off
	global_load_dword v69, v[34:35], off
	global_load_dword v70, v[36:37], off
	global_load_dword v71, v[38:39], off
	global_load_dword v72, v[40:41], off
	v_add_u32_e32 v26, s83, v94
	v_ashrrev_i32_e32 v27, 31, v26
	v_add_u32_e32 v28, s84, v94
	v_add_u32_e32 v30, s85, v94
	v_add_u32_e32 v32, s86, v94
	v_add_u32_e32 v34, s87, v94
	v_add_u32_e32 v36, s88, v94
	v_add_u32_e32 v38, s89, v94
	v_add_u32_e32 v40, s90, v94
	v_lshl_add_u64 v[26:27], v[26:27], 2, v[18:19]
	v_ashrrev_i32_e32 v29, 31, v28
	v_ashrrev_i32_e32 v31, 31, v30
	v_ashrrev_i32_e32 v33, 31, v32
	v_ashrrev_i32_e32 v35, 31, v34
	v_ashrrev_i32_e32 v37, 31, v36
	v_ashrrev_i32_e32 v39, 31, v38
	v_ashrrev_i32_e32 v41, 31, v40
	v_lshl_add_u64 v[28:29], v[28:29], 2, v[18:19]
	v_lshl_add_u64 v[30:31], v[30:31], 2, v[18:19]
	v_lshl_add_u64 v[32:33], v[32:33], 2, v[18:19]
	v_lshl_add_u64 v[34:35], v[34:35], 2, v[18:19]
	v_lshl_add_u64 v[36:37], v[36:37], 2, v[18:19]
	v_lshl_add_u64 v[38:39], v[38:39], 2, v[18:19]
	v_lshl_add_u64 v[40:41], v[40:41], 2, v[18:19]
	global_load_dword v73, v[26:27], off
	global_load_dword v74, v[28:29], off
	global_load_dword v75, v[30:31], off
	global_load_dword v76, v[32:33], off
	global_load_dword v77, v[34:35], off
	global_load_dword v78, v[36:37], off
	global_load_dword v79, v[38:39], off
	global_load_dword v80, v[40:41], off
	v_add_u32_e32 v26, s91, v94
	v_ashrrev_i32_e32 v27, 31, v26
	v_add_u32_e32 v28, s92, v94
	v_add_u32_e32 v30, s93, v94
	v_add_u32_e32 v32, s94, v94
	v_add_u32_e32 v34, s95, v94
	v_add_u32_e32 v36, s96, v94
	v_add_u32_e32 v38, s97, v94
	v_add_u32_e32 v40, s98, v94
	v_lshl_add_u64 v[26:27], v[26:27], 2, v[18:19]
	v_ashrrev_i32_e32 v29, 31, v28
	v_ashrrev_i32_e32 v31, 31, v30
	v_ashrrev_i32_e32 v33, 31, v32
	v_ashrrev_i32_e32 v35, 31, v34
	v_ashrrev_i32_e32 v37, 31, v36
	v_ashrrev_i32_e32 v39, 31, v38
	v_ashrrev_i32_e32 v41, 31, v40
	v_lshl_add_u64 v[28:29], v[28:29], 2, v[18:19]
	;; [unrolled: 32-line block ×3, first 2 shown]
	v_lshl_add_u64 v[30:31], v[30:31], 2, v[18:19]
	v_lshl_add_u64 v[32:33], v[32:33], 2, v[18:19]
	;; [unrolled: 1-line block ×6, first 2 shown]
	global_load_dword v89, v[26:27], off
	global_load_dword v98, v[28:29], off
	;; [unrolled: 1-line block ×8, first 2 shown]
	v_add_u32_e32 v26, s30, v94
	v_ashrrev_i32_e32 v27, 31, v26
	v_add_u32_e32 v28, s31, v94
	v_add_u32_e32 v30, s50, v94
	v_add_u32_e32 v32, s33, v94
	v_add_u32_e32 v34, s44, v94
	v_add_u32_e32 v36, s47, v94
	v_lshl_add_u64 v[26:27], v[26:27], 2, v[18:19]
	v_ashrrev_i32_e32 v29, 31, v28
	v_ashrrev_i32_e32 v31, 31, v30
	;; [unrolled: 1-line block ×5, first 2 shown]
	v_lshl_add_u64 v[28:29], v[28:29], 2, v[18:19]
	v_lshl_add_u64 v[30:31], v[30:31], 2, v[18:19]
	;; [unrolled: 1-line block ×5, first 2 shown]
	global_load_dword v105, v[26:27], off
	global_load_dword v106, v[28:29], off
	global_load_dword v107, v[30:31], off
	global_load_dword v108, v[32:33], off
	global_load_dword v109, v[34:35], off
	global_load_dword v110, v[36:37], off
	s_waitcnt vmcnt(55)
	ds_write_b32 v96, v59 offset:2176
	s_waitcnt vmcnt(54)
	ds_write_b32 v96, v60 offset:2440
	s_waitcnt vmcnt(53)
	ds_write_b32 v96, v61 offset:2704
	s_waitcnt vmcnt(52)
	ds_write_b32 v96, v62 offset:2968
	s_waitcnt vmcnt(51)
	ds_write_b32 v96, v63 offset:3232
	s_waitcnt vmcnt(50)
	ds_write_b32 v96, v64 offset:3496
	s_waitcnt vmcnt(49)
	ds_write_b32 v96, v65 offset:3760
	s_waitcnt vmcnt(48)
	ds_write_b32 v96, v66 offset:4024
	ds_read_b64 v[56:57], v97 offset:64
	ds_read_b64 v[48:49], v97 offset:96
	ds_read_b64 v[42:43], v97 offset:128
	ds_read_b64 v[38:39], v97 offset:160
	ds_read_b64 v[34:35], v97 offset:192
	ds_read_b64 v[30:31], v97 offset:224
	ds_read_b64 v[28:29], v97 offset:256
	ds_read_b64 v[26:27], v97 offset:288
	s_waitcnt vmcnt(47)
	ds_write_b32 v96, v67 offset:64
	s_waitcnt vmcnt(46)
	ds_write_b32 v96, v44 offset:328
	s_waitcnt vmcnt(45)
	ds_write_b32 v96, v22 offset:592
	s_waitcnt vmcnt(44)
	ds_write_b32 v96, v45 offset:856
	s_waitcnt vmcnt(43)
	ds_write_b32 v96, v46 offset:1120
	s_waitcnt vmcnt(42)
	ds_write_b32 v96, v47 offset:1384
	s_waitcnt vmcnt(41)
	ds_write_b32 v96, v50 offset:1648
	s_waitcnt vmcnt(40)
	ds_write_b32 v96, v51 offset:1912
	s_waitcnt vmcnt(39)
	ds_write_b32 v96, v52 offset:2176
	s_waitcnt vmcnt(38)
	ds_write_b32 v96, v53 offset:2440
	s_waitcnt vmcnt(37)
	ds_write_b32 v96, v54 offset:2704
	s_waitcnt vmcnt(36)
	ds_write_b32 v96, v55 offset:2968
	s_waitcnt vmcnt(35)
	ds_write_b32 v96, v58 offset:3232
	s_waitcnt vmcnt(34)
	ds_write_b32 v96, v68 offset:3496
	s_waitcnt vmcnt(33)
	ds_write_b32 v96, v69 offset:3760
	s_waitcnt vmcnt(32)
	ds_write_b32 v96, v70 offset:4024
	ds_read_b64 v[68:69], v97 offset:64
	ds_read_b64 v[64:65], v97 offset:96
	ds_read_b64 v[60:61], v97 offset:128
	ds_read_b64 v[54:55], v97 offset:160
	ds_read_b64 v[46:47], v97 offset:192
	ds_read_b64 v[40:41], v97 offset:224
	ds_read_b64 v[36:37], v97 offset:256
	ds_read_b64 v[32:33], v97 offset:288
	s_waitcnt vmcnt(31)
	ds_write_b32 v96, v71 offset:64
	s_waitcnt vmcnt(30)
	ds_write_b32 v96, v72 offset:328
	s_waitcnt vmcnt(29)
	ds_write_b32 v96, v73 offset:592
	s_waitcnt vmcnt(28)
	ds_write_b32 v96, v74 offset:856
	s_waitcnt vmcnt(27)
	ds_write_b32 v96, v75 offset:1120
	s_waitcnt vmcnt(26)
	ds_write_b32 v96, v76 offset:1384
	s_waitcnt vmcnt(25)
	ds_write_b32 v96, v77 offset:1648
	s_waitcnt vmcnt(24)
	ds_write_b32 v96, v78 offset:1912
	;; [unrolled: 40-line block ×3, first 2 shown]
	s_waitcnt vmcnt(7)
	ds_write_b32 v96, v103 offset:2176
	s_waitcnt vmcnt(6)
	ds_write_b32 v96, v104 offset:2440
	;; [unrolled: 2-line block ×8, first 2 shown]
	ds_read_b64 v[88:89], v97 offset:64
	ds_read_b64 v[86:87], v97 offset:96
	;; [unrolled: 1-line block ×8, first 2 shown]
	s_andn2_b64 vcc, exec, s[0:1]
	v_mov_b32_e32 v22, 0
	s_cbranch_vccnz .LBB94_38
; %bb.35:                               ;   in Loop: Header=BB94_34 Depth=1
	ds_read_b32 v22, v95
	s_waitcnt lgkmcnt(0)
	v_cmp_gt_i32_e32 vcc, 0, v22
	s_cbranch_vccnz .LBB94_37
; %bb.36:                               ;   in Loop: Header=BB94_34 Depth=1
	v_mul_lo_u32 v22, v22, s45
	v_add_u32_e32 v98, v94, v22
	v_ashrrev_i32_e32 v99, 31, v98
	v_lshl_add_u64 v[98:99], v[98:99], 2, v[20:21]
	global_load_dword v22, v[98:99], off
	s_branch .LBB94_38
.LBB94_37:                              ;   in Loop: Header=BB94_34 Depth=1
	v_mov_b32_e32 v22, 0
.LBB94_38:                              ;   in Loop: Header=BB94_34 Depth=1
	s_waitcnt vmcnt(0)
	ds_write_b32 v96, v22 offset:64
	v_mov_b32_e32 v22, 0
	s_andn2_b64 vcc, exec, s[6:7]
	v_mov_b32_e32 v98, 0
	s_cbranch_vccnz .LBB94_41
; %bb.39:                               ;   in Loop: Header=BB94_34 Depth=1
	ds_read_b32 v98, v95 offset:4
	s_waitcnt lgkmcnt(0)
	v_cmp_gt_i32_e32 vcc, 0, v98
	s_cbranch_vccnz .LBB94_44
; %bb.40:                               ;   in Loop: Header=BB94_34 Depth=1
	v_mul_lo_u32 v98, v98, s45
	v_add_u32_e32 v98, s40, v98
	v_add_u32_e32 v98, v98, v94
	v_ashrrev_i32_e32 v99, 31, v98
	v_lshl_add_u64 v[98:99], v[98:99], 2, v[20:21]
	global_load_dword v98, v[98:99], off
.LBB94_41:                              ;   in Loop: Header=BB94_34 Depth=1
	s_andn2_b64 vcc, exec, s[8:9]
	s_waitcnt vmcnt(0)
	ds_write_b32 v96, v98 offset:328
	s_cbranch_vccnz .LBB94_46
.LBB94_42:                              ;   in Loop: Header=BB94_34 Depth=1
	ds_read_b32 v22, v95 offset:8
	s_waitcnt lgkmcnt(0)
	v_cmp_gt_i32_e32 vcc, 0, v22
	s_cbranch_vccnz .LBB94_45
; %bb.43:                               ;   in Loop: Header=BB94_34 Depth=1
	v_mul_lo_u32 v22, v22, s45
	v_readlane_b32 s37, v111, 14
	s_nop 1
	v_add_u32_e32 v22, s37, v22
	v_add_u32_e32 v98, v22, v94
	v_ashrrev_i32_e32 v99, 31, v98
	v_lshl_add_u64 v[98:99], v[98:99], 2, v[20:21]
	global_load_dword v22, v[98:99], off
	s_branch .LBB94_46
.LBB94_44:                              ;   in Loop: Header=BB94_34 Depth=1
	v_mov_b32_e32 v98, 0
	s_andn2_b64 vcc, exec, s[8:9]
	ds_write_b32 v96, v98 offset:328
	s_cbranch_vccz .LBB94_42
	s_branch .LBB94_46
.LBB94_45:                              ;   in Loop: Header=BB94_34 Depth=1
	v_mov_b32_e32 v22, 0
.LBB94_46:                              ;   in Loop: Header=BB94_34 Depth=1
	s_waitcnt vmcnt(0)
	ds_write_b32 v96, v22 offset:592
	v_mov_b32_e32 v22, 0
	s_andn2_b64 vcc, exec, s[10:11]
	v_mov_b32_e32 v98, 0
	s_cbranch_vccnz .LBB94_49
; %bb.47:                               ;   in Loop: Header=BB94_34 Depth=1
	ds_read_b32 v98, v95 offset:12
	s_waitcnt lgkmcnt(0)
	v_cmp_gt_i32_e32 vcc, 0, v98
	s_cbranch_vccnz .LBB94_52
; %bb.48:                               ;   in Loop: Header=BB94_34 Depth=1
	v_mul_lo_u32 v98, v98, s45
	s_mul_i32 s37, s40, 3
	v_add_u32_e32 v98, s37, v98
	v_add_u32_e32 v98, v98, v94
	v_ashrrev_i32_e32 v99, 31, v98
	v_lshl_add_u64 v[98:99], v[98:99], 2, v[20:21]
	global_load_dword v98, v[98:99], off
.LBB94_49:                              ;   in Loop: Header=BB94_34 Depth=1
	s_andn2_b64 vcc, exec, s[12:13]
	s_waitcnt vmcnt(0)
	ds_write_b32 v96, v98 offset:856
	s_cbranch_vccnz .LBB94_54
.LBB94_50:                              ;   in Loop: Header=BB94_34 Depth=1
	ds_read_b32 v22, v95 offset:16
	s_waitcnt lgkmcnt(0)
	v_cmp_gt_i32_e32 vcc, 0, v22
	s_cbranch_vccnz .LBB94_53
; %bb.51:                               ;   in Loop: Header=BB94_34 Depth=1
	v_mul_lo_u32 v22, v22, s45
	v_readlane_b32 s37, v111, 15
	s_nop 1
	v_add_u32_e32 v22, s37, v22
	v_add_u32_e32 v98, v22, v94
	v_ashrrev_i32_e32 v99, 31, v98
	v_lshl_add_u64 v[98:99], v[98:99], 2, v[20:21]
	global_load_dword v22, v[98:99], off
	s_branch .LBB94_54
.LBB94_52:                              ;   in Loop: Header=BB94_34 Depth=1
	v_mov_b32_e32 v98, 0
	s_andn2_b64 vcc, exec, s[12:13]
	ds_write_b32 v96, v98 offset:856
	s_cbranch_vccz .LBB94_50
	s_branch .LBB94_54
.LBB94_53:                              ;   in Loop: Header=BB94_34 Depth=1
	v_mov_b32_e32 v22, 0
.LBB94_54:                              ;   in Loop: Header=BB94_34 Depth=1
	s_waitcnt vmcnt(0)
	ds_write_b32 v96, v22 offset:1120
	v_mov_b32_e32 v22, 0
	s_andn2_b64 vcc, exec, s[14:15]
	v_mov_b32_e32 v98, 0
	s_cbranch_vccnz .LBB94_57
; %bb.55:                               ;   in Loop: Header=BB94_34 Depth=1
	ds_read_b32 v98, v95 offset:20
	s_waitcnt lgkmcnt(0)
	v_cmp_gt_i32_e32 vcc, 0, v98
	s_cbranch_vccnz .LBB94_60
; %bb.56:                               ;   in Loop: Header=BB94_34 Depth=1
	v_mul_lo_u32 v98, v98, s45
	s_mul_i32 s37, s40, 5
	v_add_u32_e32 v98, s37, v98
	v_add_u32_e32 v98, v98, v94
	v_ashrrev_i32_e32 v99, 31, v98
	v_lshl_add_u64 v[98:99], v[98:99], 2, v[20:21]
	global_load_dword v98, v[98:99], off
.LBB94_57:                              ;   in Loop: Header=BB94_34 Depth=1
	s_andn2_b64 vcc, exec, s[16:17]
	s_waitcnt vmcnt(0)
	ds_write_b32 v96, v98 offset:1384
	s_cbranch_vccnz .LBB94_62
.LBB94_58:                              ;   in Loop: Header=BB94_34 Depth=1
	ds_read_b32 v22, v95 offset:24
	s_waitcnt lgkmcnt(0)
	v_cmp_gt_i32_e32 vcc, 0, v22
	s_cbranch_vccnz .LBB94_61
; %bb.59:                               ;   in Loop: Header=BB94_34 Depth=1
	v_mul_lo_u32 v22, v22, s45
	s_mul_i32 s37, s40, 6
	v_add_u32_e32 v22, s37, v22
	v_add_u32_e32 v98, v22, v94
	v_ashrrev_i32_e32 v99, 31, v98
	v_lshl_add_u64 v[98:99], v[98:99], 2, v[20:21]
	global_load_dword v22, v[98:99], off
	s_branch .LBB94_62
.LBB94_60:                              ;   in Loop: Header=BB94_34 Depth=1
	v_mov_b32_e32 v98, 0
	s_andn2_b64 vcc, exec, s[16:17]
	ds_write_b32 v96, v98 offset:1384
	s_cbranch_vccz .LBB94_58
	s_branch .LBB94_62
.LBB94_61:                              ;   in Loop: Header=BB94_34 Depth=1
	v_mov_b32_e32 v22, 0
.LBB94_62:                              ;   in Loop: Header=BB94_34 Depth=1
	s_waitcnt vmcnt(0)
	ds_write_b32 v96, v22 offset:1648
	v_mov_b32_e32 v22, 0
	s_andn2_b64 vcc, exec, s[18:19]
	v_mov_b32_e32 v98, 0
	s_cbranch_vccnz .LBB94_65
; %bb.63:                               ;   in Loop: Header=BB94_34 Depth=1
	ds_read_b32 v98, v95 offset:28
	s_waitcnt lgkmcnt(0)
	v_cmp_gt_i32_e32 vcc, 0, v98
	s_cbranch_vccnz .LBB94_68
; %bb.64:                               ;   in Loop: Header=BB94_34 Depth=1
	v_mul_lo_u32 v98, v98, s45
	s_mul_i32 s37, s40, 7
	v_add_u32_e32 v98, s37, v98
	v_add_u32_e32 v98, v98, v94
	v_ashrrev_i32_e32 v99, 31, v98
	v_lshl_add_u64 v[98:99], v[98:99], 2, v[20:21]
	global_load_dword v98, v[98:99], off
.LBB94_65:                              ;   in Loop: Header=BB94_34 Depth=1
	s_andn2_b64 vcc, exec, s[20:21]
	s_waitcnt vmcnt(0)
	ds_write_b32 v96, v98 offset:1912
	s_cbranch_vccnz .LBB94_70
.LBB94_66:                              ;   in Loop: Header=BB94_34 Depth=1
	ds_read_b32 v22, v95 offset:32
	s_waitcnt lgkmcnt(0)
	v_cmp_gt_i32_e32 vcc, 0, v22
	s_cbranch_vccnz .LBB94_69
; %bb.67:                               ;   in Loop: Header=BB94_34 Depth=1
	v_mul_lo_u32 v22, v22, s45
	v_add_u32_e32 v22, s4, v22
	v_add_u32_e32 v98, v22, v94
	v_ashrrev_i32_e32 v99, 31, v98
	v_lshl_add_u64 v[98:99], v[98:99], 2, v[20:21]
	global_load_dword v22, v[98:99], off
	s_branch .LBB94_70
.LBB94_68:                              ;   in Loop: Header=BB94_34 Depth=1
	v_mov_b32_e32 v98, 0
	s_andn2_b64 vcc, exec, s[20:21]
	ds_write_b32 v96, v98 offset:1912
	s_cbranch_vccz .LBB94_66
	s_branch .LBB94_70
.LBB94_69:                              ;   in Loop: Header=BB94_34 Depth=1
	v_mov_b32_e32 v22, 0
.LBB94_70:                              ;   in Loop: Header=BB94_34 Depth=1
	s_waitcnt vmcnt(0)
	ds_write_b32 v96, v22 offset:2176
	v_mov_b32_e32 v22, 0
	s_andn2_b64 vcc, exec, s[22:23]
	v_mov_b32_e32 v98, 0
	s_cbranch_vccnz .LBB94_73
; %bb.71:                               ;   in Loop: Header=BB94_34 Depth=1
	ds_read_b32 v98, v95 offset:36
	s_waitcnt lgkmcnt(0)
	v_cmp_gt_i32_e32 vcc, 0, v98
	s_cbranch_vccnz .LBB94_76
; %bb.72:                               ;   in Loop: Header=BB94_34 Depth=1
	v_mul_lo_u32 v98, v98, s45
	s_mul_i32 s37, s40, 9
	v_add_u32_e32 v98, s37, v98
	v_add_u32_e32 v98, v98, v94
	v_ashrrev_i32_e32 v99, 31, v98
	v_lshl_add_u64 v[98:99], v[98:99], 2, v[20:21]
	global_load_dword v98, v[98:99], off
.LBB94_73:                              ;   in Loop: Header=BB94_34 Depth=1
	s_andn2_b64 vcc, exec, s[24:25]
	s_waitcnt vmcnt(0)
	ds_write_b32 v96, v98 offset:2440
	s_cbranch_vccnz .LBB94_78
.LBB94_74:                              ;   in Loop: Header=BB94_34 Depth=1
	ds_read_b32 v22, v95 offset:40
	s_waitcnt lgkmcnt(0)
	v_cmp_gt_i32_e32 vcc, 0, v22
	s_cbranch_vccnz .LBB94_77
; %bb.75:                               ;   in Loop: Header=BB94_34 Depth=1
	v_mul_lo_u32 v22, v22, s45
	s_mul_i32 s37, s40, 10
	v_add_u32_e32 v22, s37, v22
	v_add_u32_e32 v98, v22, v94
	v_ashrrev_i32_e32 v99, 31, v98
	v_lshl_add_u64 v[98:99], v[98:99], 2, v[20:21]
	global_load_dword v22, v[98:99], off
	s_branch .LBB94_78
.LBB94_76:                              ;   in Loop: Header=BB94_34 Depth=1
	v_mov_b32_e32 v98, 0
	s_andn2_b64 vcc, exec, s[24:25]
	ds_write_b32 v96, v98 offset:2440
	s_cbranch_vccz .LBB94_74
	s_branch .LBB94_78
.LBB94_77:                              ;   in Loop: Header=BB94_34 Depth=1
	v_mov_b32_e32 v22, 0
.LBB94_78:                              ;   in Loop: Header=BB94_34 Depth=1
	s_waitcnt vmcnt(0)
	ds_write_b32 v96, v22 offset:2704
	v_mov_b32_e32 v22, 0
	s_andn2_b64 vcc, exec, s[26:27]
	v_mov_b32_e32 v98, 0
	s_cbranch_vccnz .LBB94_81
; %bb.79:                               ;   in Loop: Header=BB94_34 Depth=1
	ds_read_b32 v98, v95 offset:44
	s_waitcnt lgkmcnt(0)
	v_cmp_gt_i32_e32 vcc, 0, v98
	s_cbranch_vccnz .LBB94_84
; %bb.80:                               ;   in Loop: Header=BB94_34 Depth=1
	v_mul_lo_u32 v98, v98, s45
	s_mul_i32 s37, s40, 11
	v_add_u32_e32 v98, s37, v98
	v_add_u32_e32 v98, v98, v94
	v_ashrrev_i32_e32 v99, 31, v98
	v_lshl_add_u64 v[98:99], v[98:99], 2, v[20:21]
	global_load_dword v98, v[98:99], off
.LBB94_81:                              ;   in Loop: Header=BB94_34 Depth=1
	s_andn2_b64 vcc, exec, s[28:29]
	s_waitcnt vmcnt(0)
	ds_write_b32 v96, v98 offset:2968
	s_cbranch_vccnz .LBB94_33
.LBB94_82:                              ;   in Loop: Header=BB94_34 Depth=1
	ds_read_b32 v22, v95 offset:48
	s_waitcnt lgkmcnt(0)
	v_cmp_gt_i32_e32 vcc, 0, v22
	s_cbranch_vccz .LBB94_32
; %bb.83:                               ;   in Loop: Header=BB94_34 Depth=1
	v_mov_b32_e32 v22, 0
	s_branch .LBB94_33
.LBB94_84:                              ;   in Loop: Header=BB94_34 Depth=1
	v_mov_b32_e32 v98, 0
	s_andn2_b64 vcc, exec, s[28:29]
	ds_write_b32 v96, v98 offset:2968
	s_cbranch_vccnz .LBB94_33
	s_branch .LBB94_82
.LBB94_85:
	s_or_b64 exec, exec, s[38:39]
	v_readlane_b32 s24, v111, 6
	v_readlane_b32 s28, v111, 10
	v_readlane_b32 s22, v111, 9
	v_readlane_b32 s25, v111, 7
	v_readlane_b32 s30, v111, 12
	v_readlane_b32 s6, v111, 8
	v_readlane_b32 s29, v111, 11
	v_readlane_b32 s31, v111, 13
.LBB94_86:
	s_waitcnt lgkmcnt(0)
	v_readlane_b32 s0, v111, 4
	v_readlane_b32 s1, v111, 5
	s_or_b64 exec, exec, s[0:1]
	v_mov_b32_e32 v19, 0x100
	v_lshl_add_u32 v18, v92, 2, v19
	v_mul_u32_u24_e32 v20, 0x708, v93
	v_and_b32_e32 v21, 0x3f0, v16
	v_add3_u32 v20, v18, v20, v21
	s_barrier
	s_movk_i32 s0, 0x708
	ds_write2_b32 v20, v8, v9 offset0:16 offset1:17
	ds_write2_b32 v20, v10, v11 offset0:18 offset1:19
	;; [unrolled: 1-line block ×8, first 2 shown]
	v_lshl_add_u32 v9, v16, 2, v19
	v_mad_u32_u24 v0, v17, s0, v9
	v_add_u32_e32 v1, 64, v0
	s_waitcnt lgkmcnt(0)
	s_barrier
	ds_read2_b32 v[6:7], v0 offset0:16 offset1:80
	ds_read2_b32 v[2:3], v0 offset0:144 offset1:208
	ds_read2st64_b32 v[4:5], v1 offset0:4 offset1:5
	ds_read_b32 v10, v0 offset:1600
	v_cmp_gt_u32_e32 vcc, 13, v17
	v_mov_b32_e32 v11, -1
	s_and_saveexec_b64 s[0:1], vcc
; %bb.87:
	s_movk_i32 s2, 0xff04
	v_mad_i32_i24 v0, v17, s2, v18
	ds_read_b32 v11, v0
; %bb.88:
	s_or_b64 exec, exec, s[0:1]
	s_mul_hi_i32 s1, s30, s22
	s_mul_i32 s0, s30, s22
	s_lshl_b64 s[0:1], s[0:1], 2
	v_readlane_b32 s2, v111, 2
	v_mul_hi_i32 v1, v90, s41
	v_mul_lo_u32 v0, v90, s41
	v_readlane_b32 s3, v111, 3
	s_add_u32 s0, s2, s0
	s_addc_u32 s1, s3, s1
	v_lshlrev_b64 v[0:1], 2, v[0:1]
	s_waitcnt lgkmcnt(0)
	v_cmp_lt_i32_e32 vcc, -1, v11
	v_add_u32_e32 v8, s6, v16
	v_lshl_add_u64 v[0:1], s[0:1], 0, v[0:1]
	s_and_b64 s[2:3], vcc, s[24:25]
	s_and_saveexec_b64 s[0:1], s[2:3]
	s_cbranch_execz .LBB94_90
; %bb.89:
	v_add_f32_e32 v6, 0, v6
	v_add_f32_e32 v6, v6, v7
	;; [unrolled: 1-line block ×7, first 2 shown]
	v_mul_lo_u32 v2, v11, s46
	v_mul_lo_u32 v3, v17, s41
	v_add3_u32 v2, v8, v3, v2
	v_mov_b32_e32 v3, 0
	v_lshl_add_u64 v[2:3], v[2:3], 2, v[0:1]
	global_store_dword v[2:3], v4, off
.LBB94_90:
	s_or_b64 exec, exec, s[0:1]
	v_cmp_gt_u32_e32 vcc, 6, v17
	s_and_saveexec_b64 s[0:1], vcc
	s_cbranch_execz .LBB94_93
; %bb.91:
	v_mov_b32_e32 v2, 0x100
	v_lshl_add_u32 v2, v17, 2, v2
	ds_read_b32 v2, v2 offset:28
	v_readlane_b32 s0, v111, 0
	v_readlane_b32 s1, v111, 1
	s_waitcnt lgkmcnt(0)
	v_cmp_lt_i32_e32 vcc, -1, v2
	s_and_b64 s[0:1], vcc, s[0:1]
	s_and_b64 exec, exec, s[0:1]
	s_cbranch_execz .LBB94_93
; %bb.92:
	v_mul_u32_u24_e32 v3, 0x708, v17
	v_add_u32_e32 v6, v3, v9
	v_add_u32_e32 v7, 0x78, v6
	ds_read2st64_b32 v[4:5], v7 offset0:49 offset1:50
	v_mul_lo_u32 v9, v2, s46
	ds_read2st64_b32 v[2:3], v7 offset0:51 offset1:52
	ds_read_b32 v10, v6 offset:14200
	ds_read2st64_b32 v[6:7], v7 offset0:53 offset1:54
	s_waitcnt lgkmcnt(3)
	v_add_f32_e32 v4, 0, v4
	v_add_f32_e32 v4, v4, v5
	s_waitcnt lgkmcnt(2)
	v_add_f32_e32 v2, v4, v2
	v_add_f32_e32 v2, v2, v3
	s_waitcnt lgkmcnt(0)
	v_add_f32_e32 v2, v2, v6
	v_add_f32_e32 v2, v2, v7
	v_add_f32_e32 v4, v2, v10
	v_mul_lo_u32 v2, v91, s41
	v_add3_u32 v2, v8, v2, v9
	v_mov_b32_e32 v3, 0
	v_lshl_add_u64 v[0:1], v[2:3], 2, v[0:1]
	global_store_dword v[0:1], v4, off
.LBB94_93:
	s_endpgm
	.section	.rodata,"a",@progbits
	.p2align	6, 0x0
	.amdhsa_kernel _ZL9mul_mat_fIfLi64ELi13ELi7ELb1EEvPKT_PKfPKiPfiiiiiiiiiiiiiiii
		.amdhsa_group_segment_fixed_size 256
		.amdhsa_private_segment_fixed_size 0
		.amdhsa_kernarg_size 352
		.amdhsa_user_sgpr_count 2
		.amdhsa_user_sgpr_dispatch_ptr 0
		.amdhsa_user_sgpr_queue_ptr 0
		.amdhsa_user_sgpr_kernarg_segment_ptr 1
		.amdhsa_user_sgpr_dispatch_id 0
		.amdhsa_user_sgpr_kernarg_preload_length 0
		.amdhsa_user_sgpr_kernarg_preload_offset 0
		.amdhsa_user_sgpr_private_segment_size 0
		.amdhsa_uses_dynamic_stack 0
		.amdhsa_enable_private_segment 0
		.amdhsa_system_sgpr_workgroup_id_x 1
		.amdhsa_system_sgpr_workgroup_id_y 1
		.amdhsa_system_sgpr_workgroup_id_z 1
		.amdhsa_system_sgpr_workgroup_info 0
		.amdhsa_system_vgpr_workitem_id 2
		.amdhsa_next_free_vgpr 112
		.amdhsa_next_free_sgpr 100
		.amdhsa_accum_offset 112
		.amdhsa_reserve_vcc 1
		.amdhsa_float_round_mode_32 0
		.amdhsa_float_round_mode_16_64 0
		.amdhsa_float_denorm_mode_32 3
		.amdhsa_float_denorm_mode_16_64 3
		.amdhsa_dx10_clamp 1
		.amdhsa_ieee_mode 1
		.amdhsa_fp16_overflow 0
		.amdhsa_tg_split 0
		.amdhsa_exception_fp_ieee_invalid_op 0
		.amdhsa_exception_fp_denorm_src 0
		.amdhsa_exception_fp_ieee_div_zero 0
		.amdhsa_exception_fp_ieee_overflow 0
		.amdhsa_exception_fp_ieee_underflow 0
		.amdhsa_exception_fp_ieee_inexact 0
		.amdhsa_exception_int_div_zero 0
	.end_amdhsa_kernel
	.section	.text._ZL9mul_mat_fIfLi64ELi13ELi7ELb1EEvPKT_PKfPKiPfiiiiiiiiiiiiiiii,"axG",@progbits,_ZL9mul_mat_fIfLi64ELi13ELi7ELb1EEvPKT_PKfPKiPfiiiiiiiiiiiiiiii,comdat
.Lfunc_end94:
	.size	_ZL9mul_mat_fIfLi64ELi13ELi7ELb1EEvPKT_PKfPKiPfiiiiiiiiiiiiiiii, .Lfunc_end94-_ZL9mul_mat_fIfLi64ELi13ELi7ELb1EEvPKT_PKfPKiPfiiiiiiiiiiiiiiii
                                        ; -- End function
	.set _ZL9mul_mat_fIfLi64ELi13ELi7ELb1EEvPKT_PKfPKiPfiiiiiiiiiiiiiiii.num_vgpr, 112
	.set _ZL9mul_mat_fIfLi64ELi13ELi7ELb1EEvPKT_PKfPKiPfiiiiiiiiiiiiiiii.num_agpr, 0
	.set _ZL9mul_mat_fIfLi64ELi13ELi7ELb1EEvPKT_PKfPKiPfiiiiiiiiiiiiiiii.numbered_sgpr, 100
	.set _ZL9mul_mat_fIfLi64ELi13ELi7ELb1EEvPKT_PKfPKiPfiiiiiiiiiiiiiiii.num_named_barrier, 0
	.set _ZL9mul_mat_fIfLi64ELi13ELi7ELb1EEvPKT_PKfPKiPfiiiiiiiiiiiiiiii.private_seg_size, 0
	.set _ZL9mul_mat_fIfLi64ELi13ELi7ELb1EEvPKT_PKfPKiPfiiiiiiiiiiiiiiii.uses_vcc, 1
	.set _ZL9mul_mat_fIfLi64ELi13ELi7ELb1EEvPKT_PKfPKiPfiiiiiiiiiiiiiiii.uses_flat_scratch, 0
	.set _ZL9mul_mat_fIfLi64ELi13ELi7ELb1EEvPKT_PKfPKiPfiiiiiiiiiiiiiiii.has_dyn_sized_stack, 0
	.set _ZL9mul_mat_fIfLi64ELi13ELi7ELb1EEvPKT_PKfPKiPfiiiiiiiiiiiiiiii.has_recursion, 0
	.set _ZL9mul_mat_fIfLi64ELi13ELi7ELb1EEvPKT_PKfPKiPfiiiiiiiiiiiiiiii.has_indirect_call, 0
	.section	.AMDGPU.csdata,"",@progbits
; Kernel info:
; codeLenInByte = 7500
; TotalNumSgprs: 106
; NumVgprs: 112
; NumAgprs: 0
; TotalNumVgprs: 112
; ScratchSize: 0
; MemoryBound: 0
; FloatMode: 240
; IeeeMode: 1
; LDSByteSize: 256 bytes/workgroup (compile time only)
; SGPRBlocks: 13
; VGPRBlocks: 13
; NumSGPRsForWavesPerEU: 106
; NumVGPRsForWavesPerEU: 112
; AccumOffset: 112
; Occupancy: 4
; WaveLimiterHint : 0
; COMPUTE_PGM_RSRC2:SCRATCH_EN: 0
; COMPUTE_PGM_RSRC2:USER_SGPR: 2
; COMPUTE_PGM_RSRC2:TRAP_HANDLER: 0
; COMPUTE_PGM_RSRC2:TGID_X_EN: 1
; COMPUTE_PGM_RSRC2:TGID_Y_EN: 1
; COMPUTE_PGM_RSRC2:TGID_Z_EN: 1
; COMPUTE_PGM_RSRC2:TIDIG_COMP_CNT: 2
; COMPUTE_PGM_RSRC3_GFX90A:ACCUM_OFFSET: 27
; COMPUTE_PGM_RSRC3_GFX90A:TG_SPLIT: 0
	.section	.text._ZL9mul_mat_fIfLi64ELi13ELi7ELb0EEvPKT_PKfPKiPfiiiiiiiiiiiiiiii,"axG",@progbits,_ZL9mul_mat_fIfLi64ELi13ELi7ELb0EEvPKT_PKfPKiPfiiiiiiiiiiiiiiii,comdat
	.globl	_ZL9mul_mat_fIfLi64ELi13ELi7ELb0EEvPKT_PKfPKiPfiiiiiiiiiiiiiiii ; -- Begin function _ZL9mul_mat_fIfLi64ELi13ELi7ELb0EEvPKT_PKfPKiPfiiiiiiiiiiiiiiii
	.p2align	8
	.type	_ZL9mul_mat_fIfLi64ELi13ELi7ELb0EEvPKT_PKfPKiPfiiiiiiiiiiiiiiii,@function
_ZL9mul_mat_fIfLi64ELi13ELi7ELb0EEvPKT_PKfPKiPfiiiiiiiiiiiiiiii: ; @_ZL9mul_mat_fIfLi64ELi13ELi7ELb0EEvPKT_PKfPKiPfiiiiiiiiiiiiiiii
; %bb.0:
	s_load_dword s5, s[0:1], 0x20
	s_load_dwordx4 s[16:19], s[0:1], 0x2c
	v_bfe_u32 v62, v0, 10, 10
	v_lshlrev_b32_e32 v64, 6, v62
	v_and_b32_e32 v63, 0x3ff, v0
	v_add_u32_e32 v66, v64, v63
	s_waitcnt lgkmcnt(0)
	s_ashr_i32 s19, s4, 31
	v_cmp_le_i32_e32 vcc, s5, v66
	v_and_b32_e32 v65, 15, v63
	s_and_saveexec_b64 s[6:7], vcc
	s_xor_b64 s[6:7], exec, s[6:7]
; %bb.1:
	v_and_b32_e32 v65, 15, v63
                                        ; implicit-def: $vgpr66
; %bb.2:
	s_or_saveexec_b64 s[24:25], s[6:7]
	s_load_dwordx8 s[8:15], s[0:1], 0x40
	s_load_dwordx2 s[6:7], s[0:1], 0x18
	v_mov_b32_e32 v11, 0
	s_lshl_b32 s2, s2, 6
	v_mov_b32_e32 v10, v11
	v_mov_b32_e32 v9, v11
	;; [unrolled: 1-line block ×15, first 2 shown]
	s_xor_b64 exec, exec, s[24:25]
	s_cbranch_execz .LBB95_6
; %bb.3:
	s_waitcnt lgkmcnt(0)
	s_abs_i32 s26, s8
	v_cvt_f32_u32_e32 v0, s26
	s_abs_i32 s27, s12
	v_cvt_f32_u32_e32 v1, s27
	s_sub_i32 s20, 0, s26
	v_rcp_iflag_f32_e32 v0, v0
	s_abs_i32 s28, s3
	v_rcp_iflag_f32_e32 v1, v1
	s_sub_i32 s21, 0, s27
	v_mul_f32_e32 v0, 0x4f7ffffe, v0
	v_cvt_u32_f32_e32 v0, v0
	v_mul_f32_e32 v1, 0x4f7ffffe, v1
	v_cvt_u32_f32_e32 v1, v1
	s_abs_i32 s29, s4
	v_mul_lo_u32 v2, s20, v0
	v_mul_hi_u32 v2, v0, v2
	v_add_u32_e32 v0, v0, v2
	v_mul_hi_u32 v0, s28, v0
	v_mul_lo_u32 v3, s21, v1
	v_mul_lo_u32 v2, v0, s26
	v_mul_hi_u32 v3, v1, v3
	v_sub_u32_e32 v2, s28, v2
	v_add_u32_e32 v1, v1, v3
	v_add_u32_e32 v3, 1, v0
	v_subrev_u32_e32 v4, s26, v2
	v_cmp_le_u32_e32 vcc, s26, v2
	s_load_dwordx4 s[20:23], s[0:1], 0x0
	s_ashr_i32 s0, s3, 31
	v_cndmask_b32_e32 v0, v0, v3, vcc
	v_cndmask_b32_e32 v2, v2, v4, vcc
	s_ashr_i32 s1, s8, 31
	v_add_u32_e32 v3, 1, v0
	v_cmp_le_u32_e32 vcc, s26, v2
	s_xor_b32 s0, s0, s1
	v_mul_hi_u32 v1, s29, v1
	v_cndmask_b32_e32 v0, v0, v3, vcc
	v_xor_b32_e32 v0, s0, v0
	v_subrev_u32_e32 v2, s0, v0
	v_mul_lo_u32 v0, v1, s27
	v_sub_u32_e32 v0, s29, v0
	v_add_u32_e32 v3, 1, v1
	v_subrev_u32_e32 v4, s27, v0
	v_cmp_le_u32_e32 vcc, s27, v0
	s_ashr_i32 s8, s12, 31
	s_xor_b32 s0, s19, s8
	v_cndmask_b32_e32 v1, v1, v3, vcc
	v_cndmask_b32_e32 v0, v0, v4, vcc
	v_add_u32_e32 v3, 1, v1
	v_cmp_le_u32_e32 vcc, s27, v0
	v_mul_lo_u32 v2, v2, s9
	s_mul_hi_i32 s9, s14, s4
	v_cndmask_b32_e32 v0, v1, v3, vcc
	s_mul_i32 s8, s14, s4
	v_xor_b32_e32 v0, s0, v0
	s_lshl_b64 s[8:9], s[8:9], 2
	v_subrev_u32_e32 v0, s0, v0
	s_mul_i32 s0, s16, s2
	s_mul_i32 s26, s10, s3
	s_waitcnt lgkmcnt(0)
	s_add_u32 s10, s22, s8
	v_mul_hi_i32 v1, v0, s13
	v_mul_lo_u32 v0, v0, s13
	s_addc_u32 s14, s23, s9
	s_ashr_i32 s1, s0, 31
	s_ashr_i32 s27, s26, 31
	v_ashrrev_i32_e32 v3, 31, v2
	v_lshlrev_b64 v[0:1], 2, v[0:1]
	s_lshl_b64 s[12:13], s[0:1], 2
	s_lshl_b64 s[26:27], s[26:27], 2
	v_lshl_add_u64 v[4:5], s[20:21], 0, v[0:1]
	v_lshlrev_b64 v[2:3], 2, v[2:3]
	s_add_u32 s0, s10, s26
	v_lshl_add_u64 v[4:5], v[4:5], 0, v[2:3]
	s_addc_u32 s1, s14, s27
	s_movk_i32 s10, 0x1080
	s_ashr_i32 s69, s16, 31
	s_mov_b32 s68, s16
	s_ashr_i32 s71, s17, 31
	s_mov_b32 s70, s17
	v_lshl_add_u64 v[16:17], v[4:5], 0, s[12:13]
	v_mad_u32_u24 v4, v62, s10, 0
	v_lshrrev_b32_e32 v6, 1, v63
	s_add_i32 s10, s16, s16
	s_add_i32 s14, s17, s17
	s_lshl_b32 s28, s17, 2
	s_lshl_b32 s33, s17, 3
	;; [unrolled: 1-line block ×6, first 2 shown]
	s_lshl_b64 s[72:73], s[68:69], 2
	s_lshl_b64 s[74:75], s[70:71], 2
	v_mul_u32_u24_e32 v5, 0x108, v65
	v_and_b32_e32 v6, 0x1f8, v6
	s_add_u32 s76, s22, s26
	v_mov_b32_e32 v19, 0
	v_add3_u32 v68, v4, v5, v6
	s_addc_u32 s77, s23, s27
	v_lshl_add_u64 v[2:3], s[20:21], 0, v[2:3]
	v_lshlrev_b32_e32 v6, 8, v62
	v_mov_b32_e32 v7, v19
	v_lshlrev_b32_e32 v18, 2, v63
	v_lshl_add_u64 v[2:3], v[2:3], 0, s[12:13]
	v_lshl_add_u64 v[8:9], s[8:9], 0, v[6:7]
	s_add_u32 s8, s76, s74
	v_add_u32_e32 v67, v4, v18
	v_lshl_add_u64 v[4:5], v[2:3], 0, s[72:73]
	s_addc_u32 s9, s77, s75
	v_lshl_add_u64 v[0:1], v[0:1], 0, v[6:7]
	s_mul_i32 s19, s17, 3
	s_mul_i32 s29, s17, 5
	s_mul_i32 s30, s17, 6
	s_mul_i32 s31, s17, 7
	s_mul_i32 s34, s17, 9
	s_mul_i32 s35, s17, 10
	s_mul_i32 s36, s17, 11
	s_mul_i32 s17, s17, 12
	s_mul_i32 s37, s16, 3
	s_mul_i32 s39, s16, 5
	s_mul_i32 s40, s16, 6
	s_mul_i32 s41, s16, 7
	s_mul_i32 s43, s16, 9
	s_mul_i32 s44, s16, 10
	s_mul_i32 s45, s16, 11
	s_mul_i32 s46, s16, 12
	s_mul_i32 s47, s16, 13
	s_mul_i32 s48, s16, 14
	s_mul_i32 s49, s16, 15
	s_mul_i32 s51, s16, 17
	s_mul_i32 s52, s16, 18
	s_mul_i32 s53, s16, 19
	s_mul_i32 s54, s16, 20
	s_mul_i32 s55, s16, 21
	s_mul_i32 s56, s16, 22
	s_mul_i32 s57, s16, 23
	s_mul_i32 s58, s16, 24
	s_mul_i32 s59, s16, 25
	s_mul_i32 s60, s16, 26
	s_mul_i32 s61, s16, 27
	s_mul_i32 s62, s16, 28
	s_mul_i32 s63, s16, 29
	s_mul_i32 s64, s16, 30
	s_mul_i32 s65, s16, 31
	s_mul_i32 s67, s16, 33
	s_mul_i32 s22, s16, 34
	s_mul_i32 s23, s16, 35
	s_mul_i32 s20, s16, 36
	s_mul_i32 s21, s16, 37
	s_mul_i32 s26, s16, 38
	s_mul_i32 s27, s16, 39
	s_mul_i32 s68, s16, 40
	s_mul_i32 s69, s16, 41
	s_mul_i32 s70, s16, 42
	s_mul_i32 s71, s16, 43
	s_mul_i32 s72, s16, 44
	s_mul_i32 s73, s16, 45
	v_lshl_add_u64 v[20:21], s[8:9], 0, v[8:9]
	s_mul_i32 s74, s16, 46
	s_mul_i32 s75, s16, 47
	v_lshl_add_u64 v[22:23], s[76:77], 0, v[8:9]
	s_mul_i32 s76, s16, 48
	s_mul_i32 s77, s16, 49
	v_lshl_add_u64 v[24:25], v[4:5], 0, v[0:1]
	v_lshl_add_u64 v[26:27], v[2:3], 0, v[0:1]
	v_mov_b32_e32 v12, v19
	v_mov_b32_e32 v13, v19
	;; [unrolled: 1-line block ×15, first 2 shown]
	s_mul_i32 s78, s16, 50
	s_mul_i32 s79, s16, 51
	;; [unrolled: 1-line block ×14, first 2 shown]
	s_mov_b64 s[8:9], 0
	s_mov_b64 s[12:13], 0x700
.LBB95_4:                               ; =>This Inner Loop Header: Depth=1
	v_add_u32_e32 v52, s10, v66
	v_add_u32_e32 v48, s38, v66
	;; [unrolled: 1-line block ×16, first 2 shown]
	v_ashrrev_i32_e32 v53, 31, v52
	v_ashrrev_i32_e32 v49, 31, v48
	;; [unrolled: 1-line block ×8, first 2 shown]
	v_lshl_add_u64 v[58:59], v[26:27], 0, v[18:19]
	v_lshl_add_u64 v[60:61], v[24:25], 0, v[18:19]
	v_lshl_add_u64 v[70:71], v[22:23], 0, v[18:19]
	v_add_u32_e32 v76, s52, v66
	v_add_u32_e32 v78, s53, v66
	v_ashrrev_i32_e32 v57, 31, v56
	v_lshl_add_u64 v[52:53], v[52:53], 2, v[16:17]
	v_ashrrev_i32_e32 v55, 31, v54
	v_lshl_add_u64 v[48:49], v[48:49], 2, v[16:17]
	;; [unrolled: 2-line block ×6, first 2 shown]
	v_lshl_add_u64 v[28:29], v[28:29], 2, v[16:17]
	v_lshl_add_u64 v[34:35], v[34:35], 2, v[16:17]
	v_ashrrev_i32_e32 v37, 31, v36
	v_ashrrev_i32_e32 v75, 31, v74
	v_lshl_add_u64 v[72:73], v[20:21], 0, v[18:19]
	v_add_u32_e32 v80, s54, v66
	v_add_u32_e32 v82, s55, v66
	global_load_dword v69, v[58:59], off
	s_nop 0
	global_load_dword v60, v[60:61], off
	s_nop 0
	global_load_dword v58, v[70:71], off
	global_load_dword v59, v[72:73], off
	v_lshl_add_u64 v[56:57], v[56:57], 2, v[16:17]
	global_load_dword v52, v[52:53], off
	s_nop 0
	global_load_dword v53, v[56:57], off
	v_lshl_add_u64 v[54:55], v[54:55], 2, v[16:17]
	global_load_dword v48, v[48:49], off
	s_nop 0
	global_load_dword v49, v[54:55], off
	v_lshl_add_u64 v[50:51], v[50:51], 2, v[16:17]
	global_load_dword v44, v[44:45], off
	s_nop 0
	global_load_dword v45, v[50:51], off
	v_lshl_add_u64 v[46:47], v[46:47], 2, v[16:17]
	global_load_dword v40, v[40:41], off
	s_nop 0
	global_load_dword v41, v[46:47], off
	v_lshl_add_u64 v[42:43], v[42:43], 2, v[16:17]
	global_load_dword v32, v[32:33], off
	s_nop 0
	global_load_dword v33, v[42:43], off
	v_lshl_add_u64 v[38:39], v[38:39], 2, v[16:17]
	global_load_dword v30, v[30:31], off
	s_nop 0
	global_load_dword v31, v[38:39], off
	s_nop 0
	global_load_dword v28, v[28:29], off
	s_nop 0
	global_load_dword v29, v[34:35], off
	v_lshl_add_u64 v[34:35], v[36:37], 2, v[16:17]
	v_lshl_add_u64 v[36:37], v[74:75], 2, v[16:17]
	v_ashrrev_i32_e32 v77, 31, v76
	v_ashrrev_i32_e32 v79, 31, v78
	v_add_u32_e32 v84, s56, v66
	v_add_u32_e32 v86, s57, v66
	global_load_dword v34, v[34:35], off
	s_nop 0
	global_load_dword v35, v[36:37], off
	v_lshl_add_u64 v[36:37], v[76:77], 2, v[16:17]
	v_lshl_add_u64 v[42:43], v[78:79], 2, v[16:17]
	v_ashrrev_i32_e32 v81, 31, v80
	v_ashrrev_i32_e32 v83, 31, v82
	v_add_u32_e32 v88, s58, v66
	v_add_u32_e32 v90, s59, v66
	;; [unrolled: 9-line block ×6, first 2 shown]
	v_add_u32_e32 v74, s22, v66
	v_add_u32_e32 v76, s23, v66
	global_load_dword v54, v[54:55], off
	s_nop 0
	global_load_dword v55, v[56:57], off
	v_lshl_add_u64 v[56:57], v[72:73], 2, v[16:17]
	v_lshl_add_u64 v[70:71], v[92:93], 2, v[16:17]
	v_ashrrev_i32_e32 v95, 31, v94
	v_ashrrev_i32_e32 v97, 31, v96
	v_add_u32_e32 v78, s20, v66
	v_add_u32_e32 v80, s21, v66
	global_load_dword v56, v[56:57], off
	s_nop 0
	global_load_dword v57, v[70:71], off
	v_lshl_add_u64 v[70:71], v[94:95], 2, v[16:17]
	v_lshl_add_u64 v[72:73], v[96:97], 2, v[16:17]
	v_ashrrev_i32_e32 v39, 31, v38
	v_ashrrev_i32_e32 v99, 31, v98
	;; [unrolled: 1-line block ×4, first 2 shown]
	v_add_u32_e32 v82, s26, v66
	v_add_u32_e32 v84, s27, v66
	global_load_dword v61, v[70:71], off
	s_nop 0
	global_load_dword v70, v[72:73], off
	v_lshl_add_u64 v[38:39], v[38:39], 2, v[16:17]
	v_lshl_add_u64 v[72:73], v[98:99], 2, v[16:17]
	;; [unrolled: 1-line block ×4, first 2 shown]
	v_ashrrev_i32_e32 v79, 31, v78
	v_ashrrev_i32_e32 v81, 31, v80
	v_add_u32_e32 v86, s68, v66
	v_add_u32_e32 v88, s69, v66
	global_load_dword v71, v[38:39], off
	s_nop 0
	global_load_dword v72, v[72:73], off
	s_nop 0
	;; [unrolled: 2-line block ×3, first 2 shown]
	global_load_dword v74, v[76:77], off
	v_lshl_add_u64 v[76:77], v[78:79], 2, v[16:17]
	v_lshl_add_u64 v[78:79], v[80:81], 2, v[16:17]
	v_ashrrev_i32_e32 v83, 31, v82
	v_ashrrev_i32_e32 v85, 31, v84
	v_add_u32_e32 v38, s70, v66
	v_add_u32_e32 v90, s71, v66
	global_load_dword v75, v[76:77], off
	s_nop 0
	global_load_dword v76, v[78:79], off
	v_lshl_add_u64 v[78:79], v[82:83], 2, v[16:17]
	v_lshl_add_u64 v[80:81], v[84:85], 2, v[16:17]
	v_ashrrev_i32_e32 v87, 31, v86
	v_ashrrev_i32_e32 v89, 31, v88
	global_load_dword v77, v[78:79], off
	s_nop 0
	global_load_dword v78, v[80:81], off
	v_lshl_add_u64 v[80:81], v[86:87], 2, v[16:17]
	v_lshl_add_u64 v[82:83], v[88:89], 2, v[16:17]
	v_ashrrev_i32_e32 v39, 31, v38
	v_ashrrev_i32_e32 v91, 31, v90
	global_load_dword v79, v[80:81], off
	s_nop 0
	global_load_dword v80, v[82:83], off
	v_lshl_add_u64 v[38:39], v[38:39], 2, v[16:17]
	v_lshl_add_u64 v[82:83], v[90:91], 2, v[16:17]
	v_add_u32_e32 v92, s72, v66
	v_add_u32_e32 v84, s73, v66
	;; [unrolled: 1-line block ×3, first 2 shown]
	global_load_dword v81, v[38:39], off
	s_nop 0
	global_load_dword v82, v[82:83], off
	v_add_u32_e32 v38, s75, v66
	v_ashrrev_i32_e32 v93, 31, v92
	v_ashrrev_i32_e32 v85, 31, v84
	;; [unrolled: 1-line block ×4, first 2 shown]
	v_lshl_add_u64 v[88:89], v[92:93], 2, v[16:17]
	v_lshl_add_u64 v[84:85], v[84:85], 2, v[16:17]
	;; [unrolled: 1-line block ×4, first 2 shown]
	global_load_dword v83, v[88:89], off
	s_nop 0
	global_load_dword v88, v[84:85], off
	v_add_u32_e32 v84, s76, v66
	global_load_dword v89, v[86:87], off
	global_load_dword v90, v[38:39], off
	v_add_u32_e32 v38, s77, v66
	v_ashrrev_i32_e32 v85, 31, v84
	v_ashrrev_i32_e32 v39, 31, v38
	v_lshl_add_u64 v[84:85], v[84:85], 2, v[16:17]
	v_lshl_add_u64 v[38:39], v[38:39], 2, v[16:17]
	global_load_dword v91, v[84:85], off
	global_load_dword v92, v[38:39], off
	v_add_u32_e32 v38, s78, v66
	v_ashrrev_i32_e32 v39, 31, v38
	v_lshl_add_u64 v[38:39], v[38:39], 2, v[16:17]
	global_load_dword v93, v[38:39], off
	v_add_u32_e32 v38, s79, v66
	v_ashrrev_i32_e32 v39, 31, v38
	v_lshl_add_u64 v[38:39], v[38:39], 2, v[16:17]
	;; [unrolled: 4-line block ×25, first 2 shown]
	global_load_dword v117, v[38:39], off
	s_waitcnt vmcnt(62)
	ds_write_b32 v67, v69
	ds_write_b32 v67, v60 offset:264
	ds_write_b32 v67, v52 offset:528
	;; [unrolled: 1-line block ×12, first 2 shown]
	s_waitcnt vmcnt(61)
	ds_write_b32 v67, v31 offset:3432
	s_waitcnt vmcnt(60)
	ds_write_b32 v67, v28 offset:3696
	s_waitcnt vmcnt(59)
	ds_write_b32 v67, v29 offset:3960
	ds_read_b64 v[44:45], v68
	ds_read_b64 v[48:49], v68 offset:32
	ds_read_b64 v[52:53], v68 offset:64
	ds_read_b64 v[84:85], v68 offset:96
	ds_read_b64 v[86:87], v68 offset:128
	ds_read_b64 v[38:39], v68 offset:160
	ds_read_b64 v[32:33], v68 offset:192
	ds_read_b64 v[28:29], v68 offset:224
	s_waitcnt vmcnt(58)
	ds_write_b32 v67, v34
	s_waitcnt vmcnt(57)
	ds_write_b32 v67, v35 offset:264
	s_waitcnt vmcnt(56)
	ds_write_b32 v67, v36 offset:528
	s_waitcnt vmcnt(55)
	ds_write_b32 v67, v37 offset:792
	s_waitcnt vmcnt(54)
	ds_write_b32 v67, v42 offset:1056
	s_waitcnt vmcnt(53)
	ds_write_b32 v67, v43 offset:1320
	s_waitcnt vmcnt(52)
	ds_write_b32 v67, v46 offset:1584
	s_waitcnt vmcnt(51)
	ds_write_b32 v67, v47 offset:1848
	s_waitcnt vmcnt(50)
	ds_write_b32 v67, v50 offset:2112
	s_waitcnt vmcnt(49)
	ds_write_b32 v67, v51 offset:2376
	s_waitcnt vmcnt(48)
	ds_write_b32 v67, v54 offset:2640
	s_waitcnt vmcnt(47)
	ds_write_b32 v67, v55 offset:2904
	s_waitcnt vmcnt(46)
	ds_write_b32 v67, v56 offset:3168
	s_waitcnt vmcnt(45)
	ds_write_b32 v67, v57 offset:3432
	s_waitcnt vmcnt(44)
	ds_write_b32 v67, v61 offset:3696
	s_waitcnt vmcnt(43)
	ds_write_b32 v67, v70 offset:3960
	ds_read_b64 v[42:43], v68
	ds_read_b64 v[46:47], v68 offset:32
	ds_read_b64 v[50:51], v68 offset:64
	ds_read_b64 v[54:55], v68 offset:96
	ds_read_b64 v[56:57], v68 offset:128
	ds_read_b64 v[60:61], v68 offset:160
	ds_read_b64 v[40:41], v68 offset:192
	ds_read_b64 v[30:31], v68 offset:224
	s_waitcnt vmcnt(42)
	ds_write_b32 v67, v71
	s_waitcnt vmcnt(41)
	ds_write_b32 v67, v72 offset:264
	s_waitcnt vmcnt(40)
	ds_write_b32 v67, v73 offset:528
	s_waitcnt vmcnt(39)
	ds_write_b32 v67, v74 offset:792
	s_waitcnt vmcnt(38)
	ds_write_b32 v67, v75 offset:1056
	s_waitcnt vmcnt(37)
	ds_write_b32 v67, v76 offset:1320
	s_waitcnt vmcnt(36)
	ds_write_b32 v67, v77 offset:1584
	s_waitcnt vmcnt(35)
	ds_write_b32 v67, v78 offset:1848
	s_waitcnt vmcnt(34)
	ds_write_b32 v67, v79 offset:2112
	s_waitcnt vmcnt(33)
	ds_write_b32 v67, v80 offset:2376
	s_waitcnt vmcnt(32)
	ds_write_b32 v67, v81 offset:2640
	s_waitcnt vmcnt(31)
	ds_write_b32 v67, v82 offset:2904
	s_waitcnt vmcnt(30)
	ds_write_b32 v67, v83 offset:3168
	;; [unrolled: 40-line block ×3, first 2 shown]
	s_waitcnt vmcnt(13)
	ds_write_b32 v67, v104 offset:3432
	s_waitcnt vmcnt(12)
	ds_write_b32 v67, v105 offset:3696
	;; [unrolled: 2-line block ×3, first 2 shown]
	ds_read_b64 v[88:89], v68
	ds_read_b64 v[90:91], v68 offset:32
	ds_read_b64 v[92:93], v68 offset:64
	;; [unrolled: 1-line block ×7, first 2 shown]
	ds_write_b32 v67, v58
	ds_write_b32 v67, v59 offset:264
	s_waitcnt vmcnt(10)
	ds_write_b32 v67, v107 offset:528
	s_waitcnt vmcnt(9)
	;; [unrolled: 2-line block ×11, first 2 shown]
	ds_write_b32 v67, v117 offset:3168
	ds_write_b32 v67, v19 offset:3432
	;; [unrolled: 1-line block ×4, first 2 shown]
	ds_read_b64 v[58:59], v68
	s_waitcnt lgkmcnt(0)
	v_mfma_f32_16x16x4_f32 v[8:11], v44, v58, v[8:11]
	v_add_u32_e32 v66, 0x1c0, v66
	v_cmp_le_i32_e32 vcc, s5, v66
	v_lshl_add_u64 v[24:25], v[24:25], 0, s[12:13]
	v_lshl_add_u64 v[26:27], v[26:27], 0, s[12:13]
	;; [unrolled: 1-line block ×3, first 2 shown]
	s_or_b64 s[8:9], vcc, s[8:9]
	v_lshl_add_u64 v[22:23], v[22:23], 0, s[12:13]
	v_mfma_f32_16x16x4_f32 v[4:7], v42, v58, v[4:7]
	v_mfma_f32_16x16x4_f32 v[0:3], v70, v58, v[0:3]
	;; [unrolled: 1-line block ×5, first 2 shown]
	ds_read_b64 v[42:43], v68 offset:32
	v_mfma_f32_16x16x4_f32 v[0:3], v71, v59, v[0:3]
	v_mfma_f32_16x16x4_f32 v[12:15], v89, v59, v[12:15]
	s_waitcnt lgkmcnt(0)
	v_mfma_f32_16x16x4_f32 v[8:11], v48, v42, v[8:11]
	v_mfma_f32_16x16x4_f32 v[4:7], v46, v42, v[4:7]
	v_mfma_f32_16x16x4_f32 v[0:3], v72, v42, v[0:3]
	v_mfma_f32_16x16x4_f32 v[12:15], v90, v42, v[12:15]
	v_mfma_f32_16x16x4_f32 v[8:11], v49, v43, v[8:11]
	v_mfma_f32_16x16x4_f32 v[4:7], v47, v43, v[4:7]
	v_mfma_f32_16x16x4_f32 v[0:3], v73, v43, v[0:3]
	v_mfma_f32_16x16x4_f32 v[12:15], v91, v43, v[12:15]
	ds_read_b64 v[42:43], v68 offset:64
	s_waitcnt lgkmcnt(0)
	v_mfma_f32_16x16x4_f32 v[8:11], v52, v42, v[8:11]
	v_mfma_f32_16x16x4_f32 v[4:7], v50, v42, v[4:7]
	v_mfma_f32_16x16x4_f32 v[0:3], v74, v42, v[0:3]
	v_mfma_f32_16x16x4_f32 v[12:15], v92, v42, v[12:15]
	v_mfma_f32_16x16x4_f32 v[8:11], v53, v43, v[8:11]
	v_mfma_f32_16x16x4_f32 v[4:7], v51, v43, v[4:7]
	v_mfma_f32_16x16x4_f32 v[0:3], v75, v43, v[0:3]
	v_mfma_f32_16x16x4_f32 v[12:15], v93, v43, v[12:15]
	ds_read_b64 v[42:43], v68 offset:96
	;; [unrolled: 10-line block ×4, first 2 shown]
	s_waitcnt lgkmcnt(0)
	v_mfma_f32_16x16x4_f32 v[8:11], v38, v42, v[8:11]
	v_mfma_f32_16x16x4_f32 v[4:7], v60, v42, v[4:7]
	;; [unrolled: 1-line block ×5, first 2 shown]
	ds_read_b64 v[38:39], v68 offset:192
	v_mfma_f32_16x16x4_f32 v[4:7], v61, v43, v[4:7]
	v_mfma_f32_16x16x4_f32 v[0:3], v81, v43, v[0:3]
	;; [unrolled: 1-line block ×3, first 2 shown]
	s_waitcnt lgkmcnt(0)
	v_mfma_f32_16x16x4_f32 v[8:11], v32, v38, v[8:11]
	v_mfma_f32_16x16x4_f32 v[4:7], v40, v38, v[4:7]
	;; [unrolled: 1-line block ×5, first 2 shown]
	ds_read_b64 v[32:33], v68 offset:224
	v_mfma_f32_16x16x4_f32 v[4:7], v41, v39, v[4:7]
	v_mfma_f32_16x16x4_f32 v[0:3], v83, v39, v[0:3]
	;; [unrolled: 1-line block ×3, first 2 shown]
	s_waitcnt lgkmcnt(0)
	v_mfma_f32_16x16x4_f32 v[8:11], v28, v32, v[8:11]
	v_mfma_f32_16x16x4_f32 v[4:7], v30, v32, v[4:7]
	;; [unrolled: 1-line block ×8, first 2 shown]
	s_andn2_b64 exec, exec, s[8:9]
	s_cbranch_execnz .LBB95_4
; %bb.5:
	s_or_b64 exec, exec, s[8:9]
.LBB95_6:
	s_or_b64 exec, exec, s[24:25]
	s_waitcnt lgkmcnt(0)
	s_mul_hi_i32 s1, s15, s4
	s_mul_i32 s0, s15, s4
	s_lshl_b64 s[0:1], s[0:1], 2
	s_mul_i32 s4, s11, s3
	s_add_u32 s3, s6, s0
	s_addc_u32 s6, s7, s1
	s_ashr_i32 s5, s4, 31
	v_lshl_add_u32 v16, v64, 2, 0
	v_mul_u32_u24_e32 v17, 0x708, v65
	v_and_b32_e32 v18, 0x3f0, v63
	s_lshl_b64 s[0:1], s[4:5], 2
	v_add3_u32 v16, v16, v17, v18
	s_add_u32 s0, s3, s0
	s_barrier
	s_movk_i32 s3, 0x708
	ds_write2_b32 v16, v8, v9 offset1:1
	ds_write2_b32 v16, v10, v11 offset0:2 offset1:3
	ds_write2_b32 v16, v4, v5 offset0:16 offset1:17
	;; [unrolled: 1-line block ×7, first 2 shown]
	v_lshl_add_u32 v2, v63, 2, 0
	v_mad_u32_u24 v3, v62, s3, v2
	s_waitcnt lgkmcnt(0)
	s_barrier
	ds_read2st64_b32 v[0:1], v3 offset1:1
	ds_read2st64_b32 v[4:5], v3 offset0:2 offset1:3
	ds_read2st64_b32 v[6:7], v3 offset0:4 offset1:5
	ds_read_b32 v3, v3 offset:1536
	s_addc_u32 s1, s6, s1
	v_cmp_gt_u32_e32 vcc, 6, v62
	s_waitcnt lgkmcnt(3)
	v_add_f32_e32 v0, 0, v0
	v_add_f32_e32 v0, v0, v1
	s_waitcnt lgkmcnt(2)
	v_add_f32_e32 v0, v0, v4
	v_add_f32_e32 v0, v0, v5
	;; [unrolled: 3-line block ×3, first 2 shown]
	s_waitcnt lgkmcnt(0)
	v_add_f32_e32 v3, v0, v3
	v_mul_lo_u32 v0, v62, s18
	v_add3_u32 v0, s2, v63, v0
	v_mov_b32_e32 v1, 0
	v_lshl_add_u64 v[4:5], v[0:1], 2, s[0:1]
	global_store_dword v[4:5], v3, off
	s_and_saveexec_b64 s[2:3], vcc
	s_cbranch_execz .LBB95_8
; %bb.7:
	v_mul_u32_u24_e32 v3, 0x708, v62
	v_add_u32_e32 v6, v3, v2
	v_add_u32_e32 v7, 56, v6
	ds_read2st64_b32 v[2:3], v7 offset0:49 offset1:50
	ds_read2st64_b32 v[4:5], v7 offset0:51 offset1:52
	ds_read_b32 v8, v6 offset:14136
	ds_read2st64_b32 v[6:7], v7 offset0:53 offset1:54
	s_waitcnt lgkmcnt(3)
	v_add_f32_e32 v2, 0, v2
	v_add_f32_e32 v2, v2, v3
	s_waitcnt lgkmcnt(2)
	v_add_f32_e32 v2, v2, v4
	v_add_f32_e32 v2, v2, v5
	;; [unrolled: 3-line block ×3, first 2 shown]
	v_add_f32_e32 v4, v2, v8
	v_mad_u64_u32 v[2:3], s[2:3], s18, 7, v[0:1]
	v_mov_b32_e32 v3, v1
	v_lshl_add_u64 v[0:1], v[2:3], 2, s[0:1]
	global_store_dword v[0:1], v4, off
.LBB95_8:
	s_endpgm
	.section	.rodata,"a",@progbits
	.p2align	6, 0x0
	.amdhsa_kernel _ZL9mul_mat_fIfLi64ELi13ELi7ELb0EEvPKT_PKfPKiPfiiiiiiiiiiiiiiii
		.amdhsa_group_segment_fixed_size 0
		.amdhsa_private_segment_fixed_size 0
		.amdhsa_kernarg_size 96
		.amdhsa_user_sgpr_count 2
		.amdhsa_user_sgpr_dispatch_ptr 0
		.amdhsa_user_sgpr_queue_ptr 0
		.amdhsa_user_sgpr_kernarg_segment_ptr 1
		.amdhsa_user_sgpr_dispatch_id 0
		.amdhsa_user_sgpr_kernarg_preload_length 0
		.amdhsa_user_sgpr_kernarg_preload_offset 0
		.amdhsa_user_sgpr_private_segment_size 0
		.amdhsa_uses_dynamic_stack 0
		.amdhsa_enable_private_segment 0
		.amdhsa_system_sgpr_workgroup_id_x 1
		.amdhsa_system_sgpr_workgroup_id_y 1
		.amdhsa_system_sgpr_workgroup_id_z 1
		.amdhsa_system_sgpr_workgroup_info 0
		.amdhsa_system_vgpr_workitem_id 1
		.amdhsa_next_free_vgpr 118
		.amdhsa_next_free_sgpr 91
		.amdhsa_accum_offset 120
		.amdhsa_reserve_vcc 1
		.amdhsa_float_round_mode_32 0
		.amdhsa_float_round_mode_16_64 0
		.amdhsa_float_denorm_mode_32 3
		.amdhsa_float_denorm_mode_16_64 3
		.amdhsa_dx10_clamp 1
		.amdhsa_ieee_mode 1
		.amdhsa_fp16_overflow 0
		.amdhsa_tg_split 0
		.amdhsa_exception_fp_ieee_invalid_op 0
		.amdhsa_exception_fp_denorm_src 0
		.amdhsa_exception_fp_ieee_div_zero 0
		.amdhsa_exception_fp_ieee_overflow 0
		.amdhsa_exception_fp_ieee_underflow 0
		.amdhsa_exception_fp_ieee_inexact 0
		.amdhsa_exception_int_div_zero 0
	.end_amdhsa_kernel
	.section	.text._ZL9mul_mat_fIfLi64ELi13ELi7ELb0EEvPKT_PKfPKiPfiiiiiiiiiiiiiiii,"axG",@progbits,_ZL9mul_mat_fIfLi64ELi13ELi7ELb0EEvPKT_PKfPKiPfiiiiiiiiiiiiiiii,comdat
.Lfunc_end95:
	.size	_ZL9mul_mat_fIfLi64ELi13ELi7ELb0EEvPKT_PKfPKiPfiiiiiiiiiiiiiiii, .Lfunc_end95-_ZL9mul_mat_fIfLi64ELi13ELi7ELb0EEvPKT_PKfPKiPfiiiiiiiiiiiiiiii
                                        ; -- End function
	.set _ZL9mul_mat_fIfLi64ELi13ELi7ELb0EEvPKT_PKfPKiPfiiiiiiiiiiiiiiii.num_vgpr, 118
	.set _ZL9mul_mat_fIfLi64ELi13ELi7ELb0EEvPKT_PKfPKiPfiiiiiiiiiiiiiiii.num_agpr, 0
	.set _ZL9mul_mat_fIfLi64ELi13ELi7ELb0EEvPKT_PKfPKiPfiiiiiiiiiiiiiiii.numbered_sgpr, 91
	.set _ZL9mul_mat_fIfLi64ELi13ELi7ELb0EEvPKT_PKfPKiPfiiiiiiiiiiiiiiii.num_named_barrier, 0
	.set _ZL9mul_mat_fIfLi64ELi13ELi7ELb0EEvPKT_PKfPKiPfiiiiiiiiiiiiiiii.private_seg_size, 0
	.set _ZL9mul_mat_fIfLi64ELi13ELi7ELb0EEvPKT_PKfPKiPfiiiiiiiiiiiiiiii.uses_vcc, 1
	.set _ZL9mul_mat_fIfLi64ELi13ELi7ELb0EEvPKT_PKfPKiPfiiiiiiiiiiiiiiii.uses_flat_scratch, 0
	.set _ZL9mul_mat_fIfLi64ELi13ELi7ELb0EEvPKT_PKfPKiPfiiiiiiiiiiiiiiii.has_dyn_sized_stack, 0
	.set _ZL9mul_mat_fIfLi64ELi13ELi7ELb0EEvPKT_PKfPKiPfiiiiiiiiiiiiiiii.has_recursion, 0
	.set _ZL9mul_mat_fIfLi64ELi13ELi7ELb0EEvPKT_PKfPKiPfiiiiiiiiiiiiiiii.has_indirect_call, 0
	.section	.AMDGPU.csdata,"",@progbits
; Kernel info:
; codeLenInByte = 5236
; TotalNumSgprs: 97
; NumVgprs: 118
; NumAgprs: 0
; TotalNumVgprs: 118
; ScratchSize: 0
; MemoryBound: 0
; FloatMode: 240
; IeeeMode: 1
; LDSByteSize: 0 bytes/workgroup (compile time only)
; SGPRBlocks: 12
; VGPRBlocks: 14
; NumSGPRsForWavesPerEU: 97
; NumVGPRsForWavesPerEU: 118
; AccumOffset: 120
; Occupancy: 4
; WaveLimiterHint : 0
; COMPUTE_PGM_RSRC2:SCRATCH_EN: 0
; COMPUTE_PGM_RSRC2:USER_SGPR: 2
; COMPUTE_PGM_RSRC2:TRAP_HANDLER: 0
; COMPUTE_PGM_RSRC2:TGID_X_EN: 1
; COMPUTE_PGM_RSRC2:TGID_Y_EN: 1
; COMPUTE_PGM_RSRC2:TGID_Z_EN: 1
; COMPUTE_PGM_RSRC2:TIDIG_COMP_CNT: 1
; COMPUTE_PGM_RSRC3_GFX90A:ACCUM_OFFSET: 29
; COMPUTE_PGM_RSRC3_GFX90A:TG_SPLIT: 0
	.section	.text._ZL13mul_mat_f_idsIfLi64ELi13ELi8EEvPKT_PKfPKiS6_S6_Pfiiiiiiiiiiiiii15HIP_vector_typeIjLj3EES9_,"axG",@progbits,_ZL13mul_mat_f_idsIfLi64ELi13ELi8EEvPKT_PKfPKiS6_S6_Pfiiiiiiiiiiiiii15HIP_vector_typeIjLj3EES9_,comdat
	.globl	_ZL13mul_mat_f_idsIfLi64ELi13ELi8EEvPKT_PKfPKiS6_S6_Pfiiiiiiiiiiiiii15HIP_vector_typeIjLj3EES9_ ; -- Begin function _ZL13mul_mat_f_idsIfLi64ELi13ELi8EEvPKT_PKfPKiS6_S6_Pfiiiiiiiiiiiiii15HIP_vector_typeIjLj3EES9_
	.p2align	8
	.type	_ZL13mul_mat_f_idsIfLi64ELi13ELi8EEvPKT_PKfPKiS6_S6_Pfiiiiiiiiiiiiii15HIP_vector_typeIjLj3EES9_,@function
_ZL13mul_mat_f_idsIfLi64ELi13ELi8EEvPKT_PKfPKiS6_S6_Pfiiiiiiiiiiiiii15HIP_vector_typeIjLj3EES9_: ; @_ZL13mul_mat_f_idsIfLi64ELi13ELi8EEvPKT_PKfPKiS6_S6_Pfiiiiiiiiiiiiii15HIP_vector_typeIjLj3EES9_
; %bb.0:
	s_load_dwordx2 s[6:7], s[0:1], 0x20
	s_mov_b32 s34, s3
	s_ashr_i32 s35, s3, 31
	s_lshl_b64 s[8:9], s[34:35], 2
	s_waitcnt lgkmcnt(0)
	s_add_u32 s6, s6, s8
	s_addc_u32 s7, s7, s9
	s_load_dwordx2 s[30:31], s[6:7], 0x0
	s_waitcnt lgkmcnt(0)
	s_sub_i32 s26, s31, s30
	s_add_i32 s3, s26, 12
	s_mul_hi_i32 s3, s3, 0x4ec4ec4f
	s_lshr_b32 s5, s3, 31
	s_ashr_i32 s3, s3, 2
	s_add_i32 s3, s3, s5
	s_cmp_ge_i32 s4, s3
	s_cbranch_scc1 .LBB96_53
; %bb.1:
	v_bfe_u32 v16, v0, 10, 10
	v_lshlrev_b32_e32 v86, 6, v16
	v_and_b32_e32 v17, 0x3ff, v0
	s_load_dwordx4 s[12:15], s[0:1], 0x30
	s_load_dwordx2 s[20:21], s[0:1], 0x40
	s_load_dwordx4 s[8:11], s[0:1], 0x4c
	s_load_dwordx4 s[16:19], s[0:1], 0x68
	s_load_dwordx2 s[24:25], s[0:1], 0x78
	v_add_u32_e32 v88, v86, v17
	s_ashr_i32 s31, s30, 31
	s_waitcnt lgkmcnt(0)
	v_cmp_le_i32_e32 vcc, s12, v88
	v_and_b32_e32 v87, 15, v17
	s_and_saveexec_b64 s[6:7], vcc
	s_xor_b64 s[6:7], exec, s[6:7]
; %bb.2:
	v_and_b32_e32 v87, 15, v17
                                        ; implicit-def: $vgpr88
; %bb.3:
	s_or_saveexec_b64 s[36:37], s[6:7]
	s_load_dwordx2 s[22:23], s[0:1], 0x18
	s_load_dwordx2 s[6:7], s[0:1], 0x28
                                        ; implicit-def: $vgpr106 : SGPR spill to VGPR lane
	v_mov_b32_e32 v11, 0
	s_lshl_b32 s11, s2, 6
	s_mul_i32 s28, s4, 13
	v_mov_b32_e32 v10, v11
	s_waitcnt lgkmcnt(0)
	v_writelane_b32 v106, s6, 0
	v_mov_b32_e32 v9, v11
	v_mov_b32_e32 v8, v11
	;; [unrolled: 1-line block ×14, first 2 shown]
	v_writelane_b32 v106, s7, 1
	s_xor_b64 exec, exec, s[36:37]
	s_cbranch_execz .LBB96_46
; %bb.4:
	s_load_dwordx4 s[4:7], s[0:1], 0x0
	s_load_dwordx2 s[2:3], s[0:1], 0x10
	v_writelane_b32 v106, s36, 2
	s_mul_i32 s0, s8, s34
	s_ashr_i32 s1, s0, 31
	v_writelane_b32 v106, s37, 3
	v_writelane_b32 v106, s22, 4
	s_lshl_b64 s[64:65], s[0:1], 2
	s_waitcnt lgkmcnt(0)
	s_add_u32 s0, s4, s64
	v_writelane_b32 v106, s23, 5
	s_mul_i32 s22, s15, s11
	v_writelane_b32 v106, s24, 6
	s_addc_u32 s1, s5, s65
	s_ashr_i32 s23, s22, 31
	v_writelane_b32 v106, s25, 7
	s_lshl_b64 s[66:67], s[22:23], 2
	v_writelane_b32 v106, s11, 8
	s_add_u32 s0, s0, s66
	s_addc_u32 s1, s1, s67
	v_writelane_b32 v106, s30, 9
	s_lshl_b64 s[22:23], s[30:31], 2
	s_add_u32 s8, s2, s22
	s_addc_u32 s11, s3, s23
	s_movk_i32 s2, 0x1080
	s_cmp_lt_i32 s28, s26
	v_writelane_b32 v106, s31, 10
	v_mad_u32_u24 v1, v16, s2, 0
	s_cselect_b64 s[2:3], -1, 0
	v_writelane_b32 v106, s2, 11
	s_ashr_i32 s29, s28, 31
	s_mov_b32 s22, s15
	v_writelane_b32 v106, s3, 12
	s_lshl_b64 s[2:3], s[28:29], 2
	s_add_u32 s36, s8, s2
	s_addc_u32 s37, s11, s3
	s_add_i32 s2, s28, 1
	s_cmp_lt_i32 s2, s26
	s_cselect_b64 s[2:3], -1, 0
	v_writelane_b32 v106, s2, 13
	v_lshrrev_b32_e32 v3, 1, v17
	v_lshlrev_b32_e32 v0, 2, v17
	v_writelane_b32 v106, s3, 14
	s_add_i32 s2, s28, 2
	s_cmp_lt_i32 s2, s26
	s_cselect_b64 s[2:3], -1, 0
	v_writelane_b32 v106, s2, 15
	v_mul_u32_u24_e32 v2, 0x108, v87
	v_and_b32_e32 v3, 0x1f8, v3
	v_writelane_b32 v106, s3, 16
	s_add_i32 s2, s28, 3
	s_cmp_lt_i32 s2, s26
	s_cselect_b64 s[2:3], -1, 0
	v_writelane_b32 v106, s2, 17
	v_lshlrev_b32_e32 v18, 8, v16
	v_mov_b32_e32 v19, 0
	v_writelane_b32 v106, s3, 18
	s_add_i32 s2, s28, 4
	s_cmp_lt_i32 s2, s26
	s_cselect_b64 s[2:3], -1, 0
	v_writelane_b32 v106, s2, 19
	v_add_u32_e32 v89, v1, v0
	v_add3_u32 v90, v1, v2, v3
	v_writelane_b32 v106, s3, 20
	s_add_i32 s2, s28, 5
	s_cmp_lt_i32 s2, s26
	s_cselect_b64 s[2:3], -1, 0
	v_writelane_b32 v106, s2, 21
	v_mov_b32_e32 v1, v19
	s_mul_i32 s8, s15, 3
	v_writelane_b32 v106, s3, 22
	s_add_i32 s2, s28, 6
	s_cmp_lt_i32 s2, s26
	s_cselect_b64 s[48:49], -1, 0
	s_add_i32 s2, s28, 7
	s_cmp_lt_i32 s2, s26
	s_cselect_b64 s[50:51], -1, 0
	;; [unrolled: 3-line block ×5, first 2 shown]
	s_add_i32 s2, s28, 11
	s_cmp_lt_i32 s2, s26
	s_mov_b32 s2, s28
	v_writelane_b32 v106, s2, 23
	s_cselect_b64 s[58:59], -1, 0
	s_mul_i32 s69, s15, 5
	v_writelane_b32 v106, s3, 24
	s_add_i32 s2, s28, 12
	s_cmp_lt_i32 s2, s26
	s_cselect_b64 s[60:61], -1, 0
	s_ashr_i32 s23, s15, 31
	s_add_i32 s3, s15, s15
	s_lshl_b32 s68, s15, 2
	s_lshl_b32 s72, s15, 3
	;; [unrolled: 1-line block ×4, first 2 shown]
	s_lshl_b64 s[62:63], s[22:23], 2
	s_add_u32 s22, s64, s66
	s_addc_u32 s23, s65, s67
	v_lshl_add_u64 v[2:3], s[22:23], 0, v[18:19]
	v_lshl_add_u64 v[0:1], v[2:3], 0, v[0:1]
	v_writelane_b32 v106, s26, 25
	s_mul_i32 s70, s15, 6
	s_mul_i32 s71, s15, 7
	;; [unrolled: 1-line block ×21, first 2 shown]
	v_lshl_add_u64 v[20:21], s[4:5], 0, v[0:1]
	v_mov_b32_e32 v12, 0
	v_mov_b32_e32 v13, v19
	;; [unrolled: 1-line block ×16, first 2 shown]
	s_mul_i32 s90, s15, 29
	s_mul_i32 s91, s15, 30
	;; [unrolled: 1-line block ×34, first 2 shown]
	s_mov_b64 s[4:5], 0
	s_branch .LBB96_6
.LBB96_5:                               ;   in Loop: Header=BB96_6 Depth=1
	s_waitcnt vmcnt(0)
	ds_write2_b32 v89, v18, v92 offset1:66
	ds_write2_b32 v89, v91, v94 offset0:132 offset1:198
	v_add_u32_e32 v18, 0x400, v89
	ds_write2_b32 v18, v93, v96 offset0:8 offset1:74
	ds_write2_b32 v18, v95, v98 offset0:140 offset1:206
	v_add_u32_e32 v18, 0x800, v89
	ds_write2_b32 v18, v97, v100 offset0:16 offset1:82
	;; [unrolled: 3-line block ×3, first 2 shown]
	ds_write2_b32 v18, v19, v19 offset0:156 offset1:222
	ds_read2_b64 v[92:95], v90 offset1:4
	v_add_u32_e32 v88, 0x200, v88
	s_waitcnt lgkmcnt(0)
	v_mfma_f32_16x16x4_f32 v[8:11], v52, v92, v[8:11]
	s_mov_b64 vcc, 0x800
	v_lshl_add_u64 v[20:21], v[20:21], 0, vcc
	v_cmp_le_i32_e32 vcc, s12, v88
	s_or_b64 s[4:5], vcc, s[4:5]
	v_mfma_f32_16x16x4_f32 v[4:7], v64, v92, v[4:7]
	v_mfma_f32_16x16x4_f32 v[0:3], v78, v92, v[0:3]
	v_mfma_f32_16x16x4_f32 v[12:15], v84, v92, v[12:15]
	v_mfma_f32_16x16x4_f32 v[8:11], v53, v93, v[8:11]
	v_mfma_f32_16x16x4_f32 v[4:7], v65, v93, v[4:7]
	v_mfma_f32_16x16x4_f32 v[0:3], v79, v93, v[0:3]
	v_mfma_f32_16x16x4_f32 v[12:15], v85, v93, v[12:15]
	v_mfma_f32_16x16x4_f32 v[8:11], v44, v94, v[8:11]
	v_mfma_f32_16x16x4_f32 v[4:7], v60, v94, v[4:7]
	v_mfma_f32_16x16x4_f32 v[0:3], v72, v94, v[0:3]
	v_mfma_f32_16x16x4_f32 v[12:15], v82, v94, v[12:15]
	v_mfma_f32_16x16x4_f32 v[8:11], v45, v95, v[8:11]
	v_mfma_f32_16x16x4_f32 v[4:7], v61, v95, v[4:7]
	v_mfma_f32_16x16x4_f32 v[0:3], v73, v95, v[0:3]
	v_mfma_f32_16x16x4_f32 v[12:15], v83, v95, v[12:15]
	ds_read2_b64 v[82:85], v90 offset0:8 offset1:12
	s_waitcnt lgkmcnt(0)
	v_mfma_f32_16x16x4_f32 v[8:11], v38, v82, v[8:11]
	v_mfma_f32_16x16x4_f32 v[4:7], v56, v82, v[4:7]
	;; [unrolled: 1-line block ×14, first 2 shown]
	ds_read2_b64 v[50:53], v90 offset0:16 offset1:20
	v_mfma_f32_16x16x4_f32 v[0:3], v63, v85, v[0:3]
	v_mfma_f32_16x16x4_f32 v[12:15], v77, v85, v[12:15]
	s_waitcnt lgkmcnt(0)
	v_mfma_f32_16x16x4_f32 v[8:11], v30, v50, v[8:11]
	v_mfma_f32_16x16x4_f32 v[4:7], v42, v50, v[4:7]
	;; [unrolled: 1-line block ×14, first 2 shown]
	ds_read2_b64 v[34:37], v90 offset0:24 offset1:28
	v_mfma_f32_16x16x4_f32 v[0:3], v55, v53, v[0:3]
	v_mfma_f32_16x16x4_f32 v[12:15], v71, v53, v[12:15]
	s_waitcnt lgkmcnt(0)
	v_mfma_f32_16x16x4_f32 v[8:11], v24, v34, v[8:11]
	v_mfma_f32_16x16x4_f32 v[4:7], v32, v34, v[4:7]
	;; [unrolled: 1-line block ×16, first 2 shown]
	s_andn2_b64 exec, exec, s[4:5]
	s_cbranch_execz .LBB96_45
.LBB96_6:                               ; =>This Inner Loop Header: Depth=1
	v_lshl_add_u64 v[22:23], v[20:21], 0, s[62:63]
	global_load_dword v18, v[20:21], off
	global_load_dword v48, v[22:23], off
	v_add_u32_e32 v22, s3, v88
	v_ashrrev_i32_e32 v23, 31, v22
	v_add_u32_e32 v24, s8, v88
	v_add_u32_e32 v26, s68, v88
	;; [unrolled: 1-line block ×5, first 2 shown]
	v_lshl_add_u64 v[22:23], v[22:23], 2, s[0:1]
	v_ashrrev_i32_e32 v25, 31, v24
	v_ashrrev_i32_e32 v27, 31, v26
	;; [unrolled: 1-line block ×5, first 2 shown]
	v_lshl_add_u64 v[24:25], v[24:25], 2, s[0:1]
	v_lshl_add_u64 v[26:27], v[26:27], 2, s[0:1]
	;; [unrolled: 1-line block ×5, first 2 shown]
	global_load_dword v49, v[22:23], off
	global_load_dword v50, v[24:25], off
	;; [unrolled: 1-line block ×6, first 2 shown]
	v_add_u32_e32 v22, s72, v88
	v_add_u32_e32 v40, s81, v88
	;; [unrolled: 1-line block ×10, first 2 shown]
	v_ashrrev_i32_e32 v23, 31, v22
	v_ashrrev_i32_e32 v41, 31, v40
	v_ashrrev_i32_e32 v25, 31, v24
	v_ashrrev_i32_e32 v27, 31, v26
	v_ashrrev_i32_e32 v29, 31, v28
	v_ashrrev_i32_e32 v31, 31, v30
	v_ashrrev_i32_e32 v33, 31, v32
	v_ashrrev_i32_e32 v35, 31, v34
	v_ashrrev_i32_e32 v37, 31, v36
	v_ashrrev_i32_e32 v39, 31, v38
	v_lshl_add_u64 v[22:23], v[22:23], 2, s[0:1]
	v_lshl_add_u64 v[40:41], v[40:41], 2, s[0:1]
	v_add_u32_e32 v42, s82, v88
	v_add_u32_e32 v46, s84, v88
	v_lshl_add_u64 v[24:25], v[24:25], 2, s[0:1]
	v_lshl_add_u64 v[26:27], v[26:27], 2, s[0:1]
	;; [unrolled: 1-line block ×8, first 2 shown]
	global_load_dword v55, v[22:23], off
	global_load_dword v56, v[24:25], off
	;; [unrolled: 1-line block ×9, first 2 shown]
	s_nop 0
	global_load_dword v40, v[40:41], off
	v_add_u32_e32 v22, s64, v88
	v_add_u32_e32 v44, s83, v88
	v_ashrrev_i32_e32 v43, 31, v42
	v_ashrrev_i32_e32 v47, 31, v46
	;; [unrolled: 1-line block ×3, first 2 shown]
	v_add_u32_e32 v24, s65, v88
	v_add_u32_e32 v26, s66, v88
	;; [unrolled: 1-line block ×4, first 2 shown]
	v_ashrrev_i32_e32 v45, 31, v44
	v_lshl_add_u64 v[42:43], v[42:43], 2, s[0:1]
	v_lshl_add_u64 v[46:47], v[46:47], 2, s[0:1]
	v_lshl_add_u64 v[22:23], v[22:23], 2, s[0:1]
	v_ashrrev_i32_e32 v25, 31, v24
	v_ashrrev_i32_e32 v27, 31, v26
	;; [unrolled: 1-line block ×4, first 2 shown]
	v_lshl_add_u64 v[44:45], v[44:45], 2, s[0:1]
	v_lshl_add_u64 v[24:25], v[24:25], 2, s[0:1]
	;; [unrolled: 1-line block ×5, first 2 shown]
	v_add_u32_e32 v32, s92, v88
	v_add_u32_e32 v34, s85, v88
	;; [unrolled: 1-line block ×3, first 2 shown]
	v_ashrrev_i32_e32 v33, 31, v32
	v_ashrrev_i32_e32 v35, 31, v34
	;; [unrolled: 1-line block ×3, first 2 shown]
	v_lshl_add_u64 v[32:33], v[32:33], 2, s[0:1]
	s_waitcnt vmcnt(17)
	ds_write_b32 v89, v18
	s_waitcnt vmcnt(16)
	ds_write_b32 v89, v48 offset:264
	s_waitcnt vmcnt(15)
	ds_write_b32 v89, v49 offset:528
	;; [unrolled: 2-line block ×7, first 2 shown]
	global_load_dword v18, v[42:43], off
	global_load_dword v41, v[44:45], off
	s_nop 0
	global_load_dword v42, v[46:47], off
	global_load_dword v43, v[22:23], off
	s_nop 0
	global_load_dword v46, v[24:25], off
	global_load_dword v47, v[26:27], off
	;; [unrolled: 1-line block ×4, first 2 shown]
	v_add_u32_e32 v22, s87, v88
	v_ashrrev_i32_e32 v23, 31, v22
	v_add_u32_e32 v24, s88, v88
	v_add_u32_e32 v26, s89, v88
	;; [unrolled: 1-line block ×4, first 2 shown]
	v_lshl_add_u64 v[22:23], v[22:23], 2, s[0:1]
	v_ashrrev_i32_e32 v25, 31, v24
	v_ashrrev_i32_e32 v27, 31, v26
	;; [unrolled: 1-line block ×4, first 2 shown]
	v_lshl_add_u64 v[24:25], v[24:25], 2, s[0:1]
	v_lshl_add_u64 v[26:27], v[26:27], 2, s[0:1]
	v_lshl_add_u64 v[28:29], v[28:29], 2, s[0:1]
	v_lshl_add_u64 v[30:31], v[30:31], 2, s[0:1]
	v_lshl_add_u64 v[34:35], v[34:35], 2, s[0:1]
	v_lshl_add_u64 v[36:37], v[36:37], 2, s[0:1]
	global_load_dword v50, v[22:23], off
	global_load_dword v51, v[24:25], off
	global_load_dword v54, v[26:27], off
	global_load_dword v64, v[28:29], off
	global_load_dword v65, v[30:31], off
	global_load_dword v66, v[32:33], off
	global_load_dword v67, v[34:35], off
	global_load_dword v68, v[36:37], off
	v_add_u32_e32 v22, s94, v88
	v_ashrrev_i32_e32 v23, 31, v22
	v_add_u32_e32 v24, s95, v88
	v_add_u32_e32 v26, s96, v88
	v_add_u32_e32 v28, s97, v88
	v_add_u32_e32 v30, s98, v88
	v_add_u32_e32 v32, s99, v88
	v_add_u32_e32 v34, s24, v88
	v_add_u32_e32 v36, s25, v88
	v_lshl_add_u64 v[22:23], v[22:23], 2, s[0:1]
	v_ashrrev_i32_e32 v25, 31, v24
	v_ashrrev_i32_e32 v27, 31, v26
	v_ashrrev_i32_e32 v29, 31, v28
	v_ashrrev_i32_e32 v31, 31, v30
	v_ashrrev_i32_e32 v33, 31, v32
	v_ashrrev_i32_e32 v35, 31, v34
	v_ashrrev_i32_e32 v37, 31, v36
	v_lshl_add_u64 v[24:25], v[24:25], 2, s[0:1]
	v_lshl_add_u64 v[26:27], v[26:27], 2, s[0:1]
	v_lshl_add_u64 v[28:29], v[28:29], 2, s[0:1]
	v_lshl_add_u64 v[30:31], v[30:31], 2, s[0:1]
	v_lshl_add_u64 v[32:33], v[32:33], 2, s[0:1]
	v_lshl_add_u64 v[34:35], v[34:35], 2, s[0:1]
	v_lshl_add_u64 v[36:37], v[36:37], 2, s[0:1]
	global_load_dword v69, v[22:23], off
	global_load_dword v70, v[24:25], off
	global_load_dword v71, v[26:27], off
	global_load_dword v72, v[28:29], off
	global_load_dword v73, v[30:31], off
	global_load_dword v74, v[32:33], off
	global_load_dword v75, v[34:35], off
	global_load_dword v76, v[36:37], off
	v_add_u32_e32 v22, s22, v88
	v_ashrrev_i32_e32 v23, 31, v22
	v_add_u32_e32 v24, s23, v88
	v_add_u32_e32 v26, s11, v88
	v_add_u32_e32 v28, s28, v88
	v_add_u32_e32 v30, s29, v88
	v_add_u32_e32 v32, s30, v88
	v_add_u32_e32 v34, s31, v88
	v_add_u32_e32 v36, s26, v88
	v_lshl_add_u64 v[22:23], v[22:23], 2, s[0:1]
	v_ashrrev_i32_e32 v25, 31, v24
	v_ashrrev_i32_e32 v27, 31, v26
	v_ashrrev_i32_e32 v29, 31, v28
	v_ashrrev_i32_e32 v31, 31, v30
	v_ashrrev_i32_e32 v33, 31, v32
	v_ashrrev_i32_e32 v35, 31, v34
	v_ashrrev_i32_e32 v37, 31, v36
	v_lshl_add_u64 v[24:25], v[24:25], 2, s[0:1]
	;; [unrolled: 32-line block ×3, first 2 shown]
	v_lshl_add_u64 v[26:27], v[26:27], 2, s[0:1]
	v_lshl_add_u64 v[28:29], v[28:29], 2, s[0:1]
	;; [unrolled: 1-line block ×6, first 2 shown]
	global_load_dword v85, v[22:23], off
	global_load_dword v91, v[24:25], off
	;; [unrolled: 1-line block ×8, first 2 shown]
	v_add_u32_e32 v22, s41, v88
	v_ashrrev_i32_e32 v23, 31, v22
	v_add_u32_e32 v24, s42, v88
	v_add_u32_e32 v26, s43, v88
	;; [unrolled: 1-line block ×5, first 2 shown]
	v_lshl_add_u64 v[22:23], v[22:23], 2, s[0:1]
	v_ashrrev_i32_e32 v25, 31, v24
	v_ashrrev_i32_e32 v27, 31, v26
	;; [unrolled: 1-line block ×5, first 2 shown]
	v_lshl_add_u64 v[24:25], v[24:25], 2, s[0:1]
	v_lshl_add_u64 v[26:27], v[26:27], 2, s[0:1]
	;; [unrolled: 1-line block ×5, first 2 shown]
	global_load_dword v98, v[22:23], off
	global_load_dword v99, v[24:25], off
	;; [unrolled: 1-line block ×6, first 2 shown]
	s_waitcnt vmcnt(55)
	ds_write_b32 v89, v55 offset:2112
	s_waitcnt vmcnt(54)
	ds_write_b32 v89, v56 offset:2376
	s_waitcnt vmcnt(53)
	ds_write_b32 v89, v57 offset:2640
	s_waitcnt vmcnt(52)
	ds_write_b32 v89, v58 offset:2904
	s_waitcnt vmcnt(51)
	ds_write_b32 v89, v59 offset:3168
	s_waitcnt vmcnt(50)
	ds_write_b32 v89, v60 offset:3432
	s_waitcnt vmcnt(49)
	ds_write_b32 v89, v61 offset:3696
	s_waitcnt vmcnt(48)
	ds_write_b32 v89, v62 offset:3960
	ds_read_b64 v[52:53], v90
	ds_read_b64 v[44:45], v90 offset:32
	ds_read_b64 v[38:39], v90 offset:64
	ds_read_b64 v[34:35], v90 offset:96
	ds_read_b64 v[30:31], v90 offset:128
	ds_read_b64 v[26:27], v90 offset:160
	ds_read_b64 v[24:25], v90 offset:192
	ds_read_b64 v[22:23], v90 offset:224
	s_waitcnt vmcnt(47)
	ds_write_b32 v89, v63
	s_waitcnt vmcnt(46)
	ds_write_b32 v89, v40 offset:264
	s_waitcnt vmcnt(45)
	ds_write_b32 v89, v18 offset:528
	s_waitcnt vmcnt(44)
	ds_write_b32 v89, v41 offset:792
	s_waitcnt vmcnt(43)
	ds_write_b32 v89, v42 offset:1056
	s_waitcnt vmcnt(42)
	ds_write_b32 v89, v43 offset:1320
	s_waitcnt vmcnt(41)
	ds_write_b32 v89, v46 offset:1584
	s_waitcnt vmcnt(40)
	ds_write_b32 v89, v47 offset:1848
	s_waitcnt vmcnt(39)
	ds_write_b32 v89, v48 offset:2112
	s_waitcnt vmcnt(38)
	ds_write_b32 v89, v49 offset:2376
	s_waitcnt vmcnt(37)
	ds_write_b32 v89, v50 offset:2640
	s_waitcnt vmcnt(36)
	ds_write_b32 v89, v51 offset:2904
	s_waitcnt vmcnt(35)
	ds_write_b32 v89, v54 offset:3168
	s_waitcnt vmcnt(34)
	ds_write_b32 v89, v64 offset:3432
	s_waitcnt vmcnt(33)
	ds_write_b32 v89, v65 offset:3696
	s_waitcnt vmcnt(32)
	ds_write_b32 v89, v66 offset:3960
	ds_read_b64 v[64:65], v90
	ds_read_b64 v[60:61], v90 offset:32
	ds_read_b64 v[56:57], v90 offset:64
	ds_read_b64 v[50:51], v90 offset:96
	ds_read_b64 v[42:43], v90 offset:128
	ds_read_b64 v[36:37], v90 offset:160
	ds_read_b64 v[32:33], v90 offset:192
	ds_read_b64 v[28:29], v90 offset:224
	s_waitcnt vmcnt(31)
	ds_write_b32 v89, v67
	s_waitcnt vmcnt(30)
	ds_write_b32 v89, v68 offset:264
	s_waitcnt vmcnt(29)
	ds_write_b32 v89, v69 offset:528
	s_waitcnt vmcnt(28)
	ds_write_b32 v89, v70 offset:792
	s_waitcnt vmcnt(27)
	ds_write_b32 v89, v71 offset:1056
	s_waitcnt vmcnt(26)
	ds_write_b32 v89, v72 offset:1320
	s_waitcnt vmcnt(25)
	ds_write_b32 v89, v73 offset:1584
	s_waitcnt vmcnt(24)
	ds_write_b32 v89, v74 offset:1848
	;; [unrolled: 40-line block ×3, first 2 shown]
	s_waitcnt vmcnt(7)
	ds_write_b32 v89, v96 offset:2112
	s_waitcnt vmcnt(6)
	ds_write_b32 v89, v97 offset:2376
	;; [unrolled: 2-line block ×8, first 2 shown]
	ds_read_b64 v[84:85], v90
	ds_read_b64 v[82:83], v90 offset:32
	ds_read_b64 v[80:81], v90 offset:64
	;; [unrolled: 1-line block ×7, first 2 shown]
	v_readlane_b32 s46, v106, 11
	v_readlane_b32 s47, v106, 12
	s_andn2_b64 vcc, exec, s[46:47]
	v_mov_b32_e32 v18, 0
	s_cbranch_vccnz .LBB96_9
; %bb.7:                                ;   in Loop: Header=BB96_6 Depth=1
	s_load_dword vcc_lo, s[36:37], 0x0
	v_mov_b32_e32 v18, 0
	s_waitcnt lgkmcnt(0)
	s_mul_hi_u32 vcc_hi, vcc_lo, s16
	s_add_i32 vcc_hi, vcc_lo, vcc_hi
	s_lshr_b32 s46, vcc_hi, s17
	s_cmp_ge_i32 s46, s13
	s_cbranch_scc1 .LBB96_9
; %bb.8:                                ;   in Loop: Header=BB96_6 Depth=1
	s_mul_i32 vcc_hi, s46, s18
	s_sub_i32 s47, vcc_lo, vcc_hi
	s_mul_i32 s47, s47, s9
	s_mul_i32 s46, s46, s20
	s_add_i32 s46, s46, s47
	v_add_u32_e32 v92, s46, v88
	v_ashrrev_i32_e32 v93, 31, v92
	v_lshl_add_u64 v[92:93], v[92:93], 2, s[6:7]
	global_load_dword v18, v[92:93], off
.LBB96_9:                               ;   in Loop: Header=BB96_6 Depth=1
	v_readlane_b32 s46, v106, 13
	v_readlane_b32 s47, v106, 14
	v_mov_b32_e32 v91, 0
	s_andn2_b64 vcc, exec, s[46:47]
	v_mov_b32_e32 v92, 0
	s_cbranch_vccnz .LBB96_12
; %bb.10:                               ;   in Loop: Header=BB96_6 Depth=1
	s_load_dword vcc_lo, s[36:37], 0x4
	v_mov_b32_e32 v92, 0
	s_waitcnt lgkmcnt(0)
	s_mul_hi_u32 s46, vcc_lo, s16
	s_add_i32 s46, vcc_lo, s46
	s_lshr_b32 vcc_hi, s46, s17
	s_cmp_ge_i32 vcc_hi, s13
	s_cbranch_scc1 .LBB96_12
; %bb.11:                               ;   in Loop: Header=BB96_6 Depth=1
	s_mul_i32 s46, vcc_hi, s18
	s_sub_i32 s46, vcc_lo, s46
	s_mul_i32 s46, s46, s9
	s_mul_i32 s47, vcc_hi, s20
	s_add_i32 s47, s47, s46
	v_add_u32_e32 v92, s47, v88
	v_ashrrev_i32_e32 v93, 31, v92
	v_lshl_add_u64 v[92:93], v[92:93], 2, s[6:7]
	global_load_dword v92, v[92:93], off
.LBB96_12:                              ;   in Loop: Header=BB96_6 Depth=1
	v_readlane_b32 s46, v106, 15
	v_readlane_b32 s47, v106, 16
	s_andn2_b64 vcc, exec, s[46:47]
	s_cbranch_vccnz .LBB96_15
; %bb.13:                               ;   in Loop: Header=BB96_6 Depth=1
	s_load_dword vcc_lo, s[36:37], 0x8
	v_mov_b32_e32 v91, 0
	s_waitcnt lgkmcnt(0)
	s_mul_hi_u32 s46, vcc_lo, s16
	s_add_i32 s46, vcc_lo, s46
	s_lshr_b32 vcc_hi, s46, s17
	s_cmp_ge_i32 vcc_hi, s13
	s_cbranch_scc1 .LBB96_15
; %bb.14:                               ;   in Loop: Header=BB96_6 Depth=1
	s_mul_i32 s46, vcc_hi, s18
	s_sub_i32 s46, vcc_lo, s46
	s_mul_i32 s46, s46, s9
	s_mul_i32 s47, vcc_hi, s20
	s_add_i32 s47, s47, s46
	v_add_u32_e32 v94, s47, v88
	v_ashrrev_i32_e32 v95, 31, v94
	v_lshl_add_u64 v[94:95], v[94:95], 2, s[6:7]
	global_load_dword v91, v[94:95], off
.LBB96_15:                              ;   in Loop: Header=BB96_6 Depth=1
	v_readlane_b32 s46, v106, 17
	v_readlane_b32 s47, v106, 18
	v_mov_b32_e32 v93, 0
	s_andn2_b64 vcc, exec, s[46:47]
	v_mov_b32_e32 v94, 0
	s_cbranch_vccnz .LBB96_18
; %bb.16:                               ;   in Loop: Header=BB96_6 Depth=1
	s_load_dword vcc_lo, s[36:37], 0xc
	v_mov_b32_e32 v94, 0
	s_waitcnt lgkmcnt(0)
	s_mul_hi_u32 s46, vcc_lo, s16
	s_add_i32 s46, vcc_lo, s46
	s_lshr_b32 vcc_hi, s46, s17
	s_cmp_ge_i32 vcc_hi, s13
	s_cbranch_scc1 .LBB96_18
; %bb.17:                               ;   in Loop: Header=BB96_6 Depth=1
	s_mul_i32 s46, vcc_hi, s18
	s_sub_i32 s46, vcc_lo, s46
	s_mul_i32 s46, s46, s9
	s_mul_i32 s47, vcc_hi, s20
	s_add_i32 s47, s47, s46
	v_add_u32_e32 v94, s47, v88
	v_ashrrev_i32_e32 v95, 31, v94
	v_lshl_add_u64 v[94:95], v[94:95], 2, s[6:7]
	global_load_dword v94, v[94:95], off
.LBB96_18:                              ;   in Loop: Header=BB96_6 Depth=1
	v_readlane_b32 s46, v106, 19
	v_readlane_b32 s47, v106, 20
	s_andn2_b64 vcc, exec, s[46:47]
	s_cbranch_vccnz .LBB96_21
; %bb.19:                               ;   in Loop: Header=BB96_6 Depth=1
	s_load_dword vcc_lo, s[36:37], 0x10
	v_mov_b32_e32 v93, 0
	s_waitcnt lgkmcnt(0)
	s_mul_hi_u32 s46, vcc_lo, s16
	s_add_i32 s46, vcc_lo, s46
	s_lshr_b32 vcc_hi, s46, s17
	s_cmp_ge_i32 vcc_hi, s13
	s_cbranch_scc1 .LBB96_21
; %bb.20:                               ;   in Loop: Header=BB96_6 Depth=1
	s_mul_i32 s46, vcc_hi, s18
	s_sub_i32 s46, vcc_lo, s46
	s_mul_i32 s46, s46, s9
	s_mul_i32 s47, vcc_hi, s20
	s_add_i32 s47, s47, s46
	v_add_u32_e32 v96, s47, v88
	v_ashrrev_i32_e32 v97, 31, v96
	v_lshl_add_u64 v[96:97], v[96:97], 2, s[6:7]
	global_load_dword v93, v[96:97], off
.LBB96_21:                              ;   in Loop: Header=BB96_6 Depth=1
	v_readlane_b32 s46, v106, 21
	v_readlane_b32 s47, v106, 22
	v_mov_b32_e32 v95, 0
	s_andn2_b64 vcc, exec, s[46:47]
	v_mov_b32_e32 v96, 0
	s_cbranch_vccnz .LBB96_24
; %bb.22:                               ;   in Loop: Header=BB96_6 Depth=1
	s_load_dword vcc_lo, s[36:37], 0x14
	v_mov_b32_e32 v96, 0
	s_waitcnt lgkmcnt(0)
	s_mul_hi_u32 s46, vcc_lo, s16
	s_add_i32 s46, vcc_lo, s46
	s_lshr_b32 vcc_hi, s46, s17
	s_cmp_ge_i32 vcc_hi, s13
	s_cbranch_scc1 .LBB96_24
; %bb.23:                               ;   in Loop: Header=BB96_6 Depth=1
	s_mul_i32 s46, vcc_hi, s18
	s_sub_i32 s46, vcc_lo, s46
	s_mul_i32 s46, s46, s9
	s_mul_i32 s47, vcc_hi, s20
	s_add_i32 s47, s47, s46
	v_add_u32_e32 v96, s47, v88
	v_ashrrev_i32_e32 v97, 31, v96
	v_lshl_add_u64 v[96:97], v[96:97], 2, s[6:7]
	global_load_dword v96, v[96:97], off
.LBB96_24:                              ;   in Loop: Header=BB96_6 Depth=1
	s_andn2_b64 vcc, exec, s[48:49]
	s_cbranch_vccnz .LBB96_27
; %bb.25:                               ;   in Loop: Header=BB96_6 Depth=1
	s_load_dword vcc_lo, s[36:37], 0x18
	v_mov_b32_e32 v95, 0
	s_waitcnt lgkmcnt(0)
	s_mul_hi_u32 s46, vcc_lo, s16
	s_add_i32 s46, vcc_lo, s46
	s_lshr_b32 vcc_hi, s46, s17
	s_cmp_ge_i32 vcc_hi, s13
	s_cbranch_scc1 .LBB96_27
; %bb.26:                               ;   in Loop: Header=BB96_6 Depth=1
	s_mul_i32 s46, vcc_hi, s18
	s_sub_i32 s46, vcc_lo, s46
	s_mul_i32 s46, s46, s9
	s_mul_i32 s47, vcc_hi, s20
	s_add_i32 s47, s47, s46
	v_add_u32_e32 v98, s47, v88
	v_ashrrev_i32_e32 v99, 31, v98
	v_lshl_add_u64 v[98:99], v[98:99], 2, s[6:7]
	global_load_dword v95, v[98:99], off
.LBB96_27:                              ;   in Loop: Header=BB96_6 Depth=1
	v_mov_b32_e32 v97, 0
	s_andn2_b64 vcc, exec, s[50:51]
	v_mov_b32_e32 v98, 0
	s_cbranch_vccnz .LBB96_30
; %bb.28:                               ;   in Loop: Header=BB96_6 Depth=1
	s_load_dword vcc_lo, s[36:37], 0x1c
	v_mov_b32_e32 v98, 0
	s_waitcnt lgkmcnt(0)
	s_mul_hi_u32 s46, vcc_lo, s16
	s_add_i32 s46, vcc_lo, s46
	s_lshr_b32 vcc_hi, s46, s17
	s_cmp_ge_i32 vcc_hi, s13
	s_cbranch_scc1 .LBB96_30
; %bb.29:                               ;   in Loop: Header=BB96_6 Depth=1
	s_mul_i32 s46, vcc_hi, s18
	s_sub_i32 s46, vcc_lo, s46
	s_mul_i32 s46, s46, s9
	s_mul_i32 s47, vcc_hi, s20
	s_add_i32 s47, s47, s46
	v_add_u32_e32 v98, s47, v88
	v_ashrrev_i32_e32 v99, 31, v98
	v_lshl_add_u64 v[98:99], v[98:99], 2, s[6:7]
	global_load_dword v98, v[98:99], off
.LBB96_30:                              ;   in Loop: Header=BB96_6 Depth=1
	s_andn2_b64 vcc, exec, s[52:53]
	s_cbranch_vccnz .LBB96_33
; %bb.31:                               ;   in Loop: Header=BB96_6 Depth=1
	s_load_dword vcc_lo, s[36:37], 0x20
	v_mov_b32_e32 v97, 0
	s_waitcnt lgkmcnt(0)
	s_mul_hi_u32 s46, vcc_lo, s16
	s_add_i32 s46, vcc_lo, s46
	s_lshr_b32 vcc_hi, s46, s17
	s_cmp_ge_i32 vcc_hi, s13
	s_cbranch_scc1 .LBB96_33
; %bb.32:                               ;   in Loop: Header=BB96_6 Depth=1
	s_mul_i32 s46, vcc_hi, s18
	s_sub_i32 s46, vcc_lo, s46
	s_mul_i32 s46, s46, s9
	s_mul_i32 s47, vcc_hi, s20
	s_add_i32 s47, s47, s46
	v_add_u32_e32 v100, s47, v88
	v_ashrrev_i32_e32 v101, 31, v100
	v_lshl_add_u64 v[100:101], v[100:101], 2, s[6:7]
	global_load_dword v97, v[100:101], off
.LBB96_33:                              ;   in Loop: Header=BB96_6 Depth=1
	;; [unrolled: 46-line block ×3, first 2 shown]
	v_mov_b32_e32 v101, 0
	s_andn2_b64 vcc, exec, s[58:59]
	v_mov_b32_e32 v102, 0
	s_cbranch_vccnz .LBB96_42
; %bb.40:                               ;   in Loop: Header=BB96_6 Depth=1
	s_load_dword vcc_lo, s[36:37], 0x2c
	v_mov_b32_e32 v102, 0
	s_waitcnt lgkmcnt(0)
	s_mul_hi_u32 s46, vcc_lo, s16
	s_add_i32 s46, vcc_lo, s46
	s_lshr_b32 vcc_hi, s46, s17
	s_cmp_ge_i32 vcc_hi, s13
	s_cbranch_scc1 .LBB96_42
; %bb.41:                               ;   in Loop: Header=BB96_6 Depth=1
	s_mul_i32 s46, vcc_hi, s18
	s_sub_i32 s46, vcc_lo, s46
	s_mul_i32 s46, s46, s9
	s_mul_i32 s47, vcc_hi, s20
	s_add_i32 s47, s47, s46
	v_add_u32_e32 v102, s47, v88
	v_ashrrev_i32_e32 v103, 31, v102
	v_lshl_add_u64 v[102:103], v[102:103], 2, s[6:7]
	global_load_dword v102, v[102:103], off
.LBB96_42:                              ;   in Loop: Header=BB96_6 Depth=1
	s_andn2_b64 vcc, exec, s[60:61]
	s_cbranch_vccnz .LBB96_5
; %bb.43:                               ;   in Loop: Header=BB96_6 Depth=1
	s_load_dword vcc_lo, s[36:37], 0x30
	v_mov_b32_e32 v101, 0
	s_waitcnt lgkmcnt(0)
	s_mul_hi_u32 s46, vcc_lo, s16
	s_add_i32 s46, vcc_lo, s46
	s_lshr_b32 vcc_hi, s46, s17
	s_cmp_ge_i32 vcc_hi, s13
	s_cbranch_scc1 .LBB96_5
; %bb.44:                               ;   in Loop: Header=BB96_6 Depth=1
	s_mul_i32 s46, vcc_hi, s18
	s_sub_i32 s46, vcc_lo, s46
	s_mul_i32 s46, s46, s9
	s_mul_i32 s47, vcc_hi, s20
	s_add_i32 s47, s47, s46
	v_add_u32_e32 v104, s47, v88
	v_ashrrev_i32_e32 v105, 31, v104
	v_lshl_add_u64 v[104:105], v[104:105], 2, s[6:7]
	global_load_dword v101, v[104:105], off
	s_branch .LBB96_5
.LBB96_45:
	s_or_b64 exec, exec, s[4:5]
	v_readlane_b32 s24, v106, 6
	v_readlane_b32 s30, v106, 9
	;; [unrolled: 1-line block ×12, first 2 shown]
.LBB96_46:
	s_or_b64 exec, exec, s[36:37]
	s_lshl_b64 s[0:1], s[30:31], 2
	s_add_u32 s4, s22, s0
	v_lshl_add_u32 v18, v86, 2, 0
	v_mul_u32_u24_e32 v19, 0x808, v87
	v_and_b32_e32 v20, 0x3f0, v17
	s_addc_u32 s5, s23, s1
	v_add3_u32 v18, v18, v19, v20
	s_barrier
	ds_write2_b32 v18, v8, v9 offset1:1
	ds_write2_b32 v18, v10, v11 offset0:2 offset1:3
	ds_write2_b32 v18, v4, v5 offset0:16 offset1:17
	;; [unrolled: 1-line block ×7, first 2 shown]
	s_cmp_gt_i32 s14, 0
	v_add_u32_e32 v0, s28, v16
	s_cselect_b64 s[6:7], -1, 0
	v_cmp_gt_i32_e64 s[0:1], s26, v0
	v_cmp_gt_u32_e32 vcc, 13, v16
	s_and_b64 s[0:1], s[6:7], s[0:1]
	v_lshl_add_u32 v3, v17, 2, 0
	v_add_u32_e32 v2, s11, v17
	s_and_b64 s[2:3], vcc, s[0:1]
	s_waitcnt lgkmcnt(0)
	s_barrier
	s_and_saveexec_b64 s[0:1], s[2:3]
	s_cbranch_execz .LBB96_49
; %bb.47:
	v_ashrrev_i32_e32 v1, 31, v0
	v_lshl_add_u64 v[0:1], v[0:1], 2, s[4:5]
	global_load_dword v0, v[0:1], off
	s_waitcnt vmcnt(0)
	v_mul_hi_u32 v1, v0, s19
	v_add_u32_e32 v1, v0, v1
	v_lshrrev_b32_e32 v1, s24, v1
	v_cmp_gt_i32_e32 vcc, s13, v1
	s_and_b64 exec, exec, vcc
	s_cbranch_execz .LBB96_49
; %bb.48:
	s_movk_i32 s2, 0x808
	v_mad_u32_u24 v10, v16, s2, v3
	ds_read2st64_b32 v[4:5], v10 offset1:1
	ds_read2st64_b32 v[6:7], v10 offset0:2 offset1:3
	ds_read2st64_b32 v[8:9], v10 offset0:4 offset1:5
	;; [unrolled: 1-line block ×3, first 2 shown]
	v_mul_lo_u32 v12, v1, s25
	v_sub_u32_e32 v0, v0, v12
	v_mul_lo_u32 v0, v0, s10
	s_waitcnt lgkmcnt(3)
	v_add_f32_e32 v4, 0, v4
	v_add_f32_e32 v4, v4, v5
	s_waitcnt lgkmcnt(2)
	v_add_f32_e32 v4, v4, v6
	v_add_f32_e32 v4, v4, v7
	s_waitcnt lgkmcnt(1)
	v_add_f32_e32 v4, v4, v8
	v_add_f32_e32 v4, v4, v9
	v_mul_lo_u32 v1, v1, s21
	v_readlane_b32 s2, v106, 0
	s_waitcnt lgkmcnt(0)
	v_add_f32_e32 v4, v4, v10
	v_add3_u32 v0, v2, v1, v0
	v_mov_b32_e32 v1, 0
	v_readlane_b32 s3, v106, 1
	v_add_f32_e32 v4, v4, v11
	s_nop 0
	v_lshl_add_u64 v[0:1], v[0:1], 2, s[2:3]
	global_store_dword v[0:1], v4, off
.LBB96_49:
	s_or_b64 exec, exec, s[0:1]
	v_cmp_gt_u32_e32 vcc, 5, v16
	s_and_saveexec_b64 s[0:1], vcc
	s_cbranch_execz .LBB96_53
; %bb.50:
	v_or_b32_e32 v4, 8, v16
	v_add_u32_e32 v0, s28, v4
	v_cmp_gt_i32_e32 vcc, s26, v0
	s_and_b64 s[0:1], s[6:7], vcc
	s_and_b64 exec, exec, s[0:1]
	s_cbranch_execz .LBB96_53
; %bb.51:
	s_ashr_i32 s29, s28, 31
	v_mov_b32_e32 v17, 0
	v_lshl_add_u64 v[0:1], v[16:17], 0, s[28:29]
	v_lshl_add_u64 v[0:1], v[0:1], 2, s[4:5]
	global_load_dword v0, v[0:1], off offset:32
	s_waitcnt vmcnt(0)
	v_mul_hi_u32 v1, v0, s19
	v_add_u32_e32 v1, v0, v1
	v_lshrrev_b32_e32 v1, s24, v1
	v_cmp_gt_i32_e32 vcc, s13, v1
	s_and_b64 exec, exec, vcc
	s_cbranch_execz .LBB96_53
; %bb.52:
	s_movk_i32 s0, 0x808
	v_mad_u32_u24 v3, v4, s0, v3
	ds_read2st64_b32 v[4:5], v3 offset1:1
	ds_read2st64_b32 v[6:7], v3 offset0:2 offset1:3
	ds_read2st64_b32 v[8:9], v3 offset0:4 offset1:5
	;; [unrolled: 1-line block ×3, first 2 shown]
	v_mul_lo_u32 v12, v1, s25
	v_sub_u32_e32 v0, v0, v12
	v_mul_lo_u32 v0, v0, s10
	s_waitcnt lgkmcnt(3)
	v_add_f32_e32 v3, 0, v4
	v_add_f32_e32 v3, v3, v5
	s_waitcnt lgkmcnt(2)
	v_add_f32_e32 v3, v3, v6
	v_add_f32_e32 v3, v3, v7
	;; [unrolled: 3-line block ×3, first 2 shown]
	v_mul_lo_u32 v1, v1, s21
	v_readlane_b32 s0, v106, 0
	s_waitcnt lgkmcnt(0)
	v_add_f32_e32 v3, v3, v10
	v_add3_u32 v16, v2, v1, v0
	v_readlane_b32 s1, v106, 1
	v_add_f32_e32 v3, v3, v11
	s_nop 0
	v_lshl_add_u64 v[0:1], v[16:17], 2, s[0:1]
	global_store_dword v[0:1], v3, off
.LBB96_53:
	s_endpgm
	.section	.rodata,"a",@progbits
	.p2align	6, 0x0
	.amdhsa_kernel _ZL13mul_mat_f_idsIfLi64ELi13ELi8EEvPKT_PKfPKiS6_S6_Pfiiiiiiiiiiiiii15HIP_vector_typeIjLj3EES9_
		.amdhsa_group_segment_fixed_size 0
		.amdhsa_private_segment_fixed_size 0
		.amdhsa_kernarg_size 128
		.amdhsa_user_sgpr_count 2
		.amdhsa_user_sgpr_dispatch_ptr 0
		.amdhsa_user_sgpr_queue_ptr 0
		.amdhsa_user_sgpr_kernarg_segment_ptr 1
		.amdhsa_user_sgpr_dispatch_id 0
		.amdhsa_user_sgpr_kernarg_preload_length 0
		.amdhsa_user_sgpr_kernarg_preload_offset 0
		.amdhsa_user_sgpr_private_segment_size 0
		.amdhsa_uses_dynamic_stack 0
		.amdhsa_enable_private_segment 0
		.amdhsa_system_sgpr_workgroup_id_x 1
		.amdhsa_system_sgpr_workgroup_id_y 1
		.amdhsa_system_sgpr_workgroup_id_z 1
		.amdhsa_system_sgpr_workgroup_info 0
		.amdhsa_system_vgpr_workitem_id 1
		.amdhsa_next_free_vgpr 107
		.amdhsa_next_free_sgpr 100
		.amdhsa_accum_offset 108
		.amdhsa_reserve_vcc 1
		.amdhsa_float_round_mode_32 0
		.amdhsa_float_round_mode_16_64 0
		.amdhsa_float_denorm_mode_32 3
		.amdhsa_float_denorm_mode_16_64 3
		.amdhsa_dx10_clamp 1
		.amdhsa_ieee_mode 1
		.amdhsa_fp16_overflow 0
		.amdhsa_tg_split 0
		.amdhsa_exception_fp_ieee_invalid_op 0
		.amdhsa_exception_fp_denorm_src 0
		.amdhsa_exception_fp_ieee_div_zero 0
		.amdhsa_exception_fp_ieee_overflow 0
		.amdhsa_exception_fp_ieee_underflow 0
		.amdhsa_exception_fp_ieee_inexact 0
		.amdhsa_exception_int_div_zero 0
	.end_amdhsa_kernel
	.section	.text._ZL13mul_mat_f_idsIfLi64ELi13ELi8EEvPKT_PKfPKiS6_S6_Pfiiiiiiiiiiiiii15HIP_vector_typeIjLj3EES9_,"axG",@progbits,_ZL13mul_mat_f_idsIfLi64ELi13ELi8EEvPKT_PKfPKiS6_S6_Pfiiiiiiiiiiiiii15HIP_vector_typeIjLj3EES9_,comdat
.Lfunc_end96:
	.size	_ZL13mul_mat_f_idsIfLi64ELi13ELi8EEvPKT_PKfPKiS6_S6_Pfiiiiiiiiiiiiii15HIP_vector_typeIjLj3EES9_, .Lfunc_end96-_ZL13mul_mat_f_idsIfLi64ELi13ELi8EEvPKT_PKfPKiS6_S6_Pfiiiiiiiiiiiiii15HIP_vector_typeIjLj3EES9_
                                        ; -- End function
	.set _ZL13mul_mat_f_idsIfLi64ELi13ELi8EEvPKT_PKfPKiS6_S6_Pfiiiiiiiiiiiiii15HIP_vector_typeIjLj3EES9_.num_vgpr, 107
	.set _ZL13mul_mat_f_idsIfLi64ELi13ELi8EEvPKT_PKfPKiS6_S6_Pfiiiiiiiiiiiiii15HIP_vector_typeIjLj3EES9_.num_agpr, 0
	.set _ZL13mul_mat_f_idsIfLi64ELi13ELi8EEvPKT_PKfPKiS6_S6_Pfiiiiiiiiiiiiii15HIP_vector_typeIjLj3EES9_.numbered_sgpr, 100
	.set _ZL13mul_mat_f_idsIfLi64ELi13ELi8EEvPKT_PKfPKiS6_S6_Pfiiiiiiiiiiiiii15HIP_vector_typeIjLj3EES9_.num_named_barrier, 0
	.set _ZL13mul_mat_f_idsIfLi64ELi13ELi8EEvPKT_PKfPKiS6_S6_Pfiiiiiiiiiiiiii15HIP_vector_typeIjLj3EES9_.private_seg_size, 0
	.set _ZL13mul_mat_f_idsIfLi64ELi13ELi8EEvPKT_PKfPKiS6_S6_Pfiiiiiiiiiiiiii15HIP_vector_typeIjLj3EES9_.uses_vcc, 1
	.set _ZL13mul_mat_f_idsIfLi64ELi13ELi8EEvPKT_PKfPKiS6_S6_Pfiiiiiiiiiiiiii15HIP_vector_typeIjLj3EES9_.uses_flat_scratch, 0
	.set _ZL13mul_mat_f_idsIfLi64ELi13ELi8EEvPKT_PKfPKiS6_S6_Pfiiiiiiiiiiiiii15HIP_vector_typeIjLj3EES9_.has_dyn_sized_stack, 0
	.set _ZL13mul_mat_f_idsIfLi64ELi13ELi8EEvPKT_PKfPKiS6_S6_Pfiiiiiiiiiiiiii15HIP_vector_typeIjLj3EES9_.has_recursion, 0
	.set _ZL13mul_mat_f_idsIfLi64ELi13ELi8EEvPKT_PKfPKiS6_S6_Pfiiiiiiiiiiiiii15HIP_vector_typeIjLj3EES9_.has_indirect_call, 0
	.section	.AMDGPU.csdata,"",@progbits
; Kernel info:
; codeLenInByte = 6456
; TotalNumSgprs: 106
; NumVgprs: 107
; NumAgprs: 0
; TotalNumVgprs: 107
; ScratchSize: 0
; MemoryBound: 0
; FloatMode: 240
; IeeeMode: 1
; LDSByteSize: 0 bytes/workgroup (compile time only)
; SGPRBlocks: 13
; VGPRBlocks: 13
; NumSGPRsForWavesPerEU: 106
; NumVGPRsForWavesPerEU: 107
; AccumOffset: 108
; Occupancy: 4
; WaveLimiterHint : 1
; COMPUTE_PGM_RSRC2:SCRATCH_EN: 0
; COMPUTE_PGM_RSRC2:USER_SGPR: 2
; COMPUTE_PGM_RSRC2:TRAP_HANDLER: 0
; COMPUTE_PGM_RSRC2:TGID_X_EN: 1
; COMPUTE_PGM_RSRC2:TGID_Y_EN: 1
; COMPUTE_PGM_RSRC2:TGID_Z_EN: 1
; COMPUTE_PGM_RSRC2:TIDIG_COMP_CNT: 1
; COMPUTE_PGM_RSRC3_GFX90A:ACCUM_OFFSET: 26
; COMPUTE_PGM_RSRC3_GFX90A:TG_SPLIT: 0
	.section	.text._ZL9mul_mat_fIfLi64ELi13ELi8ELb1EEvPKT_PKfPKiPfiiiiiiiiiiiiiiii,"axG",@progbits,_ZL9mul_mat_fIfLi64ELi13ELi8ELb1EEvPKT_PKfPKiPfiiiiiiiiiiiiiiii,comdat
	.globl	_ZL9mul_mat_fIfLi64ELi13ELi8ELb1EEvPKT_PKfPKiPfiiiiiiiiiiiiiiii ; -- Begin function _ZL9mul_mat_fIfLi64ELi13ELi8ELb1EEvPKT_PKfPKiPfiiiiiiiiiiiiiiii
	.p2align	8
	.type	_ZL9mul_mat_fIfLi64ELi13ELi8ELb1EEvPKT_PKfPKiPfiiiiiiiiiiiiiiii,@function
_ZL9mul_mat_fIfLi64ELi13ELi8ELb1EEvPKT_PKfPKiPfiiiiiiiiiiiiiiii: ; @_ZL9mul_mat_fIfLi64ELi13ELi8ELb1EEvPKT_PKfPKiPfiiiiiiiiiiiiiiii
; %bb.0:
	s_load_dwordx8 s[36:43], s[0:1], 0x20
	s_mov_b32 s22, s4
	s_load_dwordx2 s[8:9], s[0:1], 0x10
	v_and_b32_e32 v16, 0x3ff, v0
	v_bfe_u32 v17, v0, 10, 10
	s_waitcnt lgkmcnt(0)
	s_add_i32 s4, s37, 12
	s_mul_hi_i32 s4, s4, 0x4ec4ec4f
	s_lshr_b32 s5, s4, 31
	s_ashr_i32 s4, s4, 2
	s_add_i32 s4, s4, s5
	v_cvt_f32_u32_e32 v1, s4
	s_load_dwordx4 s[44:47], s[0:1], 0x44
	s_load_dword s5, s[0:1], 0x64
	s_add_u32 s12, s0, 0x60
	s_addc_u32 s13, s1, 0
	v_rcp_iflag_f32_e32 v1, v1
	s_sub_i32 s6, 0, s4
	v_mul_f32_e32 v1, 0x4f7ffffe, v1
	v_cvt_u32_f32_e32 v1, v1
	v_mul_lo_u32 v2, s6, v1
	v_mul_hi_u32 v2, v1, v2
	v_add_u32_e32 v1, v1, v2
	s_waitcnt lgkmcnt(0)
	v_mul_hi_u32 v1, s5, v1
	v_mul_lo_u32 v2, v1, s4
	v_sub_u32_e32 v2, s5, v2
	v_add_u32_e32 v3, 1, v1
	v_subrev_u32_e32 v4, s4, v2
	v_cmp_le_u32_e32 vcc, s4, v2
	s_nop 1
	v_cndmask_b32_e32 v1, v1, v3, vcc
	v_cndmask_b32_e32 v2, v2, v4, vcc
	v_add_u32_e32 v3, 1, v1
	v_cmp_le_u32_e32 vcc, s4, v2
	s_abs_i32 s4, s47
	s_sub_i32 s5, 0, s4
	v_cndmask_b32_e32 v1, v1, v3, vcc
	v_cvt_f32_u32_e32 v2, v1
	v_cvt_f32_u32_e32 v3, s4
	v_cmp_eq_u32_e32 vcc, 0, v16
	v_rcp_iflag_f32_e32 v2, v2
	v_rcp_iflag_f32_e32 v3, v3
	v_mul_f32_e32 v2, 0x4f7ffffe, v2
	v_cvt_u32_f32_e32 v2, v2
	v_mul_f32_e32 v3, 0x4f7ffffe, v3
	v_cvt_u32_f32_e32 v8, v3
	v_sub_u32_e32 v3, 0, v1
	v_mul_lo_u32 v3, v3, v2
	v_mul_hi_u32 v3, v2, v3
	v_add_u32_e32 v2, v2, v3
	v_mul_hi_u32 v2, s3, v2
	s_and_saveexec_b64 s[6:7], vcc
; %bb.1:
	v_mov_b32_e32 v3, 0x100
	v_lshl_add_u32 v3, v17, 2, v3
	v_mov_b32_e32 v4, -1
	ds_write_b32 v3, v4
; %bb.2:
	s_or_b64 exec, exec, s[6:7]
	v_mul_lo_u32 v3, v2, v1
	v_sub_u32_e32 v3, s3, v3
	v_add_u32_e32 v4, 1, v2
	v_sub_u32_e32 v5, v3, v1
	v_cmp_ge_u32_e64 s[6:7], v3, v1
	v_mul_lo_u32 v9, s5, v8
	s_nop 0
	v_cndmask_b32_e64 v2, v2, v4, s[6:7]
	v_cndmask_b32_e64 v3, v3, v5, s[6:7]
	v_add_u32_e32 v4, 1, v2
	v_cmp_ge_u32_e64 s[6:7], v3, v1
	s_nop 1
	v_cndmask_b32_e64 v2, v2, v4, s[6:7]
	v_mul_lo_u32 v90, v2, 13
	v_mul_lo_u32 v1, v2, v1
	v_mul_hi_i32 v3, v90, s43
	v_mul_lo_u32 v2, v90, s43
	v_sub_u32_e32 v18, s3, v1
	v_lshlrev_b64 v[2:3], 2, v[2:3]
	v_add_u32_e32 v1, v17, v90
	v_lshl_add_u64 v[2:3], s[8:9], 0, v[2:3]
	v_cmp_gt_i32_e64 s[6:7], s38, v16
	v_cmp_gt_i32_e64 s[24:25], s37, v1
	v_mov_b32_e32 v1, 0
	s_and_saveexec_b64 s[14:15], s[24:25]
	s_cbranch_execz .LBB97_10
; %bb.3:
	v_mov_b32_e32 v1, 0
	s_and_saveexec_b64 s[16:17], s[6:7]
	s_cbranch_execz .LBB97_9
; %bb.4:
	v_mul_lo_u32 v4, v17, s43
	v_ashrrev_i32_e32 v5, 31, v4
	v_mov_b32_e32 v1, 0x100
	v_lshl_add_u64 v[4:5], v[4:5], 2, v[2:3]
	v_lshl_add_u32 v10, v17, 2, v1
	v_mul_lo_u32 v6, v16, s42
	s_lshl_b32 s3, s42, 6
	v_mov_b32_e32 v1, 0
	s_mov_b64 s[18:19], 0
	v_mov_b32_e32 v11, v16
	s_branch .LBB97_6
.LBB97_5:                               ;   in Loop: Header=BB97_6 Depth=1
	s_or_b64 exec, exec, s[20:21]
	v_add_u32_e32 v11, 64, v11
	v_cmp_le_i32_e64 s[10:11], s38, v11
	s_xor_b64 s[8:9], s[8:9], -1
	s_or_b64 s[8:9], s[8:9], s[10:11]
	s_and_b64 s[8:9], exec, s[8:9]
	s_or_b64 s[18:19], s[8:9], s[18:19]
	v_add_u32_e32 v6, s3, v6
	s_andn2_b64 exec, exec, s[18:19]
	s_cbranch_execz .LBB97_8
.LBB97_6:                               ; =>This Inner Loop Header: Depth=1
	v_ashrrev_i32_e32 v7, 31, v6
	v_lshl_add_u64 v[12:13], v[6:7], 2, v[4:5]
	global_load_dword v7, v[12:13], off
	s_waitcnt vmcnt(0)
	v_cmp_ne_u32_e64 s[8:9], v7, v18
	v_cmp_eq_u32_e64 s[10:11], v7, v18
	s_and_saveexec_b64 s[20:21], s[10:11]
	s_cbranch_execz .LBB97_5
; %bb.7:                                ;   in Loop: Header=BB97_6 Depth=1
	v_mov_b32_e32 v1, 1
	ds_write_b32 v10, v11
	s_branch .LBB97_5
.LBB97_8:
	s_or_b64 exec, exec, s[18:19]
.LBB97_9:
	s_or_b64 exec, exec, s[16:17]
.LBB97_10:
	s_or_b64 exec, exec, s[14:15]
	v_mul_hi_u32 v4, v8, v9
	s_and_saveexec_b64 s[8:9], vcc
; %bb.11:
	v_mov_b32_e32 v5, 0x100
	v_lshl_add_u32 v5, v17, 2, v5
	v_mov_b32_e32 v6, -1
	ds_write_b32 v5, v6 offset:32
; %bb.12:
	s_or_b64 exec, exec, s[8:9]
	s_load_dwordx4 s[28:31], s[0:1], 0x54
	v_add_u32_e32 v91, 8, v17
	s_abs_i32 s3, s22
	v_add_u32_e32 v6, v8, v4
	v_add_u32_e32 v4, v91, v90
	v_cmp_gt_i32_e64 s[10:11], s37, v4
	s_mov_b64 s[8:9], exec
                                        ; implicit-def: $vgpr111 : SGPR spill to VGPR lane
	s_nop 0
	v_writelane_b32 v111, s10, 0
	s_nop 1
	v_writelane_b32 v111, s11, 1
	s_and_b64 s[10:11], s[8:9], s[10:11]
	s_mov_b64 exec, s[10:11]
	s_cbranch_execz .LBB97_20
; %bb.13:
	s_and_saveexec_b64 s[10:11], s[6:7]
	s_cbranch_execz .LBB97_19
; %bb.14:
	v_mul_lo_u32 v4, v91, s43
	v_ashrrev_i32_e32 v5, 31, v4
	v_lshl_add_u64 v[2:3], v[4:5], 2, v[2:3]
	v_mov_b32_e32 v4, 0x100
	v_lshl_add_u32 v7, v17, 2, v4
	v_mul_lo_u32 v4, v16, s42
	s_lshl_b32 s5, s42, 6
	s_mov_b64 s[14:15], 0
	v_mov_b32_e32 v8, v16
	s_branch .LBB97_16
.LBB97_15:                              ;   in Loop: Header=BB97_16 Depth=1
	s_or_b64 exec, exec, s[16:17]
	v_add_u32_e32 v8, 64, v8
	v_cmp_le_i32_e64 s[6:7], s38, v8
	s_xor_b64 s[16:17], vcc, -1
	s_or_b64 s[6:7], s[16:17], s[6:7]
	s_and_b64 s[6:7], exec, s[6:7]
	s_or_b64 s[14:15], s[6:7], s[14:15]
	v_add_u32_e32 v4, s5, v4
	s_andn2_b64 exec, exec, s[14:15]
	s_cbranch_execz .LBB97_18
.LBB97_16:                              ; =>This Inner Loop Header: Depth=1
	v_ashrrev_i32_e32 v5, 31, v4
	v_lshl_add_u64 v[10:11], v[4:5], 2, v[2:3]
	global_load_dword v5, v[10:11], off
	s_waitcnt vmcnt(0)
	v_cmp_ne_u32_e32 vcc, v5, v18
	v_cmp_eq_u32_e64 s[6:7], v5, v18
	s_and_saveexec_b64 s[16:17], s[6:7]
	s_cbranch_execz .LBB97_15
; %bb.17:                               ;   in Loop: Header=BB97_16 Depth=1
	v_mov_b32_e32 v1, 1
	ds_write_b32 v7, v8 offset:32
	s_branch .LBB97_15
.LBB97_18:
	s_or_b64 exec, exec, s[14:15]
.LBB97_19:
	s_or_b64 exec, exec, s[10:11]
.LBB97_20:
	s_or_b64 exec, exec, s[8:9]
	s_load_dwordx2 s[6:7], s[12:13], 0xc
	s_load_dwordx2 s[8:9], s[0:1], 0x8
	;; [unrolled: 1-line block ×3, first 2 shown]
	v_or_b32_dpp v1, v1, v1 row_shl:1 row_mask:0xf bank_mask:0xf bound_ctrl:1
	v_mul_hi_u32 v19, s3, v6
	s_waitcnt lgkmcnt(0)
	s_and_b32 s5, s7, 0xffff
	s_lshr_b32 s7, s6, 16
	v_writelane_b32 v111, s10, 2
	s_and_b32 s6, s6, 0xffff
	v_or_b32_dpp v1, v1, v1 row_shl:2 row_mask:0xf bank_mask:0xf bound_ctrl:1
	v_writelane_b32 v111, s11, 3
	s_mul_i32 s10, s7, s6
	v_or_b32_dpp v1, v1, v1 row_shl:4 row_mask:0xf bank_mask:0xf bound_ctrl:1
	s_bfe_i32 s10, s10, 0x180000
	s_mul_i32 s5, s10, s5
	v_or_b32_dpp v1, v1, v1 row_shl:8 row_mask:0xf bank_mask:0xf bound_ctrl:1
	s_add_i32 s10, s5, 63
	s_bitcmp1_b32 exec_hi, 0
	v_mov_b32_dpp v2, v1 wave_shl:1 row_mask:0xf bank_mask:0xf bound_ctrl:1
                                        ; kill: killed $sgpr12 killed $sgpr13
	s_nop 1
	v_or_b32_dpp v1, v2, v1 row_mirror row_mask:0xf bank_mask:0xf bound_ctrl:1
	s_nop 0
	v_readlane_b32 s5, v1, 32
	s_cselect_b32 s5, s5, 0
	v_readlane_b32 s11, v1, 0
	s_or_b32 s5, s5, s11
	s_andn2_b32 s10, s10, 63
	s_cmp_lg_u32 s10, 64
	v_mov_b32_e32 v1, s5
	s_cbranch_scc0 .LBB97_27
; %bb.21:
	v_bfe_u32 v0, v0, 20, 10
	v_mbcnt_lo_u32_b32 v1, -1, 0
	v_mad_u32_u24 v0, v0, s7, v17
	v_mbcnt_hi_u32_b32 v2, -1, v1
	v_mad_u64_u32 v[0:1], s[6:7], v0, s6, v[16:17]
	v_lshrrev_b32_e32 v1, 6, v0
	v_or_b32_e32 v1, v2, v1
	v_cmp_eq_u32_e32 vcc, 0, v1
	s_and_saveexec_b64 s[6:7], vcc
; %bb.22:
	v_mov_b32_e32 v1, 0
	v_mov_b32_e32 v3, s5
	ds_write_b32 v1, v3
; %bb.23:
	s_or_b64 exec, exec, s[6:7]
	v_cmp_eq_u32_e32 vcc, 0, v2
	v_cmp_lt_u32_e64 s[6:7], 63, v0
	s_and_b64 s[10:11], s[6:7], vcc
	s_waitcnt lgkmcnt(0)
	s_barrier
	s_and_saveexec_b64 s[6:7], s[10:11]
	s_cbranch_execz .LBB97_26
; %bb.24:
	v_mbcnt_lo_u32_b32 v0, exec_lo, 0
	v_mbcnt_hi_u32_b32 v0, exec_hi, v0
	v_cmp_eq_u32_e32 vcc, 0, v0
	s_and_b64 exec, exec, vcc
; %bb.25:
	v_mov_b32_e32 v0, 0
	v_mov_b32_e32 v1, s5
	ds_or_b32 v0, v1
.LBB97_26:
	s_or_b64 exec, exec, s[6:7]
	v_mov_b32_e32 v0, 0
	s_waitcnt lgkmcnt(0)
	s_barrier
	ds_read_b32 v1, v0
	s_waitcnt lgkmcnt(0)
	s_barrier
.LBB97_27:
	s_load_dwordx2 s[0:1], s[0:1], 0x0
	v_cmp_ne_u32_e32 vcc, 0, v1
	s_ashr_i32 s5, s22, 31
	s_ashr_i32 s10, s47, 31
	s_cbranch_vccz .LBB97_93
; %bb.28:
	v_lshlrev_b32_e32 v92, 6, v17
	v_add_u32_e32 v94, v92, v16
	v_cmp_le_i32_e32 vcc, s36, v94
	v_and_b32_e32 v93, 15, v16
	s_and_saveexec_b64 s[6:7], vcc
	s_xor_b64 s[6:7], exec, s[6:7]
; %bb.29:
	v_and_b32_e32 v93, 15, v16
                                        ; implicit-def: $vgpr94
                                        ; implicit-def: $vgpr19
                                        ; implicit-def: $vgpr18
; %bb.30:
	s_or_saveexec_b64 s[12:13], s[6:7]
	v_mov_b32_e32 v11, 0
	s_lshl_b32 s6, s2, 6
	v_mov_b32_e32 v10, v11
	v_mov_b32_e32 v9, v11
	;; [unrolled: 1-line block ×15, first 2 shown]
	v_writelane_b32 v111, s12, 4
	s_nop 1
	v_writelane_b32 v111, s13, 5
	s_xor_b64 exec, exec, s[12:13]
	s_cbranch_execz .LBB97_86
; %bb.31:
	v_mul_lo_u32 v0, v19, s4
	v_sub_u32_e32 v0, s3, v0
	v_add_u32_e32 v1, 1, v19
	v_subrev_u32_e32 v2, s4, v0
	v_cmp_le_u32_e32 vcc, s4, v0
	s_xor_b32 s2, s5, s10
	v_writelane_b32 v111, s24, 6
	v_cndmask_b32_e32 v1, v19, v1, vcc
	v_cndmask_b32_e32 v0, v0, v2, vcc
	v_add_u32_e32 v2, 1, v1
	v_cmp_le_u32_e32 vcc, s4, v0
	v_writelane_b32 v111, s25, 7
	v_writelane_b32 v111, s6, 8
	v_cndmask_b32_e32 v0, v1, v2, vcc
	v_xor_b32_e32 v0, s2, v0
	v_subrev_u32_e32 v0, s2, v0
	v_mul_hi_i32 v1, v0, s28
	v_mul_lo_u32 v0, v0, s28
	v_mul_lo_u32 v2, v18, s44
	v_ashrrev_i32_e32 v3, 31, v2
	s_mul_i32 s2, s39, s6
	v_lshlrev_b64 v[0:1], 2, v[0:1]
	s_movk_i32 s4, 0x1080
	v_mov_b32_e32 v95, 0x100
	v_writelane_b32 v111, s22, 9
	s_waitcnt lgkmcnt(0)
	v_lshl_add_u64 v[4:5], s[0:1], 0, v[0:1]
	v_lshlrev_b64 v[2:3], 2, v[2:3]
	s_ashr_i32 s3, s2, 31
	v_mad_u32_u24 v6, v17, s4, v95
	s_mul_hi_i32 s5, s29, s22
	v_writelane_b32 v111, s28, 10
	s_mul_i32 s4, s29, s22
	v_lshl_add_u64 v[4:5], v[4:5], 0, v[2:3]
	s_lshl_b64 s[2:3], s[2:3], 2
	s_lshl_b64 s[4:5], s[4:5], 2
	v_lshl_add_u64 v[18:19], v[4:5], 0, s[2:3]
	v_writelane_b32 v111, s29, 11
	v_mul_hi_i32 v5, v90, s40
	v_mul_lo_u32 v4, v90, s40
	s_add_u32 s4, s8, s4
	v_writelane_b32 v111, s30, 12
	s_addc_u32 s5, s9, s5
	v_lshlrev_b64 v[4:5], 2, v[4:5]
	v_lshl_add_u64 v[0:1], v[0:1], 0, s[2:3]
	v_writelane_b32 v111, s31, 13
	v_lshl_add_u64 v[20:21], s[4:5], 0, v[4:5]
	v_lshrrev_b32_e32 v5, 1, v16
	s_lshl_b32 s4, s40, 1
	v_lshl_add_u64 v[0:1], v[0:1], 0, v[2:3]
	v_mul_u32_u24_e32 v4, 0x108, v93
	v_and_b32_e32 v5, 0x1f8, v5
	v_add_u32_e32 v26, 1, v90
	v_add_u32_e32 v27, 2, v90
	v_writelane_b32 v111, s4, 14
	v_add_u32_e32 v28, 3, v90
	v_add_u32_e32 v29, 4, v90
	s_lshl_b32 s4, s40, 2
	v_add_u32_e32 v30, 5, v90
	v_add_u32_e32 v31, 6, v90
	;; [unrolled: 1-line block ×8, first 2 shown]
	s_ashr_i32 s7, s39, 31
	s_mov_b32 s6, s39
	v_lshl_add_u64 v[0:1], s[0:1], 0, v[0:1]
	v_lshlrev_b32_e32 v22, 2, v94
	v_mov_b32_e32 v23, 0
	v_lshl_add_u32 v96, v16, 2, v6
	v_add3_u32 v97, v6, v4, v5
	v_writelane_b32 v111, s4, 15
	s_lshl_b32 s4, s40, 3
	s_add_i32 s48, s39, s39
	s_mul_i32 s49, s39, 3
	s_lshl_b32 s51, s39, 2
	s_mul_i32 s54, s39, 5
	s_mul_i32 s55, s39, 6
	;; [unrolled: 1-line block ×3, first 2 shown]
	s_lshl_b32 s57, s39, 3
	s_mul_i32 s58, s39, 9
	s_mul_i32 s59, s39, 10
	;; [unrolled: 1-line block ×7, first 2 shown]
	s_lshl_b32 s65, s39, 4
	s_mul_i32 s66, s39, 17
	s_mul_i32 s67, s39, 18
	;; [unrolled: 1-line block ×15, first 2 shown]
	s_lshl_b32 s81, s39, 5
	s_mul_i32 s82, s39, 33
	s_mul_i32 s83, s39, 34
	;; [unrolled: 1-line block ×12, first 2 shown]
	v_cmp_gt_i32_e64 s[0:1], s37, v90
	s_mul_i32 s94, s39, 45
	s_mul_i32 s95, s39, 46
	s_lshl_b64 s[2:3], s[6:7], 2
	v_lshl_add_u64 v[24:25], v[0:1], 0, v[22:23]
	v_mov_b32_e32 v12, 0
	v_mov_b32_e32 v13, v23
	;; [unrolled: 1-line block ×16, first 2 shown]
	s_mul_i32 s96, s39, 47
	s_mul_i32 s97, s39, 48
	;; [unrolled: 1-line block ×17, first 2 shown]
	v_cmp_gt_i32_e64 s[6:7], s37, v26
	v_cmp_gt_i32_e64 s[8:9], s37, v27
	;; [unrolled: 1-line block ×12, first 2 shown]
	s_mov_b64 s[38:39], 0
	s_branch .LBB97_34
.LBB97_32:                              ;   in Loop: Header=BB97_34 Depth=1
	v_mul_lo_u32 v22, v22, s45
	s_mul_i32 s37, s40, 12
	v_add_u32_e32 v22, s37, v22
	v_add_u32_e32 v98, v22, v94
	v_ashrrev_i32_e32 v99, 31, v98
	v_lshl_add_u64 v[98:99], v[98:99], 2, v[20:21]
	global_load_dword v22, v[98:99], off
.LBB97_33:                              ;   in Loop: Header=BB97_34 Depth=1
	v_add_u32_e32 v98, 0xc00, v96
	s_waitcnt vmcnt(0)
	ds_write2_b32 v98, v22, v23 offset0:40 offset1:106
	ds_write2_b32 v98, v23, v23 offset0:172 offset1:238
	ds_read2_b64 v[98:101], v97 offset0:8 offset1:12
	v_add_u32_e32 v94, 0x200, v94
	s_mov_b64 vcc, 0x800
	v_lshl_add_u64 v[24:25], v[24:25], 0, vcc
	v_cmp_le_i32_e32 vcc, s36, v94
	s_waitcnt lgkmcnt(0)
	v_mfma_f32_16x16x4_f32 v[8:11], v56, v98, v[8:11]
	s_or_b64 s[38:39], vcc, s[38:39]
	v_mfma_f32_16x16x4_f32 v[4:7], v68, v98, v[4:7]
	v_mfma_f32_16x16x4_f32 v[0:3], v82, v98, v[0:3]
	;; [unrolled: 1-line block ×15, first 2 shown]
	ds_read2_b64 v[86:89], v97 offset0:16 offset1:20
	s_waitcnt lgkmcnt(0)
	v_mfma_f32_16x16x4_f32 v[8:11], v42, v86, v[8:11]
	v_mfma_f32_16x16x4_f32 v[4:7], v60, v86, v[4:7]
	;; [unrolled: 1-line block ×14, first 2 shown]
	ds_read2_b64 v[54:57], v97 offset0:24 offset1:28
	v_mfma_f32_16x16x4_f32 v[0:3], v67, v89, v[0:3]
	v_mfma_f32_16x16x4_f32 v[12:15], v81, v89, v[12:15]
	s_waitcnt lgkmcnt(0)
	v_mfma_f32_16x16x4_f32 v[8:11], v34, v54, v[8:11]
	v_mfma_f32_16x16x4_f32 v[4:7], v46, v54, v[4:7]
	;; [unrolled: 1-line block ×14, first 2 shown]
	ds_read2_b64 v[38:41], v97 offset0:32 offset1:36
	v_mfma_f32_16x16x4_f32 v[0:3], v59, v57, v[0:3]
	v_mfma_f32_16x16x4_f32 v[12:15], v75, v57, v[12:15]
	s_waitcnt lgkmcnt(0)
	v_mfma_f32_16x16x4_f32 v[8:11], v28, v38, v[8:11]
	v_mfma_f32_16x16x4_f32 v[4:7], v36, v38, v[4:7]
	;; [unrolled: 1-line block ×16, first 2 shown]
	s_andn2_b64 exec, exec, s[38:39]
	s_cbranch_execz .LBB97_85
.LBB97_34:                              ; =>This Inner Loop Header: Depth=1
	v_lshl_add_u64 v[26:27], v[24:25], 0, s[2:3]
	global_load_dword v22, v[24:25], off
	global_load_dword v52, v[26:27], off
	v_add_u32_e32 v26, s48, v94
	v_ashrrev_i32_e32 v27, 31, v26
	v_add_u32_e32 v28, s49, v94
	v_add_u32_e32 v30, s51, v94
	;; [unrolled: 1-line block ×5, first 2 shown]
	v_lshl_add_u64 v[26:27], v[26:27], 2, v[18:19]
	v_ashrrev_i32_e32 v29, 31, v28
	v_ashrrev_i32_e32 v31, 31, v30
	;; [unrolled: 1-line block ×5, first 2 shown]
	v_lshl_add_u64 v[28:29], v[28:29], 2, v[18:19]
	v_lshl_add_u64 v[30:31], v[30:31], 2, v[18:19]
	v_lshl_add_u64 v[32:33], v[32:33], 2, v[18:19]
	v_lshl_add_u64 v[34:35], v[34:35], 2, v[18:19]
	v_lshl_add_u64 v[36:37], v[36:37], 2, v[18:19]
	global_load_dword v53, v[26:27], off
	global_load_dword v54, v[28:29], off
	;; [unrolled: 1-line block ×6, first 2 shown]
	v_add_u32_e32 v26, s57, v94
	v_add_u32_e32 v44, s66, v94
	;; [unrolled: 1-line block ×10, first 2 shown]
	v_ashrrev_i32_e32 v27, 31, v26
	v_ashrrev_i32_e32 v45, 31, v44
	;; [unrolled: 1-line block ×10, first 2 shown]
	v_lshl_add_u64 v[26:27], v[26:27], 2, v[18:19]
	v_lshl_add_u64 v[44:45], v[44:45], 2, v[18:19]
	v_add_u32_e32 v46, s67, v94
	v_add_u32_e32 v50, s69, v94
	v_lshl_add_u64 v[28:29], v[28:29], 2, v[18:19]
	v_lshl_add_u64 v[30:31], v[30:31], 2, v[18:19]
	v_lshl_add_u64 v[32:33], v[32:33], 2, v[18:19]
	v_lshl_add_u64 v[34:35], v[34:35], 2, v[18:19]
	v_lshl_add_u64 v[36:37], v[36:37], 2, v[18:19]
	v_lshl_add_u64 v[38:39], v[38:39], 2, v[18:19]
	v_lshl_add_u64 v[40:41], v[40:41], 2, v[18:19]
	v_lshl_add_u64 v[42:43], v[42:43], 2, v[18:19]
	global_load_dword v59, v[26:27], off
	global_load_dword v60, v[28:29], off
	;; [unrolled: 1-line block ×9, first 2 shown]
	s_nop 0
	global_load_dword v44, v[44:45], off
	v_add_u32_e32 v26, s70, v94
	v_add_u32_e32 v48, s68, v94
	v_ashrrev_i32_e32 v47, 31, v46
	v_ashrrev_i32_e32 v51, 31, v50
	;; [unrolled: 1-line block ×3, first 2 shown]
	v_add_u32_e32 v28, s71, v94
	v_add_u32_e32 v30, s72, v94
	;; [unrolled: 1-line block ×4, first 2 shown]
	v_ashrrev_i32_e32 v49, 31, v48
	v_lshl_add_u64 v[46:47], v[46:47], 2, v[18:19]
	v_lshl_add_u64 v[50:51], v[50:51], 2, v[18:19]
	;; [unrolled: 1-line block ×3, first 2 shown]
	v_ashrrev_i32_e32 v29, 31, v28
	v_ashrrev_i32_e32 v31, 31, v30
	v_ashrrev_i32_e32 v33, 31, v32
	v_ashrrev_i32_e32 v35, 31, v34
	v_lshl_add_u64 v[48:49], v[48:49], 2, v[18:19]
	v_lshl_add_u64 v[28:29], v[28:29], 2, v[18:19]
	;; [unrolled: 1-line block ×5, first 2 shown]
	v_add_u32_e32 v36, s80, v94
	v_add_u32_e32 v38, s81, v94
	;; [unrolled: 1-line block ×3, first 2 shown]
	v_ashrrev_i32_e32 v37, 31, v36
	v_ashrrev_i32_e32 v39, 31, v38
	;; [unrolled: 1-line block ×3, first 2 shown]
	v_lshl_add_u64 v[36:37], v[36:37], 2, v[18:19]
	s_waitcnt vmcnt(17)
	ds_write_b32 v96, v22 offset:64
	s_waitcnt vmcnt(16)
	ds_write_b32 v96, v52 offset:328
	;; [unrolled: 2-line block ×8, first 2 shown]
	global_load_dword v22, v[46:47], off
	global_load_dword v45, v[48:49], off
	s_nop 0
	global_load_dword v46, v[50:51], off
	global_load_dword v47, v[26:27], off
	s_nop 0
	global_load_dword v50, v[28:29], off
	global_load_dword v51, v[30:31], off
	;; [unrolled: 1-line block ×4, first 2 shown]
	v_add_u32_e32 v26, s75, v94
	v_ashrrev_i32_e32 v27, 31, v26
	v_add_u32_e32 v28, s76, v94
	v_add_u32_e32 v30, s77, v94
	v_add_u32_e32 v32, s78, v94
	v_add_u32_e32 v34, s79, v94
	v_lshl_add_u64 v[26:27], v[26:27], 2, v[18:19]
	v_ashrrev_i32_e32 v29, 31, v28
	v_ashrrev_i32_e32 v31, 31, v30
	;; [unrolled: 1-line block ×4, first 2 shown]
	v_lshl_add_u64 v[28:29], v[28:29], 2, v[18:19]
	v_lshl_add_u64 v[30:31], v[30:31], 2, v[18:19]
	v_lshl_add_u64 v[32:33], v[32:33], 2, v[18:19]
	v_lshl_add_u64 v[34:35], v[34:35], 2, v[18:19]
	v_lshl_add_u64 v[38:39], v[38:39], 2, v[18:19]
	v_lshl_add_u64 v[40:41], v[40:41], 2, v[18:19]
	global_load_dword v54, v[26:27], off
	global_load_dword v55, v[28:29], off
	global_load_dword v58, v[30:31], off
	global_load_dword v68, v[32:33], off
	global_load_dword v69, v[34:35], off
	global_load_dword v70, v[36:37], off
	global_load_dword v71, v[38:39], off
	global_load_dword v72, v[40:41], off
	v_add_u32_e32 v26, s83, v94
	v_ashrrev_i32_e32 v27, 31, v26
	v_add_u32_e32 v28, s84, v94
	v_add_u32_e32 v30, s85, v94
	v_add_u32_e32 v32, s86, v94
	v_add_u32_e32 v34, s87, v94
	v_add_u32_e32 v36, s88, v94
	v_add_u32_e32 v38, s89, v94
	v_add_u32_e32 v40, s90, v94
	v_lshl_add_u64 v[26:27], v[26:27], 2, v[18:19]
	v_ashrrev_i32_e32 v29, 31, v28
	v_ashrrev_i32_e32 v31, 31, v30
	v_ashrrev_i32_e32 v33, 31, v32
	v_ashrrev_i32_e32 v35, 31, v34
	v_ashrrev_i32_e32 v37, 31, v36
	v_ashrrev_i32_e32 v39, 31, v38
	v_ashrrev_i32_e32 v41, 31, v40
	v_lshl_add_u64 v[28:29], v[28:29], 2, v[18:19]
	v_lshl_add_u64 v[30:31], v[30:31], 2, v[18:19]
	v_lshl_add_u64 v[32:33], v[32:33], 2, v[18:19]
	v_lshl_add_u64 v[34:35], v[34:35], 2, v[18:19]
	v_lshl_add_u64 v[36:37], v[36:37], 2, v[18:19]
	v_lshl_add_u64 v[38:39], v[38:39], 2, v[18:19]
	v_lshl_add_u64 v[40:41], v[40:41], 2, v[18:19]
	global_load_dword v73, v[26:27], off
	global_load_dword v74, v[28:29], off
	global_load_dword v75, v[30:31], off
	global_load_dword v76, v[32:33], off
	global_load_dword v77, v[34:35], off
	global_load_dword v78, v[36:37], off
	global_load_dword v79, v[38:39], off
	global_load_dword v80, v[40:41], off
	v_add_u32_e32 v26, s91, v94
	v_ashrrev_i32_e32 v27, 31, v26
	v_add_u32_e32 v28, s92, v94
	v_add_u32_e32 v30, s93, v94
	v_add_u32_e32 v32, s94, v94
	v_add_u32_e32 v34, s95, v94
	v_add_u32_e32 v36, s96, v94
	v_add_u32_e32 v38, s97, v94
	v_add_u32_e32 v40, s98, v94
	v_lshl_add_u64 v[26:27], v[26:27], 2, v[18:19]
	v_ashrrev_i32_e32 v29, 31, v28
	v_ashrrev_i32_e32 v31, 31, v30
	v_ashrrev_i32_e32 v33, 31, v32
	v_ashrrev_i32_e32 v35, 31, v34
	v_ashrrev_i32_e32 v37, 31, v36
	v_ashrrev_i32_e32 v39, 31, v38
	v_ashrrev_i32_e32 v41, 31, v40
	v_lshl_add_u64 v[28:29], v[28:29], 2, v[18:19]
	v_lshl_add_u64 v[30:31], v[30:31], 2, v[18:19]
	v_lshl_add_u64 v[32:33], v[32:33], 2, v[18:19]
	v_lshl_add_u64 v[34:35], v[34:35], 2, v[18:19]
	v_lshl_add_u64 v[36:37], v[36:37], 2, v[18:19]
	v_lshl_add_u64 v[38:39], v[38:39], 2, v[18:19]
	v_lshl_add_u64 v[40:41], v[40:41], 2, v[18:19]
	global_load_dword v81, v[26:27], off
	global_load_dword v82, v[28:29], off
	global_load_dword v83, v[30:31], off
	global_load_dword v84, v[32:33], off
	global_load_dword v85, v[34:35], off
	global_load_dword v86, v[36:37], off
	global_load_dword v87, v[38:39], off
	global_load_dword v88, v[40:41], off
	v_add_u32_e32 v26, s99, v94
	v_ashrrev_i32_e32 v27, 31, v26
	v_add_u32_e32 v28, s5, v94
	v_add_u32_e32 v30, s52, v94
	v_add_u32_e32 v32, s53, v94
	v_add_u32_e32 v34, s34, v94
	v_add_u32_e32 v36, s35, v94
	v_add_u32_e32 v38, s42, v94
	v_add_u32_e32 v40, s43, v94
	v_lshl_add_u64 v[26:27], v[26:27], 2, v[18:19]
	v_ashrrev_i32_e32 v29, 31, v28
	v_ashrrev_i32_e32 v31, 31, v30
	v_ashrrev_i32_e32 v33, 31, v32
	v_ashrrev_i32_e32 v35, 31, v34
	v_ashrrev_i32_e32 v37, 31, v36
	v_ashrrev_i32_e32 v39, 31, v38
	v_ashrrev_i32_e32 v41, 31, v40
	v_lshl_add_u64 v[28:29], v[28:29], 2, v[18:19]
	v_lshl_add_u64 v[30:31], v[30:31], 2, v[18:19]
	v_lshl_add_u64 v[32:33], v[32:33], 2, v[18:19]
	;; [unrolled: 1-line block ×6, first 2 shown]
	global_load_dword v89, v[26:27], off
	global_load_dword v98, v[28:29], off
	;; [unrolled: 1-line block ×8, first 2 shown]
	v_add_u32_e32 v26, s30, v94
	v_ashrrev_i32_e32 v27, 31, v26
	v_add_u32_e32 v28, s31, v94
	v_add_u32_e32 v30, s50, v94
	;; [unrolled: 1-line block ×5, first 2 shown]
	v_lshl_add_u64 v[26:27], v[26:27], 2, v[18:19]
	v_ashrrev_i32_e32 v29, 31, v28
	v_ashrrev_i32_e32 v31, 31, v30
	;; [unrolled: 1-line block ×5, first 2 shown]
	v_lshl_add_u64 v[28:29], v[28:29], 2, v[18:19]
	v_lshl_add_u64 v[30:31], v[30:31], 2, v[18:19]
	;; [unrolled: 1-line block ×5, first 2 shown]
	global_load_dword v105, v[26:27], off
	global_load_dword v106, v[28:29], off
	;; [unrolled: 1-line block ×6, first 2 shown]
	s_waitcnt vmcnt(55)
	ds_write_b32 v96, v59 offset:2176
	s_waitcnt vmcnt(54)
	ds_write_b32 v96, v60 offset:2440
	s_waitcnt vmcnt(53)
	ds_write_b32 v96, v61 offset:2704
	s_waitcnt vmcnt(52)
	ds_write_b32 v96, v62 offset:2968
	s_waitcnt vmcnt(51)
	ds_write_b32 v96, v63 offset:3232
	s_waitcnt vmcnt(50)
	ds_write_b32 v96, v64 offset:3496
	s_waitcnt vmcnt(49)
	ds_write_b32 v96, v65 offset:3760
	s_waitcnt vmcnt(48)
	ds_write_b32 v96, v66 offset:4024
	ds_read_b64 v[56:57], v97 offset:64
	ds_read_b64 v[48:49], v97 offset:96
	ds_read_b64 v[42:43], v97 offset:128
	ds_read_b64 v[38:39], v97 offset:160
	ds_read_b64 v[34:35], v97 offset:192
	ds_read_b64 v[30:31], v97 offset:224
	ds_read_b64 v[28:29], v97 offset:256
	ds_read_b64 v[26:27], v97 offset:288
	s_waitcnt vmcnt(47)
	ds_write_b32 v96, v67 offset:64
	s_waitcnt vmcnt(46)
	ds_write_b32 v96, v44 offset:328
	s_waitcnt vmcnt(45)
	ds_write_b32 v96, v22 offset:592
	s_waitcnt vmcnt(44)
	ds_write_b32 v96, v45 offset:856
	s_waitcnt vmcnt(43)
	ds_write_b32 v96, v46 offset:1120
	s_waitcnt vmcnt(42)
	ds_write_b32 v96, v47 offset:1384
	s_waitcnt vmcnt(41)
	ds_write_b32 v96, v50 offset:1648
	s_waitcnt vmcnt(40)
	ds_write_b32 v96, v51 offset:1912
	s_waitcnt vmcnt(39)
	ds_write_b32 v96, v52 offset:2176
	s_waitcnt vmcnt(38)
	ds_write_b32 v96, v53 offset:2440
	s_waitcnt vmcnt(37)
	ds_write_b32 v96, v54 offset:2704
	s_waitcnt vmcnt(36)
	ds_write_b32 v96, v55 offset:2968
	s_waitcnt vmcnt(35)
	ds_write_b32 v96, v58 offset:3232
	s_waitcnt vmcnt(34)
	ds_write_b32 v96, v68 offset:3496
	s_waitcnt vmcnt(33)
	ds_write_b32 v96, v69 offset:3760
	s_waitcnt vmcnt(32)
	ds_write_b32 v96, v70 offset:4024
	ds_read_b64 v[68:69], v97 offset:64
	ds_read_b64 v[64:65], v97 offset:96
	ds_read_b64 v[60:61], v97 offset:128
	ds_read_b64 v[54:55], v97 offset:160
	ds_read_b64 v[46:47], v97 offset:192
	ds_read_b64 v[40:41], v97 offset:224
	ds_read_b64 v[36:37], v97 offset:256
	ds_read_b64 v[32:33], v97 offset:288
	s_waitcnt vmcnt(31)
	ds_write_b32 v96, v71 offset:64
	s_waitcnt vmcnt(30)
	ds_write_b32 v96, v72 offset:328
	s_waitcnt vmcnt(29)
	ds_write_b32 v96, v73 offset:592
	s_waitcnt vmcnt(28)
	ds_write_b32 v96, v74 offset:856
	s_waitcnt vmcnt(27)
	ds_write_b32 v96, v75 offset:1120
	s_waitcnt vmcnt(26)
	ds_write_b32 v96, v76 offset:1384
	s_waitcnt vmcnt(25)
	ds_write_b32 v96, v77 offset:1648
	s_waitcnt vmcnt(24)
	ds_write_b32 v96, v78 offset:1912
	;; [unrolled: 40-line block ×3, first 2 shown]
	s_waitcnt vmcnt(7)
	ds_write_b32 v96, v103 offset:2176
	s_waitcnt vmcnt(6)
	ds_write_b32 v96, v104 offset:2440
	;; [unrolled: 2-line block ×8, first 2 shown]
	ds_read_b64 v[88:89], v97 offset:64
	ds_read_b64 v[86:87], v97 offset:96
	;; [unrolled: 1-line block ×8, first 2 shown]
	s_andn2_b64 vcc, exec, s[0:1]
	v_mov_b32_e32 v22, 0
	s_cbranch_vccnz .LBB97_38
; %bb.35:                               ;   in Loop: Header=BB97_34 Depth=1
	ds_read_b32 v22, v95
	s_waitcnt lgkmcnt(0)
	v_cmp_gt_i32_e32 vcc, 0, v22
	s_cbranch_vccnz .LBB97_37
; %bb.36:                               ;   in Loop: Header=BB97_34 Depth=1
	v_mul_lo_u32 v22, v22, s45
	v_add_u32_e32 v98, v94, v22
	v_ashrrev_i32_e32 v99, 31, v98
	v_lshl_add_u64 v[98:99], v[98:99], 2, v[20:21]
	global_load_dword v22, v[98:99], off
	s_branch .LBB97_38
.LBB97_37:                              ;   in Loop: Header=BB97_34 Depth=1
	v_mov_b32_e32 v22, 0
.LBB97_38:                              ;   in Loop: Header=BB97_34 Depth=1
	s_waitcnt vmcnt(0)
	ds_write_b32 v96, v22 offset:64
	v_mov_b32_e32 v22, 0
	s_andn2_b64 vcc, exec, s[6:7]
	v_mov_b32_e32 v98, 0
	s_cbranch_vccnz .LBB97_41
; %bb.39:                               ;   in Loop: Header=BB97_34 Depth=1
	ds_read_b32 v98, v95 offset:4
	s_waitcnt lgkmcnt(0)
	v_cmp_gt_i32_e32 vcc, 0, v98
	s_cbranch_vccnz .LBB97_44
; %bb.40:                               ;   in Loop: Header=BB97_34 Depth=1
	v_mul_lo_u32 v98, v98, s45
	v_add_u32_e32 v98, s40, v98
	v_add_u32_e32 v98, v98, v94
	v_ashrrev_i32_e32 v99, 31, v98
	v_lshl_add_u64 v[98:99], v[98:99], 2, v[20:21]
	global_load_dword v98, v[98:99], off
.LBB97_41:                              ;   in Loop: Header=BB97_34 Depth=1
	s_andn2_b64 vcc, exec, s[8:9]
	s_waitcnt vmcnt(0)
	ds_write_b32 v96, v98 offset:328
	s_cbranch_vccnz .LBB97_46
.LBB97_42:                              ;   in Loop: Header=BB97_34 Depth=1
	ds_read_b32 v22, v95 offset:8
	s_waitcnt lgkmcnt(0)
	v_cmp_gt_i32_e32 vcc, 0, v22
	s_cbranch_vccnz .LBB97_45
; %bb.43:                               ;   in Loop: Header=BB97_34 Depth=1
	v_mul_lo_u32 v22, v22, s45
	v_readlane_b32 s37, v111, 14
	s_nop 1
	v_add_u32_e32 v22, s37, v22
	v_add_u32_e32 v98, v22, v94
	v_ashrrev_i32_e32 v99, 31, v98
	v_lshl_add_u64 v[98:99], v[98:99], 2, v[20:21]
	global_load_dword v22, v[98:99], off
	s_branch .LBB97_46
.LBB97_44:                              ;   in Loop: Header=BB97_34 Depth=1
	v_mov_b32_e32 v98, 0
	s_andn2_b64 vcc, exec, s[8:9]
	ds_write_b32 v96, v98 offset:328
	s_cbranch_vccz .LBB97_42
	s_branch .LBB97_46
.LBB97_45:                              ;   in Loop: Header=BB97_34 Depth=1
	v_mov_b32_e32 v22, 0
.LBB97_46:                              ;   in Loop: Header=BB97_34 Depth=1
	s_waitcnt vmcnt(0)
	ds_write_b32 v96, v22 offset:592
	v_mov_b32_e32 v22, 0
	s_andn2_b64 vcc, exec, s[10:11]
	v_mov_b32_e32 v98, 0
	s_cbranch_vccnz .LBB97_49
; %bb.47:                               ;   in Loop: Header=BB97_34 Depth=1
	ds_read_b32 v98, v95 offset:12
	s_waitcnt lgkmcnt(0)
	v_cmp_gt_i32_e32 vcc, 0, v98
	s_cbranch_vccnz .LBB97_52
; %bb.48:                               ;   in Loop: Header=BB97_34 Depth=1
	v_mul_lo_u32 v98, v98, s45
	s_mul_i32 s37, s40, 3
	v_add_u32_e32 v98, s37, v98
	v_add_u32_e32 v98, v98, v94
	v_ashrrev_i32_e32 v99, 31, v98
	v_lshl_add_u64 v[98:99], v[98:99], 2, v[20:21]
	global_load_dword v98, v[98:99], off
.LBB97_49:                              ;   in Loop: Header=BB97_34 Depth=1
	s_andn2_b64 vcc, exec, s[12:13]
	s_waitcnt vmcnt(0)
	ds_write_b32 v96, v98 offset:856
	s_cbranch_vccnz .LBB97_54
.LBB97_50:                              ;   in Loop: Header=BB97_34 Depth=1
	ds_read_b32 v22, v95 offset:16
	s_waitcnt lgkmcnt(0)
	v_cmp_gt_i32_e32 vcc, 0, v22
	s_cbranch_vccnz .LBB97_53
; %bb.51:                               ;   in Loop: Header=BB97_34 Depth=1
	v_mul_lo_u32 v22, v22, s45
	v_readlane_b32 s37, v111, 15
	s_nop 1
	v_add_u32_e32 v22, s37, v22
	v_add_u32_e32 v98, v22, v94
	v_ashrrev_i32_e32 v99, 31, v98
	v_lshl_add_u64 v[98:99], v[98:99], 2, v[20:21]
	global_load_dword v22, v[98:99], off
	s_branch .LBB97_54
.LBB97_52:                              ;   in Loop: Header=BB97_34 Depth=1
	v_mov_b32_e32 v98, 0
	s_andn2_b64 vcc, exec, s[12:13]
	ds_write_b32 v96, v98 offset:856
	s_cbranch_vccz .LBB97_50
	s_branch .LBB97_54
.LBB97_53:                              ;   in Loop: Header=BB97_34 Depth=1
	v_mov_b32_e32 v22, 0
.LBB97_54:                              ;   in Loop: Header=BB97_34 Depth=1
	s_waitcnt vmcnt(0)
	ds_write_b32 v96, v22 offset:1120
	v_mov_b32_e32 v22, 0
	s_andn2_b64 vcc, exec, s[14:15]
	v_mov_b32_e32 v98, 0
	s_cbranch_vccnz .LBB97_57
; %bb.55:                               ;   in Loop: Header=BB97_34 Depth=1
	ds_read_b32 v98, v95 offset:20
	s_waitcnt lgkmcnt(0)
	v_cmp_gt_i32_e32 vcc, 0, v98
	s_cbranch_vccnz .LBB97_60
; %bb.56:                               ;   in Loop: Header=BB97_34 Depth=1
	v_mul_lo_u32 v98, v98, s45
	s_mul_i32 s37, s40, 5
	v_add_u32_e32 v98, s37, v98
	v_add_u32_e32 v98, v98, v94
	v_ashrrev_i32_e32 v99, 31, v98
	v_lshl_add_u64 v[98:99], v[98:99], 2, v[20:21]
	global_load_dword v98, v[98:99], off
.LBB97_57:                              ;   in Loop: Header=BB97_34 Depth=1
	s_andn2_b64 vcc, exec, s[16:17]
	s_waitcnt vmcnt(0)
	ds_write_b32 v96, v98 offset:1384
	s_cbranch_vccnz .LBB97_62
.LBB97_58:                              ;   in Loop: Header=BB97_34 Depth=1
	ds_read_b32 v22, v95 offset:24
	s_waitcnt lgkmcnt(0)
	v_cmp_gt_i32_e32 vcc, 0, v22
	s_cbranch_vccnz .LBB97_61
; %bb.59:                               ;   in Loop: Header=BB97_34 Depth=1
	v_mul_lo_u32 v22, v22, s45
	s_mul_i32 s37, s40, 6
	v_add_u32_e32 v22, s37, v22
	v_add_u32_e32 v98, v22, v94
	v_ashrrev_i32_e32 v99, 31, v98
	v_lshl_add_u64 v[98:99], v[98:99], 2, v[20:21]
	global_load_dword v22, v[98:99], off
	s_branch .LBB97_62
.LBB97_60:                              ;   in Loop: Header=BB97_34 Depth=1
	v_mov_b32_e32 v98, 0
	s_andn2_b64 vcc, exec, s[16:17]
	ds_write_b32 v96, v98 offset:1384
	s_cbranch_vccz .LBB97_58
	s_branch .LBB97_62
.LBB97_61:                              ;   in Loop: Header=BB97_34 Depth=1
	v_mov_b32_e32 v22, 0
.LBB97_62:                              ;   in Loop: Header=BB97_34 Depth=1
	s_waitcnt vmcnt(0)
	ds_write_b32 v96, v22 offset:1648
	v_mov_b32_e32 v22, 0
	s_andn2_b64 vcc, exec, s[18:19]
	v_mov_b32_e32 v98, 0
	s_cbranch_vccnz .LBB97_65
; %bb.63:                               ;   in Loop: Header=BB97_34 Depth=1
	ds_read_b32 v98, v95 offset:28
	s_waitcnt lgkmcnt(0)
	v_cmp_gt_i32_e32 vcc, 0, v98
	s_cbranch_vccnz .LBB97_68
; %bb.64:                               ;   in Loop: Header=BB97_34 Depth=1
	v_mul_lo_u32 v98, v98, s45
	s_mul_i32 s37, s40, 7
	v_add_u32_e32 v98, s37, v98
	v_add_u32_e32 v98, v98, v94
	v_ashrrev_i32_e32 v99, 31, v98
	v_lshl_add_u64 v[98:99], v[98:99], 2, v[20:21]
	global_load_dword v98, v[98:99], off
.LBB97_65:                              ;   in Loop: Header=BB97_34 Depth=1
	s_andn2_b64 vcc, exec, s[20:21]
	s_waitcnt vmcnt(0)
	ds_write_b32 v96, v98 offset:1912
	s_cbranch_vccnz .LBB97_70
.LBB97_66:                              ;   in Loop: Header=BB97_34 Depth=1
	ds_read_b32 v22, v95 offset:32
	s_waitcnt lgkmcnt(0)
	v_cmp_gt_i32_e32 vcc, 0, v22
	s_cbranch_vccnz .LBB97_69
; %bb.67:                               ;   in Loop: Header=BB97_34 Depth=1
	v_mul_lo_u32 v22, v22, s45
	v_add_u32_e32 v22, s4, v22
	v_add_u32_e32 v98, v22, v94
	v_ashrrev_i32_e32 v99, 31, v98
	v_lshl_add_u64 v[98:99], v[98:99], 2, v[20:21]
	global_load_dword v22, v[98:99], off
	s_branch .LBB97_70
.LBB97_68:                              ;   in Loop: Header=BB97_34 Depth=1
	v_mov_b32_e32 v98, 0
	s_andn2_b64 vcc, exec, s[20:21]
	ds_write_b32 v96, v98 offset:1912
	s_cbranch_vccz .LBB97_66
	s_branch .LBB97_70
.LBB97_69:                              ;   in Loop: Header=BB97_34 Depth=1
	v_mov_b32_e32 v22, 0
.LBB97_70:                              ;   in Loop: Header=BB97_34 Depth=1
	s_waitcnt vmcnt(0)
	ds_write_b32 v96, v22 offset:2176
	v_mov_b32_e32 v22, 0
	s_andn2_b64 vcc, exec, s[22:23]
	v_mov_b32_e32 v98, 0
	s_cbranch_vccnz .LBB97_73
; %bb.71:                               ;   in Loop: Header=BB97_34 Depth=1
	ds_read_b32 v98, v95 offset:36
	s_waitcnt lgkmcnt(0)
	v_cmp_gt_i32_e32 vcc, 0, v98
	s_cbranch_vccnz .LBB97_76
; %bb.72:                               ;   in Loop: Header=BB97_34 Depth=1
	v_mul_lo_u32 v98, v98, s45
	s_mul_i32 s37, s40, 9
	v_add_u32_e32 v98, s37, v98
	v_add_u32_e32 v98, v98, v94
	v_ashrrev_i32_e32 v99, 31, v98
	v_lshl_add_u64 v[98:99], v[98:99], 2, v[20:21]
	global_load_dword v98, v[98:99], off
.LBB97_73:                              ;   in Loop: Header=BB97_34 Depth=1
	s_andn2_b64 vcc, exec, s[24:25]
	s_waitcnt vmcnt(0)
	ds_write_b32 v96, v98 offset:2440
	s_cbranch_vccnz .LBB97_78
.LBB97_74:                              ;   in Loop: Header=BB97_34 Depth=1
	ds_read_b32 v22, v95 offset:40
	s_waitcnt lgkmcnt(0)
	v_cmp_gt_i32_e32 vcc, 0, v22
	s_cbranch_vccnz .LBB97_77
; %bb.75:                               ;   in Loop: Header=BB97_34 Depth=1
	v_mul_lo_u32 v22, v22, s45
	s_mul_i32 s37, s40, 10
	v_add_u32_e32 v22, s37, v22
	v_add_u32_e32 v98, v22, v94
	v_ashrrev_i32_e32 v99, 31, v98
	v_lshl_add_u64 v[98:99], v[98:99], 2, v[20:21]
	global_load_dword v22, v[98:99], off
	s_branch .LBB97_78
.LBB97_76:                              ;   in Loop: Header=BB97_34 Depth=1
	v_mov_b32_e32 v98, 0
	s_andn2_b64 vcc, exec, s[24:25]
	ds_write_b32 v96, v98 offset:2440
	s_cbranch_vccz .LBB97_74
	s_branch .LBB97_78
.LBB97_77:                              ;   in Loop: Header=BB97_34 Depth=1
	v_mov_b32_e32 v22, 0
.LBB97_78:                              ;   in Loop: Header=BB97_34 Depth=1
	s_waitcnt vmcnt(0)
	ds_write_b32 v96, v22 offset:2704
	v_mov_b32_e32 v22, 0
	s_andn2_b64 vcc, exec, s[26:27]
	v_mov_b32_e32 v98, 0
	s_cbranch_vccnz .LBB97_81
; %bb.79:                               ;   in Loop: Header=BB97_34 Depth=1
	ds_read_b32 v98, v95 offset:44
	s_waitcnt lgkmcnt(0)
	v_cmp_gt_i32_e32 vcc, 0, v98
	s_cbranch_vccnz .LBB97_84
; %bb.80:                               ;   in Loop: Header=BB97_34 Depth=1
	v_mul_lo_u32 v98, v98, s45
	s_mul_i32 s37, s40, 11
	v_add_u32_e32 v98, s37, v98
	v_add_u32_e32 v98, v98, v94
	v_ashrrev_i32_e32 v99, 31, v98
	v_lshl_add_u64 v[98:99], v[98:99], 2, v[20:21]
	global_load_dword v98, v[98:99], off
.LBB97_81:                              ;   in Loop: Header=BB97_34 Depth=1
	s_andn2_b64 vcc, exec, s[28:29]
	s_waitcnt vmcnt(0)
	ds_write_b32 v96, v98 offset:2968
	s_cbranch_vccnz .LBB97_33
.LBB97_82:                              ;   in Loop: Header=BB97_34 Depth=1
	ds_read_b32 v22, v95 offset:48
	s_waitcnt lgkmcnt(0)
	v_cmp_gt_i32_e32 vcc, 0, v22
	s_cbranch_vccz .LBB97_32
; %bb.83:                               ;   in Loop: Header=BB97_34 Depth=1
	v_mov_b32_e32 v22, 0
	s_branch .LBB97_33
.LBB97_84:                              ;   in Loop: Header=BB97_34 Depth=1
	v_mov_b32_e32 v98, 0
	s_andn2_b64 vcc, exec, s[28:29]
	ds_write_b32 v96, v98 offset:2968
	s_cbranch_vccnz .LBB97_33
	s_branch .LBB97_82
.LBB97_85:
	s_or_b64 exec, exec, s[38:39]
	v_readlane_b32 s24, v111, 6
	v_readlane_b32 s28, v111, 10
	;; [unrolled: 1-line block ×8, first 2 shown]
.LBB97_86:
	s_waitcnt lgkmcnt(0)
	v_readlane_b32 s0, v111, 4
	v_readlane_b32 s1, v111, 5
	s_or_b64 exec, exec, s[0:1]
	v_mov_b32_e32 v19, 0x100
	v_lshl_add_u32 v18, v92, 2, v19
	v_mul_u32_u24_e32 v20, 0x808, v93
	v_and_b32_e32 v21, 0x3f0, v16
	v_add3_u32 v20, v18, v20, v21
	s_barrier
	s_movk_i32 s0, 0x808
	ds_write2_b32 v20, v8, v9 offset0:16 offset1:17
	ds_write2_b32 v20, v10, v11 offset0:18 offset1:19
	;; [unrolled: 1-line block ×8, first 2 shown]
	v_lshl_add_u32 v11, v16, 2, v19
	v_mad_u32_u24 v0, v17, s0, v11
	s_waitcnt lgkmcnt(0)
	s_barrier
	ds_read2_b32 v[8:9], v0 offset0:16 offset1:80
	ds_read2_b32 v[4:5], v0 offset0:144 offset1:208
	v_add_u32_e32 v0, 64, v0
	ds_read2st64_b32 v[6:7], v0 offset0:4 offset1:5
	ds_read2st64_b32 v[2:3], v0 offset0:6 offset1:7
	v_cmp_gt_u32_e32 vcc, 13, v17
	v_mov_b32_e32 v12, -1
	s_and_saveexec_b64 s[0:1], vcc
; %bb.87:
	s_movk_i32 s2, 0xff04
	v_mad_i32_i24 v0, v17, s2, v18
	ds_read_b32 v12, v0
; %bb.88:
	s_or_b64 exec, exec, s[0:1]
	s_mul_hi_i32 s1, s30, s22
	s_mul_i32 s0, s30, s22
	s_lshl_b64 s[0:1], s[0:1], 2
	v_readlane_b32 s2, v111, 2
	v_mul_hi_i32 v1, v90, s41
	v_mul_lo_u32 v0, v90, s41
	v_readlane_b32 s3, v111, 3
	s_add_u32 s0, s2, s0
	s_addc_u32 s1, s3, s1
	v_lshlrev_b64 v[0:1], 2, v[0:1]
	s_waitcnt lgkmcnt(0)
	v_cmp_lt_i32_e32 vcc, -1, v12
	v_add_u32_e32 v10, s6, v16
	v_lshl_add_u64 v[0:1], s[0:1], 0, v[0:1]
	s_and_b64 s[2:3], vcc, s[24:25]
	s_and_saveexec_b64 s[0:1], s[2:3]
	s_cbranch_execz .LBB97_90
; %bb.89:
	v_add_f32_e32 v8, 0, v8
	v_add_f32_e32 v8, v8, v9
	;; [unrolled: 1-line block ×8, first 2 shown]
	v_mul_lo_u32 v2, v12, s46
	v_mul_lo_u32 v3, v17, s41
	v_add3_u32 v2, v10, v3, v2
	v_mov_b32_e32 v3, 0
	v_lshl_add_u64 v[2:3], v[2:3], 2, v[0:1]
	global_store_dword v[2:3], v4, off
.LBB97_90:
	s_or_b64 exec, exec, s[0:1]
	v_cmp_gt_u32_e32 vcc, 5, v17
	s_and_saveexec_b64 s[0:1], vcc
	s_cbranch_execz .LBB97_93
; %bb.91:
	v_mov_b32_e32 v2, 0x100
	v_lshl_add_u32 v2, v17, 2, v2
	ds_read_b32 v2, v2 offset:32
	v_readlane_b32 s0, v111, 0
	v_readlane_b32 s1, v111, 1
	s_waitcnt lgkmcnt(0)
	v_cmp_lt_i32_e32 vcc, -1, v2
	s_and_b64 s[0:1], vcc, s[0:1]
	s_and_b64 exec, exec, s[0:1]
	s_cbranch_execz .LBB97_93
; %bb.92:
	v_mul_u32_u24_e32 v3, 0x808, v17
	v_add_u32_e32 v3, v3, v11
	v_add_u32_e32 v8, 0x80, v3
	ds_read2st64_b32 v[4:5], v8 offset0:64 offset1:65
	v_mul_lo_u32 v11, v2, s46
	ds_read2st64_b32 v[2:3], v8 offset0:66 offset1:67
	ds_read2st64_b32 v[6:7], v8 offset0:68 offset1:69
	;; [unrolled: 1-line block ×3, first 2 shown]
	s_waitcnt lgkmcnt(3)
	v_add_f32_e32 v4, 0, v4
	v_add_f32_e32 v4, v4, v5
	s_waitcnt lgkmcnt(2)
	v_add_f32_e32 v2, v4, v2
	v_add_f32_e32 v2, v2, v3
	;; [unrolled: 3-line block ×4, first 2 shown]
	v_mul_lo_u32 v2, v91, s41
	v_add3_u32 v2, v10, v2, v11
	v_mov_b32_e32 v3, 0
	v_lshl_add_u64 v[0:1], v[2:3], 2, v[0:1]
	global_store_dword v[0:1], v4, off
.LBB97_93:
	s_endpgm
	.section	.rodata,"a",@progbits
	.p2align	6, 0x0
	.amdhsa_kernel _ZL9mul_mat_fIfLi64ELi13ELi8ELb1EEvPKT_PKfPKiPfiiiiiiiiiiiiiiii
		.amdhsa_group_segment_fixed_size 256
		.amdhsa_private_segment_fixed_size 0
		.amdhsa_kernarg_size 352
		.amdhsa_user_sgpr_count 2
		.amdhsa_user_sgpr_dispatch_ptr 0
		.amdhsa_user_sgpr_queue_ptr 0
		.amdhsa_user_sgpr_kernarg_segment_ptr 1
		.amdhsa_user_sgpr_dispatch_id 0
		.amdhsa_user_sgpr_kernarg_preload_length 0
		.amdhsa_user_sgpr_kernarg_preload_offset 0
		.amdhsa_user_sgpr_private_segment_size 0
		.amdhsa_uses_dynamic_stack 0
		.amdhsa_enable_private_segment 0
		.amdhsa_system_sgpr_workgroup_id_x 1
		.amdhsa_system_sgpr_workgroup_id_y 1
		.amdhsa_system_sgpr_workgroup_id_z 1
		.amdhsa_system_sgpr_workgroup_info 0
		.amdhsa_system_vgpr_workitem_id 2
		.amdhsa_next_free_vgpr 112
		.amdhsa_next_free_sgpr 100
		.amdhsa_accum_offset 112
		.amdhsa_reserve_vcc 1
		.amdhsa_float_round_mode_32 0
		.amdhsa_float_round_mode_16_64 0
		.amdhsa_float_denorm_mode_32 3
		.amdhsa_float_denorm_mode_16_64 3
		.amdhsa_dx10_clamp 1
		.amdhsa_ieee_mode 1
		.amdhsa_fp16_overflow 0
		.amdhsa_tg_split 0
		.amdhsa_exception_fp_ieee_invalid_op 0
		.amdhsa_exception_fp_denorm_src 0
		.amdhsa_exception_fp_ieee_div_zero 0
		.amdhsa_exception_fp_ieee_overflow 0
		.amdhsa_exception_fp_ieee_underflow 0
		.amdhsa_exception_fp_ieee_inexact 0
		.amdhsa_exception_int_div_zero 0
	.end_amdhsa_kernel
	.section	.text._ZL9mul_mat_fIfLi64ELi13ELi8ELb1EEvPKT_PKfPKiPfiiiiiiiiiiiiiiii,"axG",@progbits,_ZL9mul_mat_fIfLi64ELi13ELi8ELb1EEvPKT_PKfPKiPfiiiiiiiiiiiiiiii,comdat
.Lfunc_end97:
	.size	_ZL9mul_mat_fIfLi64ELi13ELi8ELb1EEvPKT_PKfPKiPfiiiiiiiiiiiiiiii, .Lfunc_end97-_ZL9mul_mat_fIfLi64ELi13ELi8ELb1EEvPKT_PKfPKiPfiiiiiiiiiiiiiiii
                                        ; -- End function
	.set _ZL9mul_mat_fIfLi64ELi13ELi8ELb1EEvPKT_PKfPKiPfiiiiiiiiiiiiiiii.num_vgpr, 112
	.set _ZL9mul_mat_fIfLi64ELi13ELi8ELb1EEvPKT_PKfPKiPfiiiiiiiiiiiiiiii.num_agpr, 0
	.set _ZL9mul_mat_fIfLi64ELi13ELi8ELb1EEvPKT_PKfPKiPfiiiiiiiiiiiiiiii.numbered_sgpr, 100
	.set _ZL9mul_mat_fIfLi64ELi13ELi8ELb1EEvPKT_PKfPKiPfiiiiiiiiiiiiiiii.num_named_barrier, 0
	.set _ZL9mul_mat_fIfLi64ELi13ELi8ELb1EEvPKT_PKfPKiPfiiiiiiiiiiiiiiii.private_seg_size, 0
	.set _ZL9mul_mat_fIfLi64ELi13ELi8ELb1EEvPKT_PKfPKiPfiiiiiiiiiiiiiiii.uses_vcc, 1
	.set _ZL9mul_mat_fIfLi64ELi13ELi8ELb1EEvPKT_PKfPKiPfiiiiiiiiiiiiiiii.uses_flat_scratch, 0
	.set _ZL9mul_mat_fIfLi64ELi13ELi8ELb1EEvPKT_PKfPKiPfiiiiiiiiiiiiiiii.has_dyn_sized_stack, 0
	.set _ZL9mul_mat_fIfLi64ELi13ELi8ELb1EEvPKT_PKfPKiPfiiiiiiiiiiiiiiii.has_recursion, 0
	.set _ZL9mul_mat_fIfLi64ELi13ELi8ELb1EEvPKT_PKfPKiPfiiiiiiiiiiiiiiii.has_indirect_call, 0
	.section	.AMDGPU.csdata,"",@progbits
; Kernel info:
; codeLenInByte = 7512
; TotalNumSgprs: 106
; NumVgprs: 112
; NumAgprs: 0
; TotalNumVgprs: 112
; ScratchSize: 0
; MemoryBound: 0
; FloatMode: 240
; IeeeMode: 1
; LDSByteSize: 256 bytes/workgroup (compile time only)
; SGPRBlocks: 13
; VGPRBlocks: 13
; NumSGPRsForWavesPerEU: 106
; NumVGPRsForWavesPerEU: 112
; AccumOffset: 112
; Occupancy: 4
; WaveLimiterHint : 0
; COMPUTE_PGM_RSRC2:SCRATCH_EN: 0
; COMPUTE_PGM_RSRC2:USER_SGPR: 2
; COMPUTE_PGM_RSRC2:TRAP_HANDLER: 0
; COMPUTE_PGM_RSRC2:TGID_X_EN: 1
; COMPUTE_PGM_RSRC2:TGID_Y_EN: 1
; COMPUTE_PGM_RSRC2:TGID_Z_EN: 1
; COMPUTE_PGM_RSRC2:TIDIG_COMP_CNT: 2
; COMPUTE_PGM_RSRC3_GFX90A:ACCUM_OFFSET: 27
; COMPUTE_PGM_RSRC3_GFX90A:TG_SPLIT: 0
	.section	.text._ZL9mul_mat_fIfLi64ELi13ELi8ELb0EEvPKT_PKfPKiPfiiiiiiiiiiiiiiii,"axG",@progbits,_ZL9mul_mat_fIfLi64ELi13ELi8ELb0EEvPKT_PKfPKiPfiiiiiiiiiiiiiiii,comdat
	.globl	_ZL9mul_mat_fIfLi64ELi13ELi8ELb0EEvPKT_PKfPKiPfiiiiiiiiiiiiiiii ; -- Begin function _ZL9mul_mat_fIfLi64ELi13ELi8ELb0EEvPKT_PKfPKiPfiiiiiiiiiiiiiiii
	.p2align	8
	.type	_ZL9mul_mat_fIfLi64ELi13ELi8ELb0EEvPKT_PKfPKiPfiiiiiiiiiiiiiiii,@function
_ZL9mul_mat_fIfLi64ELi13ELi8ELb0EEvPKT_PKfPKiPfiiiiiiiiiiiiiiii: ; @_ZL9mul_mat_fIfLi64ELi13ELi8ELb0EEvPKT_PKfPKiPfiiiiiiiiiiiiiiii
; %bb.0:
	s_load_dword s5, s[0:1], 0x20
	s_load_dwordx4 s[16:19], s[0:1], 0x2c
	v_bfe_u32 v62, v0, 10, 10
	v_lshlrev_b32_e32 v64, 6, v62
	v_and_b32_e32 v63, 0x3ff, v0
	v_add_u32_e32 v66, v64, v63
	s_waitcnt lgkmcnt(0)
	s_ashr_i32 s19, s4, 31
	v_cmp_le_i32_e32 vcc, s5, v66
	v_and_b32_e32 v65, 15, v63
	s_and_saveexec_b64 s[6:7], vcc
	s_xor_b64 s[6:7], exec, s[6:7]
; %bb.1:
	v_and_b32_e32 v65, 15, v63
                                        ; implicit-def: $vgpr66
; %bb.2:
	s_or_saveexec_b64 s[24:25], s[6:7]
	s_load_dwordx8 s[8:15], s[0:1], 0x40
	s_load_dwordx2 s[6:7], s[0:1], 0x18
	v_mov_b32_e32 v11, 0
	s_lshl_b32 s2, s2, 6
	v_mov_b32_e32 v10, v11
	v_mov_b32_e32 v9, v11
	;; [unrolled: 1-line block ×15, first 2 shown]
	s_xor_b64 exec, exec, s[24:25]
	s_cbranch_execz .LBB98_6
; %bb.3:
	s_waitcnt lgkmcnt(0)
	s_abs_i32 s26, s8
	v_cvt_f32_u32_e32 v0, s26
	s_abs_i32 s27, s12
	v_cvt_f32_u32_e32 v1, s27
	s_sub_i32 s20, 0, s26
	v_rcp_iflag_f32_e32 v0, v0
	s_abs_i32 s28, s3
	v_rcp_iflag_f32_e32 v1, v1
	s_sub_i32 s21, 0, s27
	v_mul_f32_e32 v0, 0x4f7ffffe, v0
	v_cvt_u32_f32_e32 v0, v0
	v_mul_f32_e32 v1, 0x4f7ffffe, v1
	v_cvt_u32_f32_e32 v1, v1
	s_abs_i32 s29, s4
	v_mul_lo_u32 v2, s20, v0
	v_mul_hi_u32 v2, v0, v2
	v_add_u32_e32 v0, v0, v2
	v_mul_hi_u32 v0, s28, v0
	v_mul_lo_u32 v3, s21, v1
	v_mul_lo_u32 v2, v0, s26
	v_mul_hi_u32 v3, v1, v3
	v_sub_u32_e32 v2, s28, v2
	v_add_u32_e32 v1, v1, v3
	v_add_u32_e32 v3, 1, v0
	v_subrev_u32_e32 v4, s26, v2
	v_cmp_le_u32_e32 vcc, s26, v2
	s_load_dwordx4 s[20:23], s[0:1], 0x0
	s_ashr_i32 s0, s3, 31
	v_cndmask_b32_e32 v0, v0, v3, vcc
	v_cndmask_b32_e32 v2, v2, v4, vcc
	s_ashr_i32 s1, s8, 31
	v_add_u32_e32 v3, 1, v0
	v_cmp_le_u32_e32 vcc, s26, v2
	s_xor_b32 s0, s0, s1
	v_mul_hi_u32 v1, s29, v1
	v_cndmask_b32_e32 v0, v0, v3, vcc
	v_xor_b32_e32 v0, s0, v0
	v_subrev_u32_e32 v2, s0, v0
	v_mul_lo_u32 v0, v1, s27
	v_sub_u32_e32 v0, s29, v0
	v_add_u32_e32 v3, 1, v1
	v_subrev_u32_e32 v4, s27, v0
	v_cmp_le_u32_e32 vcc, s27, v0
	s_ashr_i32 s8, s12, 31
	s_xor_b32 s0, s19, s8
	v_cndmask_b32_e32 v1, v1, v3, vcc
	v_cndmask_b32_e32 v0, v0, v4, vcc
	v_add_u32_e32 v3, 1, v1
	v_cmp_le_u32_e32 vcc, s27, v0
	v_mul_lo_u32 v2, v2, s9
	s_mul_hi_i32 s9, s14, s4
	v_cndmask_b32_e32 v0, v1, v3, vcc
	s_mul_i32 s8, s14, s4
	v_xor_b32_e32 v0, s0, v0
	s_lshl_b64 s[8:9], s[8:9], 2
	v_subrev_u32_e32 v0, s0, v0
	s_mul_i32 s0, s16, s2
	s_mul_i32 s26, s10, s3
	s_waitcnt lgkmcnt(0)
	s_add_u32 s10, s22, s8
	v_mul_hi_i32 v1, v0, s13
	v_mul_lo_u32 v0, v0, s13
	s_addc_u32 s14, s23, s9
	s_ashr_i32 s1, s0, 31
	s_ashr_i32 s27, s26, 31
	v_ashrrev_i32_e32 v3, 31, v2
	v_lshlrev_b64 v[0:1], 2, v[0:1]
	s_lshl_b64 s[12:13], s[0:1], 2
	s_lshl_b64 s[26:27], s[26:27], 2
	v_lshl_add_u64 v[4:5], s[20:21], 0, v[0:1]
	v_lshlrev_b64 v[2:3], 2, v[2:3]
	s_add_u32 s0, s10, s26
	v_lshl_add_u64 v[4:5], v[4:5], 0, v[2:3]
	s_addc_u32 s1, s14, s27
	s_movk_i32 s10, 0x1080
	s_ashr_i32 s69, s16, 31
	s_mov_b32 s68, s16
	s_ashr_i32 s71, s17, 31
	s_mov_b32 s70, s17
	v_lshl_add_u64 v[16:17], v[4:5], 0, s[12:13]
	v_mad_u32_u24 v4, v62, s10, 0
	v_lshrrev_b32_e32 v6, 1, v63
	s_add_i32 s10, s16, s16
	s_add_i32 s14, s17, s17
	s_lshl_b32 s28, s17, 2
	s_lshl_b32 s33, s17, 3
	;; [unrolled: 1-line block ×6, first 2 shown]
	s_lshl_b64 s[72:73], s[68:69], 2
	s_lshl_b64 s[74:75], s[70:71], 2
	v_mul_u32_u24_e32 v5, 0x108, v65
	v_and_b32_e32 v6, 0x1f8, v6
	s_add_u32 s76, s22, s26
	v_mov_b32_e32 v19, 0
	v_add3_u32 v68, v4, v5, v6
	s_addc_u32 s77, s23, s27
	v_lshl_add_u64 v[2:3], s[20:21], 0, v[2:3]
	v_lshlrev_b32_e32 v6, 8, v62
	v_mov_b32_e32 v7, v19
	v_lshlrev_b32_e32 v18, 2, v63
	v_lshl_add_u64 v[2:3], v[2:3], 0, s[12:13]
	v_lshl_add_u64 v[8:9], s[8:9], 0, v[6:7]
	s_add_u32 s8, s76, s74
	v_add_u32_e32 v67, v4, v18
	v_lshl_add_u64 v[4:5], v[2:3], 0, s[72:73]
	s_addc_u32 s9, s77, s75
	v_lshl_add_u64 v[0:1], v[0:1], 0, v[6:7]
	s_mul_i32 s19, s17, 3
	s_mul_i32 s29, s17, 5
	;; [unrolled: 1-line block ×47, first 2 shown]
	v_lshl_add_u64 v[20:21], s[8:9], 0, v[8:9]
	s_mul_i32 s74, s16, 46
	s_mul_i32 s75, s16, 47
	v_lshl_add_u64 v[22:23], s[76:77], 0, v[8:9]
	s_mul_i32 s76, s16, 48
	s_mul_i32 s77, s16, 49
	v_lshl_add_u64 v[24:25], v[4:5], 0, v[0:1]
	v_lshl_add_u64 v[26:27], v[2:3], 0, v[0:1]
	v_mov_b32_e32 v12, v19
	v_mov_b32_e32 v13, v19
	;; [unrolled: 1-line block ×15, first 2 shown]
	s_mul_i32 s78, s16, 50
	s_mul_i32 s79, s16, 51
	;; [unrolled: 1-line block ×14, first 2 shown]
	s_mov_b64 s[8:9], 0
	s_mov_b64 s[12:13], 0x800
.LBB98_4:                               ; =>This Inner Loop Header: Depth=1
	v_add_u32_e32 v52, s10, v66
	v_add_u32_e32 v48, s38, v66
	v_add_u32_e32 v44, s40, v66
	v_add_u32_e32 v40, s42, v66
	v_add_u32_e32 v32, s44, v66
	v_add_u32_e32 v30, s46, v66
	v_add_u32_e32 v28, s48, v66
	v_add_u32_e32 v34, s49, v66
	v_add_u32_e32 v56, s37, v66
	v_add_u32_e32 v54, s39, v66
	v_add_u32_e32 v50, s41, v66
	v_add_u32_e32 v46, s43, v66
	v_add_u32_e32 v42, s45, v66
	v_add_u32_e32 v38, s47, v66
	v_add_u32_e32 v36, s50, v66
	v_add_u32_e32 v74, s51, v66
	v_ashrrev_i32_e32 v53, 31, v52
	v_ashrrev_i32_e32 v49, 31, v48
	;; [unrolled: 1-line block ×8, first 2 shown]
	v_lshl_add_u64 v[58:59], v[26:27], 0, v[18:19]
	v_lshl_add_u64 v[60:61], v[24:25], 0, v[18:19]
	;; [unrolled: 1-line block ×3, first 2 shown]
	v_add_u32_e32 v76, s52, v66
	v_add_u32_e32 v78, s53, v66
	v_ashrrev_i32_e32 v57, 31, v56
	v_lshl_add_u64 v[52:53], v[52:53], 2, v[16:17]
	v_ashrrev_i32_e32 v55, 31, v54
	v_lshl_add_u64 v[48:49], v[48:49], 2, v[16:17]
	;; [unrolled: 2-line block ×6, first 2 shown]
	v_lshl_add_u64 v[28:29], v[28:29], 2, v[16:17]
	v_lshl_add_u64 v[34:35], v[34:35], 2, v[16:17]
	v_ashrrev_i32_e32 v37, 31, v36
	v_ashrrev_i32_e32 v75, 31, v74
	v_lshl_add_u64 v[72:73], v[20:21], 0, v[18:19]
	v_add_u32_e32 v80, s54, v66
	v_add_u32_e32 v82, s55, v66
	global_load_dword v69, v[58:59], off
	s_nop 0
	global_load_dword v60, v[60:61], off
	s_nop 0
	global_load_dword v58, v[70:71], off
	global_load_dword v59, v[72:73], off
	v_lshl_add_u64 v[56:57], v[56:57], 2, v[16:17]
	global_load_dword v52, v[52:53], off
	s_nop 0
	global_load_dword v53, v[56:57], off
	v_lshl_add_u64 v[54:55], v[54:55], 2, v[16:17]
	global_load_dword v48, v[48:49], off
	s_nop 0
	;; [unrolled: 4-line block ×6, first 2 shown]
	global_load_dword v31, v[38:39], off
	s_nop 0
	global_load_dword v28, v[28:29], off
	s_nop 0
	global_load_dword v29, v[34:35], off
	v_lshl_add_u64 v[34:35], v[36:37], 2, v[16:17]
	v_lshl_add_u64 v[36:37], v[74:75], 2, v[16:17]
	v_ashrrev_i32_e32 v77, 31, v76
	v_ashrrev_i32_e32 v79, 31, v78
	v_add_u32_e32 v84, s56, v66
	v_add_u32_e32 v86, s57, v66
	global_load_dword v34, v[34:35], off
	s_nop 0
	global_load_dword v35, v[36:37], off
	v_lshl_add_u64 v[36:37], v[76:77], 2, v[16:17]
	v_lshl_add_u64 v[42:43], v[78:79], 2, v[16:17]
	v_ashrrev_i32_e32 v81, 31, v80
	v_ashrrev_i32_e32 v83, 31, v82
	v_add_u32_e32 v88, s58, v66
	v_add_u32_e32 v90, s59, v66
	;; [unrolled: 9-line block ×6, first 2 shown]
	v_add_u32_e32 v74, s22, v66
	v_add_u32_e32 v76, s23, v66
	global_load_dword v54, v[54:55], off
	s_nop 0
	global_load_dword v55, v[56:57], off
	v_lshl_add_u64 v[56:57], v[72:73], 2, v[16:17]
	v_lshl_add_u64 v[70:71], v[92:93], 2, v[16:17]
	v_ashrrev_i32_e32 v95, 31, v94
	v_ashrrev_i32_e32 v97, 31, v96
	v_add_u32_e32 v78, s20, v66
	v_add_u32_e32 v80, s21, v66
	global_load_dword v56, v[56:57], off
	s_nop 0
	global_load_dword v57, v[70:71], off
	v_lshl_add_u64 v[70:71], v[94:95], 2, v[16:17]
	v_lshl_add_u64 v[72:73], v[96:97], 2, v[16:17]
	v_ashrrev_i32_e32 v39, 31, v38
	v_ashrrev_i32_e32 v99, 31, v98
	v_ashrrev_i32_e32 v75, 31, v74
	v_ashrrev_i32_e32 v77, 31, v76
	v_add_u32_e32 v82, s26, v66
	v_add_u32_e32 v84, s27, v66
	global_load_dword v61, v[70:71], off
	s_nop 0
	global_load_dword v70, v[72:73], off
	v_lshl_add_u64 v[38:39], v[38:39], 2, v[16:17]
	v_lshl_add_u64 v[72:73], v[98:99], 2, v[16:17]
	;; [unrolled: 1-line block ×4, first 2 shown]
	v_ashrrev_i32_e32 v79, 31, v78
	v_ashrrev_i32_e32 v81, 31, v80
	v_add_u32_e32 v86, s68, v66
	v_add_u32_e32 v88, s69, v66
	global_load_dword v71, v[38:39], off
	s_nop 0
	global_load_dword v72, v[72:73], off
	s_nop 0
	;; [unrolled: 2-line block ×3, first 2 shown]
	global_load_dword v74, v[76:77], off
	v_lshl_add_u64 v[76:77], v[78:79], 2, v[16:17]
	v_lshl_add_u64 v[78:79], v[80:81], 2, v[16:17]
	v_ashrrev_i32_e32 v83, 31, v82
	v_ashrrev_i32_e32 v85, 31, v84
	v_add_u32_e32 v38, s70, v66
	v_add_u32_e32 v90, s71, v66
	global_load_dword v75, v[76:77], off
	s_nop 0
	global_load_dword v76, v[78:79], off
	v_lshl_add_u64 v[78:79], v[82:83], 2, v[16:17]
	v_lshl_add_u64 v[80:81], v[84:85], 2, v[16:17]
	v_ashrrev_i32_e32 v87, 31, v86
	v_ashrrev_i32_e32 v89, 31, v88
	global_load_dword v77, v[78:79], off
	s_nop 0
	global_load_dword v78, v[80:81], off
	v_lshl_add_u64 v[80:81], v[86:87], 2, v[16:17]
	v_lshl_add_u64 v[82:83], v[88:89], 2, v[16:17]
	v_ashrrev_i32_e32 v39, 31, v38
	v_ashrrev_i32_e32 v91, 31, v90
	global_load_dword v79, v[80:81], off
	s_nop 0
	global_load_dword v80, v[82:83], off
	v_lshl_add_u64 v[38:39], v[38:39], 2, v[16:17]
	v_lshl_add_u64 v[82:83], v[90:91], 2, v[16:17]
	v_add_u32_e32 v92, s72, v66
	v_add_u32_e32 v84, s73, v66
	;; [unrolled: 1-line block ×3, first 2 shown]
	global_load_dword v81, v[38:39], off
	s_nop 0
	global_load_dword v82, v[82:83], off
	v_add_u32_e32 v38, s75, v66
	v_ashrrev_i32_e32 v93, 31, v92
	v_ashrrev_i32_e32 v85, 31, v84
	v_ashrrev_i32_e32 v87, 31, v86
	v_ashrrev_i32_e32 v39, 31, v38
	v_lshl_add_u64 v[88:89], v[92:93], 2, v[16:17]
	v_lshl_add_u64 v[84:85], v[84:85], 2, v[16:17]
	v_lshl_add_u64 v[86:87], v[86:87], 2, v[16:17]
	v_lshl_add_u64 v[38:39], v[38:39], 2, v[16:17]
	global_load_dword v83, v[88:89], off
	s_nop 0
	global_load_dword v88, v[84:85], off
	v_add_u32_e32 v84, s76, v66
	global_load_dword v89, v[86:87], off
	global_load_dword v90, v[38:39], off
	v_add_u32_e32 v38, s77, v66
	v_ashrrev_i32_e32 v85, 31, v84
	v_ashrrev_i32_e32 v39, 31, v38
	v_lshl_add_u64 v[84:85], v[84:85], 2, v[16:17]
	v_lshl_add_u64 v[38:39], v[38:39], 2, v[16:17]
	global_load_dword v91, v[84:85], off
	global_load_dword v92, v[38:39], off
	v_add_u32_e32 v38, s78, v66
	v_ashrrev_i32_e32 v39, 31, v38
	v_lshl_add_u64 v[38:39], v[38:39], 2, v[16:17]
	global_load_dword v93, v[38:39], off
	v_add_u32_e32 v38, s79, v66
	v_ashrrev_i32_e32 v39, 31, v38
	v_lshl_add_u64 v[38:39], v[38:39], 2, v[16:17]
	global_load_dword v94, v[38:39], off
	v_add_u32_e32 v38, s80, v66
	v_ashrrev_i32_e32 v39, 31, v38
	v_lshl_add_u64 v[38:39], v[38:39], 2, v[16:17]
	global_load_dword v95, v[38:39], off
	v_add_u32_e32 v38, s81, v66
	v_ashrrev_i32_e32 v39, 31, v38
	v_lshl_add_u64 v[38:39], v[38:39], 2, v[16:17]
	global_load_dword v96, v[38:39], off
	v_add_u32_e32 v38, s82, v66
	v_ashrrev_i32_e32 v39, 31, v38
	v_lshl_add_u64 v[38:39], v[38:39], 2, v[16:17]
	global_load_dword v97, v[38:39], off
	v_add_u32_e32 v38, s83, v66
	v_ashrrev_i32_e32 v39, 31, v38
	v_lshl_add_u64 v[38:39], v[38:39], 2, v[16:17]
	global_load_dword v98, v[38:39], off
	v_add_u32_e32 v38, s84, v66
	v_ashrrev_i32_e32 v39, 31, v38
	v_lshl_add_u64 v[38:39], v[38:39], 2, v[16:17]
	global_load_dword v99, v[38:39], off
	v_add_u32_e32 v38, s85, v66
	v_ashrrev_i32_e32 v39, 31, v38
	v_lshl_add_u64 v[38:39], v[38:39], 2, v[16:17]
	global_load_dword v100, v[38:39], off
	v_add_u32_e32 v38, s86, v66
	v_ashrrev_i32_e32 v39, 31, v38
	v_lshl_add_u64 v[38:39], v[38:39], 2, v[16:17]
	global_load_dword v101, v[38:39], off
	v_add_u32_e32 v38, s87, v66
	v_ashrrev_i32_e32 v39, 31, v38
	v_lshl_add_u64 v[38:39], v[38:39], 2, v[16:17]
	global_load_dword v102, v[38:39], off
	v_add_u32_e32 v38, s88, v66
	v_ashrrev_i32_e32 v39, 31, v38
	v_lshl_add_u64 v[38:39], v[38:39], 2, v[16:17]
	global_load_dword v103, v[38:39], off
	v_add_u32_e32 v38, s89, v66
	v_ashrrev_i32_e32 v39, 31, v38
	v_lshl_add_u64 v[38:39], v[38:39], 2, v[16:17]
	global_load_dword v104, v[38:39], off
	v_add_u32_e32 v38, s90, v66
	v_ashrrev_i32_e32 v39, 31, v38
	v_lshl_add_u64 v[38:39], v[38:39], 2, v[16:17]
	global_load_dword v105, v[38:39], off
	v_add_u32_e32 v38, s16, v66
	v_ashrrev_i32_e32 v39, 31, v38
	v_lshl_add_u64 v[38:39], v[38:39], 2, v[16:17]
	global_load_dword v106, v[38:39], off
	v_add_u32_e32 v38, s14, v66
	v_ashrrev_i32_e32 v39, 31, v38
	v_lshl_add_u64 v[38:39], v[38:39], 2, s[0:1]
	global_load_dword v107, v[38:39], off
	v_add_u32_e32 v38, s19, v66
	v_ashrrev_i32_e32 v39, 31, v38
	v_lshl_add_u64 v[38:39], v[38:39], 2, s[0:1]
	global_load_dword v108, v[38:39], off
	v_add_u32_e32 v38, s28, v66
	v_ashrrev_i32_e32 v39, 31, v38
	v_lshl_add_u64 v[38:39], v[38:39], 2, s[0:1]
	global_load_dword v109, v[38:39], off
	v_add_u32_e32 v38, s29, v66
	v_ashrrev_i32_e32 v39, 31, v38
	v_lshl_add_u64 v[38:39], v[38:39], 2, s[0:1]
	global_load_dword v110, v[38:39], off
	v_add_u32_e32 v38, s30, v66
	v_ashrrev_i32_e32 v39, 31, v38
	v_lshl_add_u64 v[38:39], v[38:39], 2, s[0:1]
	global_load_dword v111, v[38:39], off
	v_add_u32_e32 v38, s31, v66
	v_ashrrev_i32_e32 v39, 31, v38
	v_lshl_add_u64 v[38:39], v[38:39], 2, s[0:1]
	global_load_dword v112, v[38:39], off
	v_add_u32_e32 v38, s33, v66
	v_ashrrev_i32_e32 v39, 31, v38
	v_lshl_add_u64 v[38:39], v[38:39], 2, s[0:1]
	global_load_dword v113, v[38:39], off
	v_add_u32_e32 v38, s34, v66
	v_ashrrev_i32_e32 v39, 31, v38
	v_lshl_add_u64 v[38:39], v[38:39], 2, s[0:1]
	global_load_dword v114, v[38:39], off
	v_add_u32_e32 v38, s35, v66
	v_ashrrev_i32_e32 v39, 31, v38
	v_lshl_add_u64 v[38:39], v[38:39], 2, s[0:1]
	global_load_dword v115, v[38:39], off
	v_add_u32_e32 v38, s36, v66
	v_ashrrev_i32_e32 v39, 31, v38
	v_lshl_add_u64 v[38:39], v[38:39], 2, s[0:1]
	global_load_dword v116, v[38:39], off
	v_add_u32_e32 v38, s17, v66
	v_ashrrev_i32_e32 v39, 31, v38
	v_lshl_add_u64 v[38:39], v[38:39], 2, s[0:1]
	global_load_dword v117, v[38:39], off
	s_waitcnt vmcnt(62)
	ds_write_b32 v67, v69
	ds_write_b32 v67, v60 offset:264
	ds_write_b32 v67, v52 offset:528
	;; [unrolled: 1-line block ×12, first 2 shown]
	s_waitcnt vmcnt(61)
	ds_write_b32 v67, v31 offset:3432
	s_waitcnt vmcnt(60)
	ds_write_b32 v67, v28 offset:3696
	s_waitcnt vmcnt(59)
	ds_write_b32 v67, v29 offset:3960
	ds_read_b64 v[44:45], v68
	ds_read_b64 v[48:49], v68 offset:32
	ds_read_b64 v[52:53], v68 offset:64
	ds_read_b64 v[84:85], v68 offset:96
	ds_read_b64 v[86:87], v68 offset:128
	ds_read_b64 v[38:39], v68 offset:160
	ds_read_b64 v[32:33], v68 offset:192
	ds_read_b64 v[28:29], v68 offset:224
	s_waitcnt vmcnt(58)
	ds_write_b32 v67, v34
	s_waitcnt vmcnt(57)
	ds_write_b32 v67, v35 offset:264
	s_waitcnt vmcnt(56)
	ds_write_b32 v67, v36 offset:528
	s_waitcnt vmcnt(55)
	ds_write_b32 v67, v37 offset:792
	s_waitcnt vmcnt(54)
	ds_write_b32 v67, v42 offset:1056
	s_waitcnt vmcnt(53)
	ds_write_b32 v67, v43 offset:1320
	s_waitcnt vmcnt(52)
	ds_write_b32 v67, v46 offset:1584
	s_waitcnt vmcnt(51)
	ds_write_b32 v67, v47 offset:1848
	s_waitcnt vmcnt(50)
	ds_write_b32 v67, v50 offset:2112
	s_waitcnt vmcnt(49)
	ds_write_b32 v67, v51 offset:2376
	s_waitcnt vmcnt(48)
	ds_write_b32 v67, v54 offset:2640
	s_waitcnt vmcnt(47)
	ds_write_b32 v67, v55 offset:2904
	s_waitcnt vmcnt(46)
	ds_write_b32 v67, v56 offset:3168
	s_waitcnt vmcnt(45)
	ds_write_b32 v67, v57 offset:3432
	s_waitcnt vmcnt(44)
	ds_write_b32 v67, v61 offset:3696
	s_waitcnt vmcnt(43)
	ds_write_b32 v67, v70 offset:3960
	ds_read_b64 v[42:43], v68
	ds_read_b64 v[46:47], v68 offset:32
	ds_read_b64 v[50:51], v68 offset:64
	ds_read_b64 v[54:55], v68 offset:96
	ds_read_b64 v[56:57], v68 offset:128
	ds_read_b64 v[60:61], v68 offset:160
	ds_read_b64 v[40:41], v68 offset:192
	ds_read_b64 v[30:31], v68 offset:224
	s_waitcnt vmcnt(42)
	ds_write_b32 v67, v71
	s_waitcnt vmcnt(41)
	ds_write_b32 v67, v72 offset:264
	s_waitcnt vmcnt(40)
	ds_write_b32 v67, v73 offset:528
	s_waitcnt vmcnt(39)
	ds_write_b32 v67, v74 offset:792
	s_waitcnt vmcnt(38)
	ds_write_b32 v67, v75 offset:1056
	s_waitcnt vmcnt(37)
	ds_write_b32 v67, v76 offset:1320
	s_waitcnt vmcnt(36)
	ds_write_b32 v67, v77 offset:1584
	s_waitcnt vmcnt(35)
	ds_write_b32 v67, v78 offset:1848
	s_waitcnt vmcnt(34)
	ds_write_b32 v67, v79 offset:2112
	s_waitcnt vmcnt(33)
	ds_write_b32 v67, v80 offset:2376
	s_waitcnt vmcnt(32)
	ds_write_b32 v67, v81 offset:2640
	s_waitcnt vmcnt(31)
	ds_write_b32 v67, v82 offset:2904
	s_waitcnt vmcnt(30)
	ds_write_b32 v67, v83 offset:3168
	;; [unrolled: 40-line block ×3, first 2 shown]
	s_waitcnt vmcnt(13)
	ds_write_b32 v67, v104 offset:3432
	s_waitcnt vmcnt(12)
	ds_write_b32 v67, v105 offset:3696
	s_waitcnt vmcnt(11)
	ds_write_b32 v67, v106 offset:3960
	ds_read_b64 v[88:89], v68
	ds_read_b64 v[90:91], v68 offset:32
	ds_read_b64 v[92:93], v68 offset:64
	;; [unrolled: 1-line block ×7, first 2 shown]
	ds_write_b32 v67, v58
	ds_write_b32 v67, v59 offset:264
	s_waitcnt vmcnt(10)
	ds_write_b32 v67, v107 offset:528
	s_waitcnt vmcnt(9)
	;; [unrolled: 2-line block ×11, first 2 shown]
	ds_write_b32 v67, v117 offset:3168
	ds_write_b32 v67, v19 offset:3432
	;; [unrolled: 1-line block ×4, first 2 shown]
	ds_read_b64 v[58:59], v68
	s_waitcnt lgkmcnt(0)
	v_mfma_f32_16x16x4_f32 v[8:11], v44, v58, v[8:11]
	v_add_u32_e32 v66, 0x200, v66
	v_cmp_le_i32_e32 vcc, s5, v66
	v_lshl_add_u64 v[24:25], v[24:25], 0, s[12:13]
	v_lshl_add_u64 v[26:27], v[26:27], 0, s[12:13]
	;; [unrolled: 1-line block ×3, first 2 shown]
	s_or_b64 s[8:9], vcc, s[8:9]
	v_lshl_add_u64 v[22:23], v[22:23], 0, s[12:13]
	v_mfma_f32_16x16x4_f32 v[4:7], v42, v58, v[4:7]
	v_mfma_f32_16x16x4_f32 v[0:3], v70, v58, v[0:3]
	;; [unrolled: 1-line block ×5, first 2 shown]
	ds_read_b64 v[42:43], v68 offset:32
	v_mfma_f32_16x16x4_f32 v[0:3], v71, v59, v[0:3]
	v_mfma_f32_16x16x4_f32 v[12:15], v89, v59, v[12:15]
	s_waitcnt lgkmcnt(0)
	v_mfma_f32_16x16x4_f32 v[8:11], v48, v42, v[8:11]
	v_mfma_f32_16x16x4_f32 v[4:7], v46, v42, v[4:7]
	v_mfma_f32_16x16x4_f32 v[0:3], v72, v42, v[0:3]
	v_mfma_f32_16x16x4_f32 v[12:15], v90, v42, v[12:15]
	v_mfma_f32_16x16x4_f32 v[8:11], v49, v43, v[8:11]
	v_mfma_f32_16x16x4_f32 v[4:7], v47, v43, v[4:7]
	v_mfma_f32_16x16x4_f32 v[0:3], v73, v43, v[0:3]
	v_mfma_f32_16x16x4_f32 v[12:15], v91, v43, v[12:15]
	ds_read_b64 v[42:43], v68 offset:64
	s_waitcnt lgkmcnt(0)
	v_mfma_f32_16x16x4_f32 v[8:11], v52, v42, v[8:11]
	v_mfma_f32_16x16x4_f32 v[4:7], v50, v42, v[4:7]
	v_mfma_f32_16x16x4_f32 v[0:3], v74, v42, v[0:3]
	v_mfma_f32_16x16x4_f32 v[12:15], v92, v42, v[12:15]
	v_mfma_f32_16x16x4_f32 v[8:11], v53, v43, v[8:11]
	v_mfma_f32_16x16x4_f32 v[4:7], v51, v43, v[4:7]
	v_mfma_f32_16x16x4_f32 v[0:3], v75, v43, v[0:3]
	v_mfma_f32_16x16x4_f32 v[12:15], v93, v43, v[12:15]
	ds_read_b64 v[42:43], v68 offset:96
	;; [unrolled: 10-line block ×4, first 2 shown]
	s_waitcnt lgkmcnt(0)
	v_mfma_f32_16x16x4_f32 v[8:11], v38, v42, v[8:11]
	v_mfma_f32_16x16x4_f32 v[4:7], v60, v42, v[4:7]
	;; [unrolled: 1-line block ×5, first 2 shown]
	ds_read_b64 v[38:39], v68 offset:192
	v_mfma_f32_16x16x4_f32 v[4:7], v61, v43, v[4:7]
	v_mfma_f32_16x16x4_f32 v[0:3], v81, v43, v[0:3]
	v_mfma_f32_16x16x4_f32 v[12:15], v99, v43, v[12:15]
	s_waitcnt lgkmcnt(0)
	v_mfma_f32_16x16x4_f32 v[8:11], v32, v38, v[8:11]
	v_mfma_f32_16x16x4_f32 v[4:7], v40, v38, v[4:7]
	;; [unrolled: 1-line block ×5, first 2 shown]
	ds_read_b64 v[32:33], v68 offset:224
	v_mfma_f32_16x16x4_f32 v[4:7], v41, v39, v[4:7]
	v_mfma_f32_16x16x4_f32 v[0:3], v83, v39, v[0:3]
	;; [unrolled: 1-line block ×3, first 2 shown]
	s_waitcnt lgkmcnt(0)
	v_mfma_f32_16x16x4_f32 v[8:11], v28, v32, v[8:11]
	v_mfma_f32_16x16x4_f32 v[4:7], v30, v32, v[4:7]
	;; [unrolled: 1-line block ×8, first 2 shown]
	s_andn2_b64 exec, exec, s[8:9]
	s_cbranch_execnz .LBB98_4
; %bb.5:
	s_or_b64 exec, exec, s[8:9]
.LBB98_6:
	s_or_b64 exec, exec, s[24:25]
	s_waitcnt lgkmcnt(0)
	s_mul_hi_i32 s1, s15, s4
	s_mul_i32 s0, s15, s4
	s_lshl_b64 s[0:1], s[0:1], 2
	s_mul_i32 s4, s11, s3
	s_add_u32 s3, s6, s0
	s_addc_u32 s6, s7, s1
	s_ashr_i32 s5, s4, 31
	v_lshl_add_u32 v16, v64, 2, 0
	v_mul_u32_u24_e32 v17, 0x808, v65
	v_and_b32_e32 v18, 0x3f0, v63
	s_lshl_b64 s[0:1], s[4:5], 2
	v_add3_u32 v16, v16, v17, v18
	s_add_u32 s0, s3, s0
	s_barrier
	s_movk_i32 s3, 0x808
	ds_write2_b32 v16, v8, v9 offset1:1
	ds_write2_b32 v16, v10, v11 offset0:2 offset1:3
	ds_write2_b32 v16, v4, v5 offset0:16 offset1:17
	;; [unrolled: 1-line block ×7, first 2 shown]
	v_lshl_add_u32 v1, v63, 2, 0
	v_mad_u32_u24 v8, v62, s3, v1
	s_waitcnt lgkmcnt(0)
	s_barrier
	ds_read2st64_b32 v[2:3], v8 offset1:1
	ds_read2st64_b32 v[4:5], v8 offset0:2 offset1:3
	ds_read2st64_b32 v[6:7], v8 offset0:4 offset1:5
	;; [unrolled: 1-line block ×3, first 2 shown]
	v_add_u32_e32 v0, s2, v63
	s_addc_u32 s1, s6, s1
	v_cmp_gt_u32_e32 vcc, 5, v62
	s_waitcnt lgkmcnt(3)
	v_add_f32_e32 v2, 0, v2
	v_add_f32_e32 v2, v2, v3
	s_waitcnt lgkmcnt(2)
	v_add_f32_e32 v2, v2, v4
	v_add_f32_e32 v2, v2, v5
	;; [unrolled: 3-line block ×4, first 2 shown]
	v_mad_u64_u32 v[2:3], s[4:5], v62, s18, v[0:1]
	v_mov_b32_e32 v3, 0
	v_lshl_add_u64 v[4:5], v[2:3], 2, s[0:1]
	global_store_dword v[4:5], v6, off
	s_and_saveexec_b64 s[4:5], vcc
	s_cbranch_execz .LBB98_8
; %bb.7:
	v_or_b32_e32 v2, 8, v62
	v_mad_u32_u24 v1, v2, s3, v1
	ds_read2st64_b32 v[4:5], v1 offset1:1
	ds_read2st64_b32 v[6:7], v1 offset0:2 offset1:3
	ds_read2st64_b32 v[8:9], v1 offset0:4 offset1:5
	;; [unrolled: 1-line block ×3, first 2 shown]
	s_waitcnt lgkmcnt(3)
	v_add_f32_e32 v1, 0, v4
	v_add_f32_e32 v1, v1, v5
	s_waitcnt lgkmcnt(2)
	v_add_f32_e32 v1, v1, v6
	v_add_f32_e32 v1, v1, v7
	s_waitcnt lgkmcnt(1)
	v_add_f32_e32 v1, v1, v8
	v_add_f32_e32 v1, v1, v9
	s_waitcnt lgkmcnt(0)
	v_add_f32_e32 v1, v1, v10
	v_add_f32_e32 v4, v1, v11
	v_mad_u64_u32 v[0:1], s[2:3], v2, s18, v[0:1]
	v_mov_b32_e32 v1, v3
	v_lshl_add_u64 v[0:1], v[0:1], 2, s[0:1]
	global_store_dword v[0:1], v4, off
.LBB98_8:
	s_endpgm
	.section	.rodata,"a",@progbits
	.p2align	6, 0x0
	.amdhsa_kernel _ZL9mul_mat_fIfLi64ELi13ELi8ELb0EEvPKT_PKfPKiPfiiiiiiiiiiiiiiii
		.amdhsa_group_segment_fixed_size 0
		.amdhsa_private_segment_fixed_size 0
		.amdhsa_kernarg_size 96
		.amdhsa_user_sgpr_count 2
		.amdhsa_user_sgpr_dispatch_ptr 0
		.amdhsa_user_sgpr_queue_ptr 0
		.amdhsa_user_sgpr_kernarg_segment_ptr 1
		.amdhsa_user_sgpr_dispatch_id 0
		.amdhsa_user_sgpr_kernarg_preload_length 0
		.amdhsa_user_sgpr_kernarg_preload_offset 0
		.amdhsa_user_sgpr_private_segment_size 0
		.amdhsa_uses_dynamic_stack 0
		.amdhsa_enable_private_segment 0
		.amdhsa_system_sgpr_workgroup_id_x 1
		.amdhsa_system_sgpr_workgroup_id_y 1
		.amdhsa_system_sgpr_workgroup_id_z 1
		.amdhsa_system_sgpr_workgroup_info 0
		.amdhsa_system_vgpr_workitem_id 1
		.amdhsa_next_free_vgpr 118
		.amdhsa_next_free_sgpr 91
		.amdhsa_accum_offset 120
		.amdhsa_reserve_vcc 1
		.amdhsa_float_round_mode_32 0
		.amdhsa_float_round_mode_16_64 0
		.amdhsa_float_denorm_mode_32 3
		.amdhsa_float_denorm_mode_16_64 3
		.amdhsa_dx10_clamp 1
		.amdhsa_ieee_mode 1
		.amdhsa_fp16_overflow 0
		.amdhsa_tg_split 0
		.amdhsa_exception_fp_ieee_invalid_op 0
		.amdhsa_exception_fp_denorm_src 0
		.amdhsa_exception_fp_ieee_div_zero 0
		.amdhsa_exception_fp_ieee_overflow 0
		.amdhsa_exception_fp_ieee_underflow 0
		.amdhsa_exception_fp_ieee_inexact 0
		.amdhsa_exception_int_div_zero 0
	.end_amdhsa_kernel
	.section	.text._ZL9mul_mat_fIfLi64ELi13ELi8ELb0EEvPKT_PKfPKiPfiiiiiiiiiiiiiiii,"axG",@progbits,_ZL9mul_mat_fIfLi64ELi13ELi8ELb0EEvPKT_PKfPKiPfiiiiiiiiiiiiiiii,comdat
.Lfunc_end98:
	.size	_ZL9mul_mat_fIfLi64ELi13ELi8ELb0EEvPKT_PKfPKiPfiiiiiiiiiiiiiiii, .Lfunc_end98-_ZL9mul_mat_fIfLi64ELi13ELi8ELb0EEvPKT_PKfPKiPfiiiiiiiiiiiiiiii
                                        ; -- End function
	.set _ZL9mul_mat_fIfLi64ELi13ELi8ELb0EEvPKT_PKfPKiPfiiiiiiiiiiiiiiii.num_vgpr, 118
	.set _ZL9mul_mat_fIfLi64ELi13ELi8ELb0EEvPKT_PKfPKiPfiiiiiiiiiiiiiiii.num_agpr, 0
	.set _ZL9mul_mat_fIfLi64ELi13ELi8ELb0EEvPKT_PKfPKiPfiiiiiiiiiiiiiiii.numbered_sgpr, 91
	.set _ZL9mul_mat_fIfLi64ELi13ELi8ELb0EEvPKT_PKfPKiPfiiiiiiiiiiiiiiii.num_named_barrier, 0
	.set _ZL9mul_mat_fIfLi64ELi13ELi8ELb0EEvPKT_PKfPKiPfiiiiiiiiiiiiiiii.private_seg_size, 0
	.set _ZL9mul_mat_fIfLi64ELi13ELi8ELb0EEvPKT_PKfPKiPfiiiiiiiiiiiiiiii.uses_vcc, 1
	.set _ZL9mul_mat_fIfLi64ELi13ELi8ELb0EEvPKT_PKfPKiPfiiiiiiiiiiiiiiii.uses_flat_scratch, 0
	.set _ZL9mul_mat_fIfLi64ELi13ELi8ELb0EEvPKT_PKfPKiPfiiiiiiiiiiiiiiii.has_dyn_sized_stack, 0
	.set _ZL9mul_mat_fIfLi64ELi13ELi8ELb0EEvPKT_PKfPKiPfiiiiiiiiiiiiiiii.has_recursion, 0
	.set _ZL9mul_mat_fIfLi64ELi13ELi8ELb0EEvPKT_PKfPKiPfiiiiiiiiiiiiiiii.has_indirect_call, 0
	.section	.AMDGPU.csdata,"",@progbits
; Kernel info:
; codeLenInByte = 5240
; TotalNumSgprs: 97
; NumVgprs: 118
; NumAgprs: 0
; TotalNumVgprs: 118
; ScratchSize: 0
; MemoryBound: 0
; FloatMode: 240
; IeeeMode: 1
; LDSByteSize: 0 bytes/workgroup (compile time only)
; SGPRBlocks: 12
; VGPRBlocks: 14
; NumSGPRsForWavesPerEU: 97
; NumVGPRsForWavesPerEU: 118
; AccumOffset: 120
; Occupancy: 4
; WaveLimiterHint : 0
; COMPUTE_PGM_RSRC2:SCRATCH_EN: 0
; COMPUTE_PGM_RSRC2:USER_SGPR: 2
; COMPUTE_PGM_RSRC2:TRAP_HANDLER: 0
; COMPUTE_PGM_RSRC2:TGID_X_EN: 1
; COMPUTE_PGM_RSRC2:TGID_Y_EN: 1
; COMPUTE_PGM_RSRC2:TGID_Z_EN: 1
; COMPUTE_PGM_RSRC2:TIDIG_COMP_CNT: 1
; COMPUTE_PGM_RSRC3_GFX90A:ACCUM_OFFSET: 29
; COMPUTE_PGM_RSRC3_GFX90A:TG_SPLIT: 0
	.section	.text._ZL13mul_mat_f_idsI7__half2Li64ELi13ELi1EEvPKT_PKfPKiS7_S7_Pfiiiiiiiiiiiiii15HIP_vector_typeIjLj3EESA_,"axG",@progbits,_ZL13mul_mat_f_idsI7__half2Li64ELi13ELi1EEvPKT_PKfPKiS7_S7_Pfiiiiiiiiiiiiii15HIP_vector_typeIjLj3EESA_,comdat
	.globl	_ZL13mul_mat_f_idsI7__half2Li64ELi13ELi1EEvPKT_PKfPKiS7_S7_Pfiiiiiiiiiiiiii15HIP_vector_typeIjLj3EESA_ ; -- Begin function _ZL13mul_mat_f_idsI7__half2Li64ELi13ELi1EEvPKT_PKfPKiS7_S7_Pfiiiiiiiiiiiiii15HIP_vector_typeIjLj3EESA_
	.p2align	8
	.type	_ZL13mul_mat_f_idsI7__half2Li64ELi13ELi1EEvPKT_PKfPKiS7_S7_Pfiiiiiiiiiiiiii15HIP_vector_typeIjLj3EESA_,@function
_ZL13mul_mat_f_idsI7__half2Li64ELi13ELi1EEvPKT_PKfPKiS7_S7_Pfiiiiiiiiiiiiii15HIP_vector_typeIjLj3EESA_: ; @_ZL13mul_mat_f_idsI7__half2Li64ELi13ELi1EEvPKT_PKfPKiS7_S7_Pfiiiiiiiiiiiiii15HIP_vector_typeIjLj3EESA_
; %bb.0:
	s_load_dwordx2 s[6:7], s[0:1], 0x20
	s_mov_b32 s34, s3
	s_ashr_i32 s35, s3, 31
	s_lshl_b64 s[8:9], s[34:35], 2
	s_waitcnt lgkmcnt(0)
	s_add_u32 s6, s6, s8
	s_addc_u32 s7, s7, s9
	s_load_dwordx2 s[28:29], s[6:7], 0x0
	s_waitcnt lgkmcnt(0)
	s_sub_i32 s26, s29, s28
	s_add_i32 s3, s26, 12
	s_mul_hi_i32 s3, s3, 0x4ec4ec4f
	s_lshr_b32 s5, s3, 31
	s_ashr_i32 s3, s3, 2
	s_add_i32 s3, s3, s5
	s_cmp_ge_i32 s4, s3
	s_cbranch_scc1 .LBB99_85
; %bb.1:
	v_bfe_u32 v2, v0, 10, 10
	v_lshlrev_b32_e32 v70, 6, v2
	v_and_b32_e32 v3, 0x3ff, v0
	s_load_dwordx4 s[12:15], s[0:1], 0x30
	s_load_dwordx2 s[20:21], s[0:1], 0x40
	s_load_dwordx4 s[8:11], s[0:1], 0x4c
	s_load_dwordx4 s[16:19], s[0:1], 0x68
	s_load_dwordx2 s[24:25], s[0:1], 0x78
	v_or_b32_e32 v72, v70, v3
	s_ashr_i32 s29, s28, 31
	s_waitcnt lgkmcnt(0)
	v_cmp_le_i32_e32 vcc, s12, v72
	v_and_b32_e32 v0, 15, v3
                                        ; implicit-def: $vgpr71
	s_and_saveexec_b64 s[6:7], vcc
	s_xor_b64 s[6:7], exec, s[6:7]
; %bb.2:
	v_mul_u32_u24_e32 v71, 0x108, v0
                                        ; implicit-def: $vgpr72
                                        ; implicit-def: $vgpr0
; %bb.3:
	s_or_saveexec_b64 s[30:31], s[6:7]
	s_load_dwordx2 s[22:23], s[0:1], 0x18
	s_load_dwordx2 s[6:7], s[0:1], 0x28
                                        ; implicit-def: $vgpr102 : SGPR spill to VGPR lane
	s_lshl_b32 s3, s2, 6
	s_mul_i32 s2, s4, 13
	v_mov_b32_e32 v1, 0
	v_accvgpr_write_b32 a4, 0
	s_waitcnt lgkmcnt(0)
	v_writelane_b32 v102, s6, 0
	v_accvgpr_write_b32 a5, 0
	v_accvgpr_write_b32 a6, 0
	;; [unrolled: 1-line block ×15, first 2 shown]
	v_writelane_b32 v102, s7, 1
	s_xor_b64 exec, exec, s[30:31]
	s_cbranch_execz .LBB99_46
; %bb.4:
	v_writelane_b32 v102, s30, 2
	v_mul_u32_u24_e32 v71, 0x108, v0
	v_lshrrev_b32_e32 v0, 1, v3
	v_writelane_b32 v102, s31, 3
	v_writelane_b32 v102, s22, 4
	v_and_b32_e32 v0, 0x1f8, v0
	v_lshlrev_b32_e32 v4, 2, v3
	v_writelane_b32 v102, s23, 5
	s_load_dwordx4 s[4:7], s[0:1], 0x0
	s_load_dwordx2 s[22:23], s[0:1], 0x10
	s_mul_i32 s0, s8, s34
	s_ashr_i32 s1, s0, 31
	v_writelane_b32 v102, s24, 6
	s_lshl_b64 s[64:65], s[0:1], 2
	s_waitcnt lgkmcnt(0)
	s_add_u32 s0, s4, s64
	v_writelane_b32 v102, s25, 7
	s_mul_i32 s24, s15, s3
	s_addc_u32 s1, s5, s65
	s_ashr_i32 s25, s24, 31
	s_lshl_b64 s[66:67], s[24:25], 2
	v_writelane_b32 v102, s3, 8
	s_add_u32 s0, s0, s66
	s_addc_u32 s1, s1, s67
	v_writelane_b32 v102, s28, 9
	s_lshl_b64 s[24:25], s[28:29], 2
	s_add_u32 s8, s22, s24
	s_addc_u32 s11, s23, s25
	s_cmp_lt_i32 s2, s26
	v_writelane_b32 v102, s29, 10
	s_movk_i32 s3, 0x1080
	s_cselect_b64 s[22:23], -1, 0
	v_mad_u32_u24 v5, v2, s3, 0
	v_writelane_b32 v102, s22, 11
	s_ashr_i32 s3, s2, 31
	v_add3_u32 v74, v5, v71, v0
	v_writelane_b32 v102, s23, 12
	s_lshl_b64 s[22:23], s[2:3], 2
	s_add_u32 s36, s8, s22
	s_addc_u32 s37, s11, s23
	s_add_i32 s3, s2, 1
	s_cmp_lt_i32 s3, s26
	s_cselect_b64 s[22:23], -1, 0
	s_add_i32 s3, s2, 2
	v_writelane_b32 v102, s22, 13
	s_cmp_lt_i32 s3, s26
	v_lshlrev_b32_e32 v0, 8, v2
	v_writelane_b32 v102, s23, 14
	s_cselect_b64 s[22:23], -1, 0
	s_add_i32 s3, s2, 3
	v_writelane_b32 v102, s22, 15
	s_cmp_lt_i32 s3, s26
	v_add_u32_e32 v73, v5, v4
	v_writelane_b32 v102, s23, 16
	s_cselect_b64 s[22:23], -1, 0
	s_add_i32 s3, s2, 4
	v_writelane_b32 v102, s22, 17
	s_cmp_lt_i32 s3, s26
	v_mov_b32_e32 v5, v1
	v_writelane_b32 v102, s23, 18
	s_cselect_b64 s[22:23], -1, 0
	s_add_i32 s3, s2, 5
	v_writelane_b32 v102, s22, 19
	s_cmp_lt_i32 s3, s26
	s_mul_i32 s8, s15, 3
	v_writelane_b32 v102, s23, 20
	s_cselect_b64 s[22:23], -1, 0
	s_add_i32 s3, s2, 6
	v_writelane_b32 v102, s22, 21
	s_cmp_lt_i32 s3, s26
	s_mul_i32 s69, s15, 5
	v_writelane_b32 v102, s23, 22
	s_cselect_b64 s[22:23], -1, 0
	s_add_i32 s3, s2, 7
	s_cmp_lt_i32 s3, s26
	s_cselect_b64 s[50:51], -1, 0
	s_add_i32 s3, s2, 8
	s_cmp_lt_i32 s3, s26
	;; [unrolled: 3-line block ×5, first 2 shown]
	s_cselect_b64 s[58:59], -1, 0
	s_add_i32 s3, s2, 12
	v_writelane_b32 v102, s22, 23
	s_cmp_lt_i32 s3, s26
	s_cselect_b64 s[60:61], -1, 0
	v_writelane_b32 v102, s23, 24
	s_ashr_i32 s23, s15, 31
	s_mov_b32 s22, s15
	s_add_i32 s3, s15, s15
	s_lshl_b32 s68, s15, 2
	s_lshl_b32 s72, s15, 3
	;; [unrolled: 1-line block ×4, first 2 shown]
	s_lshl_b64 s[62:63], s[22:23], 2
	s_add_u32 s22, s64, s66
	s_addc_u32 s23, s65, s67
	v_lshl_add_u64 v[6:7], s[22:23], 0, v[0:1]
	v_lshl_add_u64 v[4:5], v[6:7], 0, v[4:5]
	v_writelane_b32 v102, s26, 25
	s_mul_i32 s70, s15, 6
	s_mul_i32 s71, s15, 7
	s_mul_i32 s73, s15, 9
	s_mul_i32 s74, s15, 10
	s_mul_i32 s75, s15, 11
	s_mul_i32 s76, s15, 12
	s_mul_i32 s77, s15, 13
	s_mul_i32 s78, s15, 14
	s_mul_i32 s79, s15, 15
	s_mul_i32 s81, s15, 17
	s_mul_i32 s82, s15, 18
	s_mul_i32 s83, s15, 19
	s_mul_i32 s84, s15, 20
	s_mul_i32 s64, s15, 21
	s_mul_i32 s65, s15, 22
	s_mul_i32 s66, s15, 23
	s_mul_i32 s67, s15, 24
	s_mul_i32 s86, s15, 25
	s_mul_i32 s87, s15, 26
	s_mul_i32 s88, s15, 27
	s_mul_i32 s89, s15, 28
	v_accvgpr_write_b32 a15, 0
	v_accvgpr_write_b32 a14, 0
	;; [unrolled: 1-line block ×16, first 2 shown]
	v_lshl_add_u64 v[4:5], s[4:5], 0, v[4:5]
	s_mul_i32 s90, s15, 29
	s_mul_i32 s91, s15, 30
	s_mul_i32 s92, s15, 31
	s_mul_i32 s93, s15, 33
	s_mul_i32 s94, s15, 34
	s_mul_i32 s95, s15, 35
	s_mul_i32 s96, s15, 36
	s_mul_i32 s97, s15, 37
	s_mul_i32 s98, s15, 38
	s_mul_i32 s99, s15, 39
	s_mul_i32 s11, s15, 40
	s_mul_i32 s28, s15, 41
	s_mul_i32 s29, s15, 42
	s_mul_i32 s30, s15, 43
	s_mul_i32 s31, s15, 44
	s_mul_i32 s24, s15, 45
	s_mul_i32 s25, s15, 46
	s_mul_i32 s26, s15, 47
	s_mul_i32 s27, s15, 48
	s_mul_i32 s22, s15, 49
	s_mul_i32 s23, s15, 50
	s_mul_i32 s33, s15, 51
	s_mul_i32 s34, s15, 52
	s_mul_i32 s35, s15, 53
	s_mul_i32 s38, s15, 54
	s_mul_i32 s39, s15, 55
	s_mul_i32 s40, s15, 56
	s_mul_i32 s41, s15, 57
	s_mul_i32 s42, s15, 58
	s_mul_i32 s43, s15, 59
	s_mul_i32 s44, s15, 60
	s_mul_i32 s45, s15, 61
	s_mul_i32 s46, s15, 62
	s_mul_i32 s15, s15, 63
	s_mov_b32 s47, 0x5040100
	s_mov_b64 s[4:5], 0
	s_branch .LBB99_6
.LBB99_5:                               ;   in Loop: Header=BB99_6 Depth=1
	v_perm_b32 v0, v0, v75, s47
	v_perm_b32 v75, v77, v78, s47
	ds_write2_b32 v73, v0, v75 offset1:66
	v_perm_b32 v0, v79, v76, s47
	v_perm_b32 v75, v81, v82, s47
	ds_write2_b32 v73, v0, v75 offset0:132 offset1:198
	v_perm_b32 v0, v83, v80, s47
	v_perm_b32 v75, v85, v86, s47
	v_add_u32_e32 v76, 0x400, v73
	ds_write2_b32 v76, v0, v75 offset0:8 offset1:74
	v_perm_b32 v0, v87, v84, s47
	v_perm_b32 v75, v89, v90, s47
	ds_write2_b32 v76, v0, v75 offset0:140 offset1:206
	v_perm_b32 v0, v91, v88, s47
	v_perm_b32 v75, v93, v94, s47
	v_add_u32_e32 v76, 0x800, v73
	ds_write2_b32 v76, v0, v75 offset0:16 offset1:82
	v_perm_b32 v0, v95, v92, s47
	v_perm_b32 v75, v97, v98, s47
	ds_write2_b32 v76, v0, v75 offset0:148 offset1:214
	v_perm_b32 v0, v99, v96, s47
	v_add_u32_e32 v75, 0xc00, v73
	ds_write2_b32 v75, v0, v1 offset0:24 offset1:90
	ds_write2_b32 v75, v1, v1 offset0:156 offset1:222
	ds_read2_b64 v[76:79], v74 offset1:4
	s_waitcnt lgkmcnt(0)
	v_mfma_f32_16x16x16_f16 a[4:7], v[12:13], v[76:77], a[4:7]
	v_add_u32_e32 v72, 64, v72
	s_mov_b64 vcc, 0x100
	v_lshl_add_u64 v[4:5], v[4:5], 0, vcc
	v_mfma_f32_16x16x16_f16 a[0:3], v[38:39], v[76:77], a[0:3]
	v_cmp_le_i32_e32 vcc, s12, v72
	s_or_b64 s[4:5], vcc, s[4:5]
	v_mfma_f32_16x16x16_f16 a[8:11], v[52:53], v[76:77], a[8:11]
	v_mfma_f32_16x16x16_f16 a[12:15], v[68:69], v[76:77], a[12:15]
	;; [unrolled: 1-line block ×3, first 2 shown]
	ds_read2_b64 v[10:13], v74 offset0:8 offset1:12
	v_mfma_f32_16x16x16_f16 a[0:3], v[36:37], v[78:79], a[0:3]
	v_mfma_f32_16x16x16_f16 a[8:11], v[50:51], v[78:79], a[8:11]
	v_mfma_f32_16x16x16_f16 a[12:15], v[66:67], v[78:79], a[12:15]
	s_waitcnt lgkmcnt(0)
	v_mfma_f32_16x16x16_f16 a[4:7], v[8:9], v[10:11], a[4:7]
	v_mfma_f32_16x16x16_f16 a[0:3], v[32:33], v[10:11], a[0:3]
	;; [unrolled: 1-line block ×5, first 2 shown]
	ds_read2_b64 v[6:9], v74 offset0:16 offset1:20
	v_mfma_f32_16x16x16_f16 a[0:3], v[30:31], v[12:13], a[0:3]
	v_mfma_f32_16x16x16_f16 a[8:11], v[46:47], v[12:13], a[8:11]
	;; [unrolled: 1-line block ×3, first 2 shown]
	s_waitcnt lgkmcnt(0)
	v_mfma_f32_16x16x16_f16 a[4:7], v[20:21], v[6:7], a[4:7]
	v_mfma_f32_16x16x16_f16 a[0:3], v[28:29], v[6:7], a[0:3]
	;; [unrolled: 1-line block ×8, first 2 shown]
	ds_read2_b64 v[6:9], v74 offset0:24 offset1:28
	s_waitcnt lgkmcnt(0)
	v_mfma_f32_16x16x16_f16 a[4:7], v[16:17], v[6:7], a[4:7]
	v_mfma_f32_16x16x16_f16 a[0:3], v[24:25], v[6:7], a[0:3]
	v_mfma_f32_16x16x16_f16 a[8:11], v[40:41], v[6:7], a[8:11]
	v_mfma_f32_16x16x16_f16 a[12:15], v[56:57], v[6:7], a[12:15]
	v_mfma_f32_16x16x16_f16 a[4:7], v[14:15], v[8:9], a[4:7]
	v_mfma_f32_16x16x16_f16 a[0:3], v[22:23], v[8:9], a[0:3]
	v_mfma_f32_16x16x16_f16 a[8:11], v[34:35], v[8:9], a[8:11]
	v_mfma_f32_16x16x16_f16 a[12:15], v[54:55], v[8:9], a[12:15]
	s_andn2_b64 exec, exec, s[4:5]
	s_cbranch_execz .LBB99_45
.LBB99_6:                               ; =>This Inner Loop Header: Depth=1
	v_lshl_add_u64 v[6:7], v[4:5], 0, s[62:63]
	global_load_dword v0, v[4:5], off
	global_load_dword v22, v[6:7], off
	v_add_u32_e32 v6, s3, v72
	v_add_u32_e32 v10, s68, v72
	;; [unrolled: 1-line block ×4, first 2 shown]
	v_ashrrev_i32_e32 v7, 31, v6
	v_add_u32_e32 v8, s8, v72
	v_ashrrev_i32_e32 v11, 31, v10
	v_ashrrev_i32_e32 v13, 31, v12
	v_add_u32_e32 v14, s70, v72
	v_add_u32_e32 v16, s71, v72
	v_ashrrev_i32_e32 v19, 31, v18
	v_add_u32_e32 v20, s73, v72
	v_lshl_add_u64 v[6:7], v[6:7], 2, s[0:1]
	v_ashrrev_i32_e32 v9, 31, v8
	v_lshl_add_u64 v[10:11], v[10:11], 2, s[0:1]
	v_lshl_add_u64 v[12:13], v[12:13], 2, s[0:1]
	v_ashrrev_i32_e32 v15, 31, v14
	v_ashrrev_i32_e32 v17, 31, v16
	v_lshl_add_u64 v[18:19], v[18:19], 2, s[0:1]
	v_ashrrev_i32_e32 v21, 31, v20
	v_lshl_add_u64 v[8:9], v[8:9], 2, s[0:1]
	v_lshl_add_u64 v[14:15], v[14:15], 2, s[0:1]
	;; [unrolled: 1-line block ×4, first 2 shown]
	global_load_dword v23, v[6:7], off
	global_load_dword v24, v[8:9], off
	;; [unrolled: 1-line block ×6, first 2 shown]
	s_nop 0
	global_load_dword v18, v[18:19], off
	s_nop 0
	global_load_dword v19, v[20:21], off
	v_add_u32_e32 v6, s74, v72
	v_add_u32_e32 v10, s76, v72
	;; [unrolled: 1-line block ×3, first 2 shown]
	v_ashrrev_i32_e32 v7, 31, v6
	v_add_u32_e32 v8, s75, v72
	v_ashrrev_i32_e32 v11, 31, v10
	v_ashrrev_i32_e32 v13, 31, v12
	v_add_u32_e32 v14, s78, v72
	v_add_u32_e32 v16, s79, v72
	v_lshl_add_u64 v[6:7], v[6:7], 2, s[0:1]
	v_ashrrev_i32_e32 v9, 31, v8
	v_lshl_add_u64 v[10:11], v[10:11], 2, s[0:1]
	v_lshl_add_u64 v[12:13], v[12:13], 2, s[0:1]
	v_ashrrev_i32_e32 v15, 31, v14
	v_ashrrev_i32_e32 v17, 31, v16
	v_lshl_add_u64 v[8:9], v[8:9], 2, s[0:1]
	v_lshl_add_u64 v[14:15], v[14:15], 2, s[0:1]
	;; [unrolled: 1-line block ×3, first 2 shown]
	global_load_dword v20, v[6:7], off
	global_load_dword v21, v[8:9], off
	s_nop 0
	global_load_dword v10, v[10:11], off
	s_nop 0
	;; [unrolled: 2-line block ×3, first 2 shown]
	global_load_dword v12, v[14:15], off
	global_load_dword v13, v[16:17], off
	v_add_u32_e32 v6, s80, v72
	v_add_u32_e32 v8, s81, v72
	v_ashrrev_i32_e32 v7, 31, v6
	v_ashrrev_i32_e32 v9, 31, v8
	v_lshl_add_u64 v[6:7], v[6:7], 2, s[0:1]
	v_add_u32_e32 v14, s82, v72
	v_lshl_add_u64 v[8:9], v[8:9], 2, s[0:1]
	global_load_dword v30, v[6:7], off
	global_load_dword v31, v[8:9], off
	v_ashrrev_i32_e32 v15, 31, v14
	v_add_u32_e32 v16, s83, v72
	v_lshl_add_u64 v[14:15], v[14:15], 2, s[0:1]
	v_ashrrev_i32_e32 v17, 31, v16
	v_lshl_add_u64 v[16:17], v[16:17], 2, s[0:1]
	v_readlane_b32 s48, v102, 11
	v_readlane_b32 s49, v102, 12
	s_andn2_b64 vcc, exec, s[48:49]
	s_waitcnt vmcnt(17)
	ds_write_b32 v73, v0
	s_waitcnt vmcnt(16)
	ds_write_b32 v73, v22 offset:264
	s_waitcnt vmcnt(15)
	ds_write_b32 v73, v23 offset:528
	;; [unrolled: 2-line block ×15, first 2 shown]
	v_add_u32_e32 v18, s84, v72
	v_add_u32_e32 v20, s64, v72
	v_add_u32_e32 v22, s65, v72
	v_add_u32_e32 v24, s66, v72
	v_add_u32_e32 v26, s67, v72
	v_add_u32_e32 v28, s86, v72
	v_ashrrev_i32_e32 v19, 31, v18
	v_ashrrev_i32_e32 v21, 31, v20
	;; [unrolled: 1-line block ×6, first 2 shown]
	ds_read_b64 v[12:13], v74
	ds_read_b64 v[10:11], v74 offset:32
	ds_read_b64 v[8:9], v74 offset:64
	;; [unrolled: 1-line block ×3, first 2 shown]
	v_lshl_add_u64 v[18:19], v[18:19], 2, s[0:1]
	v_lshl_add_u64 v[20:21], v[20:21], 2, s[0:1]
	v_lshl_add_u64 v[22:23], v[22:23], 2, s[0:1]
	v_lshl_add_u64 v[24:25], v[24:25], 2, s[0:1]
	v_lshl_add_u64 v[26:27], v[26:27], 2, s[0:1]
	v_lshl_add_u64 v[28:29], v[28:29], 2, s[0:1]
	global_load_dword v0, v[14:15], off
	global_load_dword v32, v[16:17], off
	global_load_dword v33, v[18:19], off
	global_load_dword v34, v[20:21], off
	global_load_dword v35, v[22:23], off
	global_load_dword v36, v[24:25], off
	global_load_dword v37, v[26:27], off
	global_load_dword v38, v[28:29], off
	v_add_u32_e32 v14, s87, v72
	v_ashrrev_i32_e32 v15, 31, v14
	v_add_u32_e32 v16, s88, v72
	v_add_u32_e32 v18, s89, v72
	v_add_u32_e32 v20, s90, v72
	v_add_u32_e32 v22, s91, v72
	v_add_u32_e32 v24, s92, v72
	v_add_u32_e32 v26, s85, v72
	v_add_u32_e32 v28, s93, v72
	v_lshl_add_u64 v[14:15], v[14:15], 2, s[0:1]
	v_ashrrev_i32_e32 v17, 31, v16
	v_ashrrev_i32_e32 v19, 31, v18
	v_ashrrev_i32_e32 v21, 31, v20
	v_ashrrev_i32_e32 v23, 31, v22
	v_ashrrev_i32_e32 v25, 31, v24
	v_ashrrev_i32_e32 v27, 31, v26
	v_ashrrev_i32_e32 v29, 31, v28
	v_lshl_add_u64 v[16:17], v[16:17], 2, s[0:1]
	v_lshl_add_u64 v[18:19], v[18:19], 2, s[0:1]
	v_lshl_add_u64 v[20:21], v[20:21], 2, s[0:1]
	v_lshl_add_u64 v[22:23], v[22:23], 2, s[0:1]
	v_lshl_add_u64 v[24:25], v[24:25], 2, s[0:1]
	v_lshl_add_u64 v[26:27], v[26:27], 2, s[0:1]
	v_lshl_add_u64 v[28:29], v[28:29], 2, s[0:1]
	global_load_dword v39, v[14:15], off
	global_load_dword v40, v[16:17], off
	global_load_dword v41, v[18:19], off
	global_load_dword v42, v[20:21], off
	global_load_dword v43, v[22:23], off
	global_load_dword v44, v[24:25], off
	global_load_dword v45, v[26:27], off
	global_load_dword v46, v[28:29], off
	v_add_u32_e32 v14, s94, v72
	v_ashrrev_i32_e32 v15, 31, v14
	v_add_u32_e32 v16, s95, v72
	v_add_u32_e32 v18, s96, v72
	v_add_u32_e32 v20, s97, v72
	v_add_u32_e32 v22, s98, v72
	v_add_u32_e32 v24, s99, v72
	v_add_u32_e32 v26, s11, v72
	v_add_u32_e32 v28, s28, v72
	v_lshl_add_u64 v[14:15], v[14:15], 2, s[0:1]
	v_ashrrev_i32_e32 v17, 31, v16
	v_ashrrev_i32_e32 v19, 31, v18
	v_ashrrev_i32_e32 v21, 31, v20
	v_ashrrev_i32_e32 v23, 31, v22
	v_ashrrev_i32_e32 v25, 31, v24
	v_ashrrev_i32_e32 v27, 31, v26
	v_ashrrev_i32_e32 v29, 31, v28
	v_lshl_add_u64 v[16:17], v[16:17], 2, s[0:1]
	;; [unrolled: 32-line block ×4, first 2 shown]
	v_lshl_add_u64 v[18:19], v[18:19], 2, s[0:1]
	v_lshl_add_u64 v[20:21], v[20:21], 2, s[0:1]
	;; [unrolled: 1-line block ×6, first 2 shown]
	global_load_dword v63, v[14:15], off
	global_load_dword v64, v[16:17], off
	;; [unrolled: 1-line block ×8, first 2 shown]
	v_add_u32_e32 v14, s42, v72
	v_ashrrev_i32_e32 v15, 31, v14
	v_add_u32_e32 v16, s43, v72
	v_add_u32_e32 v18, s44, v72
	;; [unrolled: 1-line block ×5, first 2 shown]
	v_lshl_add_u64 v[14:15], v[14:15], 2, s[0:1]
	v_ashrrev_i32_e32 v17, 31, v16
	v_ashrrev_i32_e32 v19, 31, v18
	;; [unrolled: 1-line block ×5, first 2 shown]
	v_lshl_add_u64 v[16:17], v[16:17], 2, s[0:1]
	v_lshl_add_u64 v[18:19], v[18:19], 2, s[0:1]
	;; [unrolled: 1-line block ×5, first 2 shown]
	global_load_dword v76, v[14:15], off
	global_load_dword v77, v[16:17], off
	;; [unrolled: 1-line block ×6, first 2 shown]
	ds_read_b64 v[20:21], v74 offset:128
	ds_read_b64 v[18:19], v74 offset:160
	ds_read_b64 v[16:17], v74 offset:192
	ds_read_b64 v[14:15], v74 offset:224
	s_waitcnt vmcnt(47)
	ds_write_b32 v73, v30
	s_waitcnt vmcnt(46)
	ds_write_b32 v73, v31 offset:264
	s_waitcnt vmcnt(45)
	ds_write_b32 v73, v0 offset:528
	s_waitcnt vmcnt(44)
	ds_write_b32 v73, v32 offset:792
	s_waitcnt vmcnt(43)
	ds_write_b32 v73, v33 offset:1056
	s_waitcnt vmcnt(42)
	ds_write_b32 v73, v34 offset:1320
	s_waitcnt vmcnt(41)
	ds_write_b32 v73, v35 offset:1584
	s_waitcnt vmcnt(40)
	ds_write_b32 v73, v36 offset:1848
	s_waitcnt vmcnt(39)
	ds_write_b32 v73, v37 offset:2112
	s_waitcnt vmcnt(38)
	ds_write_b32 v73, v38 offset:2376
	s_waitcnt vmcnt(37)
	ds_write_b32 v73, v39 offset:2640
	s_waitcnt vmcnt(36)
	ds_write_b32 v73, v40 offset:2904
	s_waitcnt vmcnt(35)
	ds_write_b32 v73, v41 offset:3168
	s_waitcnt vmcnt(34)
	ds_write_b32 v73, v42 offset:3432
	s_waitcnt vmcnt(33)
	ds_write_b32 v73, v43 offset:3696
	s_waitcnt vmcnt(32)
	ds_write_b32 v73, v44 offset:3960
	ds_read_b64 v[38:39], v74
	ds_read_b64 v[36:37], v74 offset:32
	ds_read_b64 v[32:33], v74 offset:64
	ds_read_b64 v[30:31], v74 offset:96
	ds_read_b64 v[28:29], v74 offset:128
	ds_read_b64 v[26:27], v74 offset:160
	ds_read_b64 v[24:25], v74 offset:192
	ds_read_b64 v[22:23], v74 offset:224
	s_waitcnt vmcnt(31)
	ds_write_b32 v73, v45
	s_waitcnt vmcnt(30)
	ds_write_b32 v73, v46 offset:264
	s_waitcnt vmcnt(29)
	ds_write_b32 v73, v47 offset:528
	s_waitcnt vmcnt(28)
	ds_write_b32 v73, v48 offset:792
	s_waitcnt vmcnt(27)
	ds_write_b32 v73, v49 offset:1056
	s_waitcnt vmcnt(26)
	ds_write_b32 v73, v50 offset:1320
	s_waitcnt vmcnt(25)
	ds_write_b32 v73, v51 offset:1584
	s_waitcnt vmcnt(24)
	ds_write_b32 v73, v52 offset:1848
	s_waitcnt vmcnt(23)
	ds_write_b32 v73, v53 offset:2112
	s_waitcnt vmcnt(22)
	ds_write_b32 v73, v54 offset:2376
	s_waitcnt vmcnt(21)
	ds_write_b32 v73, v55 offset:2640
	s_waitcnt vmcnt(20)
	ds_write_b32 v73, v56 offset:2904
	s_waitcnt vmcnt(19)
	ds_write_b32 v73, v57 offset:3168
	s_waitcnt vmcnt(18)
	ds_write_b32 v73, v58 offset:3432
	s_waitcnt vmcnt(17)
	ds_write_b32 v73, v59 offset:3696
	s_waitcnt vmcnt(16)
	ds_write_b32 v73, v60 offset:3960
	ds_read_b64 v[52:53], v74
	ds_read_b64 v[50:51], v74 offset:32
	ds_read_b64 v[48:49], v74 offset:64
	ds_read_b64 v[46:47], v74 offset:96
	;; [unrolled: 40-line block ×3, first 2 shown]
	ds_read_b64 v[64:65], v74 offset:128
	ds_read_b64 v[60:61], v74 offset:160
	;; [unrolled: 1-line block ×4, first 2 shown]
	v_mov_b32_e32 v75, 0
	v_mov_b32_e32 v0, 0
	s_cbranch_vccnz .LBB99_9
; %bb.7:                                ;   in Loop: Header=BB99_6 Depth=1
	s_load_dword vcc_lo, s[36:37], 0x0
	v_mov_b32_e32 v0, 0
	v_mov_b32_e32 v75, 0
	s_waitcnt lgkmcnt(0)
	s_mul_hi_u32 vcc_hi, vcc_lo, s16
	s_add_i32 vcc_hi, vcc_lo, vcc_hi
	s_lshr_b32 s48, vcc_hi, s17
	s_cmp_ge_i32 s48, s13
	s_cbranch_scc1 .LBB99_9
; %bb.8:                                ;   in Loop: Header=BB99_6 Depth=1
	s_mul_i32 vcc_hi, s48, s18
	s_sub_i32 s49, vcc_lo, vcc_hi
	s_mul_i32 s48, s48, s20
	s_mul_i32 s49, s49, s9
	v_add_u32_e32 v0, s48, v72
	v_lshl_add_u32 v76, v0, 1, s49
	v_ashrrev_i32_e32 v77, 31, v76
	v_lshl_add_u64 v[76:77], v[76:77], 2, s[6:7]
	global_load_dwordx2 v[76:77], v[76:77], off
	s_waitcnt vmcnt(0)
	v_cvt_f16_f32_e32 v75, v76
	v_cvt_f16_f32_e32 v0, v77
.LBB99_9:                               ;   in Loop: Header=BB99_6 Depth=1
	v_readlane_b32 s48, v102, 13
	v_readlane_b32 s49, v102, 14
	v_mov_b32_e32 v76, 0
	s_andn2_b64 vcc, exec, s[48:49]
	v_mov_b32_e32 v78, 0
	v_mov_b32_e32 v77, 0
	s_cbranch_vccnz .LBB99_12
; %bb.10:                               ;   in Loop: Header=BB99_6 Depth=1
	s_load_dword vcc_lo, s[36:37], 0x4
	v_mov_b32_e32 v77, 0
	v_mov_b32_e32 v78, 0
	s_waitcnt lgkmcnt(0)
	s_mul_hi_u32 s48, vcc_lo, s16
	s_add_i32 s48, vcc_lo, s48
	s_lshr_b32 vcc_hi, s48, s17
	s_cmp_ge_i32 vcc_hi, s13
	s_cbranch_scc1 .LBB99_12
; %bb.11:                               ;   in Loop: Header=BB99_6 Depth=1
	s_mul_i32 s48, vcc_hi, s18
	s_sub_i32 s48, vcc_lo, s48
	s_mul_i32 vcc_hi, vcc_hi, s20
	s_mul_i32 s48, s48, s9
	v_add_u32_e32 v77, vcc_hi, v72
	v_lshl_add_u32 v78, v77, 1, s48
	v_ashrrev_i32_e32 v79, 31, v78
	v_lshl_add_u64 v[78:79], v[78:79], 2, s[6:7]
	global_load_dwordx2 v[78:79], v[78:79], off
	s_waitcnt vmcnt(0)
	v_cvt_f16_f32_e32 v78, v78
	v_cvt_f16_f32_e32 v77, v79
.LBB99_12:                              ;   in Loop: Header=BB99_6 Depth=1
	v_readlane_b32 s48, v102, 15
	v_readlane_b32 s49, v102, 16
	s_andn2_b64 vcc, exec, s[48:49]
	v_mov_b32_e32 v79, 0
	s_cbranch_vccnz .LBB99_15
; %bb.13:                               ;   in Loop: Header=BB99_6 Depth=1
	s_load_dword vcc_lo, s[36:37], 0x8
	v_mov_b32_e32 v79, 0
	v_mov_b32_e32 v76, 0
	s_waitcnt lgkmcnt(0)
	s_mul_hi_u32 s48, vcc_lo, s16
	s_add_i32 s48, vcc_lo, s48
	s_lshr_b32 vcc_hi, s48, s17
	s_cmp_ge_i32 vcc_hi, s13
	s_cbranch_scc1 .LBB99_15
; %bb.14:                               ;   in Loop: Header=BB99_6 Depth=1
	s_mul_i32 s48, vcc_hi, s18
	s_sub_i32 s48, vcc_lo, s48
	s_mul_i32 vcc_hi, vcc_hi, s20
	s_mul_i32 s48, s48, s9
	v_add_u32_e32 v76, vcc_hi, v72
	v_lshl_add_u32 v80, v76, 1, s48
	v_ashrrev_i32_e32 v81, 31, v80
	v_lshl_add_u64 v[80:81], v[80:81], 2, s[6:7]
	global_load_dwordx2 v[80:81], v[80:81], off
	s_waitcnt vmcnt(0)
	v_cvt_f16_f32_e32 v76, v80
	v_cvt_f16_f32_e32 v79, v81
.LBB99_15:                              ;   in Loop: Header=BB99_6 Depth=1
	v_readlane_b32 s48, v102, 17
	v_readlane_b32 s49, v102, 18
	v_mov_b32_e32 v80, 0
	s_andn2_b64 vcc, exec, s[48:49]
	v_mov_b32_e32 v82, 0
	v_mov_b32_e32 v81, 0
	s_cbranch_vccnz .LBB99_18
; %bb.16:                               ;   in Loop: Header=BB99_6 Depth=1
	s_load_dword vcc_lo, s[36:37], 0xc
	v_mov_b32_e32 v81, 0
	v_mov_b32_e32 v82, 0
	s_waitcnt lgkmcnt(0)
	s_mul_hi_u32 s48, vcc_lo, s16
	s_add_i32 s48, vcc_lo, s48
	s_lshr_b32 vcc_hi, s48, s17
	s_cmp_ge_i32 vcc_hi, s13
	s_cbranch_scc1 .LBB99_18
; %bb.17:                               ;   in Loop: Header=BB99_6 Depth=1
	s_mul_i32 s48, vcc_hi, s18
	s_sub_i32 s48, vcc_lo, s48
	s_mul_i32 vcc_hi, vcc_hi, s20
	s_mul_i32 s48, s48, s9
	v_add_u32_e32 v81, vcc_hi, v72
	v_lshl_add_u32 v82, v81, 1, s48
	v_ashrrev_i32_e32 v83, 31, v82
	v_lshl_add_u64 v[82:83], v[82:83], 2, s[6:7]
	global_load_dwordx2 v[82:83], v[82:83], off
	s_waitcnt vmcnt(0)
	v_cvt_f16_f32_e32 v82, v82
	v_cvt_f16_f32_e32 v81, v83
.LBB99_18:                              ;   in Loop: Header=BB99_6 Depth=1
	v_readlane_b32 s48, v102, 19
	v_readlane_b32 s49, v102, 20
	s_andn2_b64 vcc, exec, s[48:49]
	v_mov_b32_e32 v83, 0
	s_cbranch_vccnz .LBB99_21
; %bb.19:                               ;   in Loop: Header=BB99_6 Depth=1
	s_load_dword vcc_lo, s[36:37], 0x10
	v_mov_b32_e32 v83, 0
	v_mov_b32_e32 v80, 0
	s_waitcnt lgkmcnt(0)
	s_mul_hi_u32 s48, vcc_lo, s16
	s_add_i32 s48, vcc_lo, s48
	s_lshr_b32 vcc_hi, s48, s17
	s_cmp_ge_i32 vcc_hi, s13
	s_cbranch_scc1 .LBB99_21
; %bb.20:                               ;   in Loop: Header=BB99_6 Depth=1
	s_mul_i32 s48, vcc_hi, s18
	s_sub_i32 s48, vcc_lo, s48
	s_mul_i32 vcc_hi, vcc_hi, s20
	s_mul_i32 s48, s48, s9
	v_add_u32_e32 v80, vcc_hi, v72
	v_lshl_add_u32 v84, v80, 1, s48
	v_ashrrev_i32_e32 v85, 31, v84
	v_lshl_add_u64 v[84:85], v[84:85], 2, s[6:7]
	global_load_dwordx2 v[84:85], v[84:85], off
	s_waitcnt vmcnt(0)
	v_cvt_f16_f32_e32 v80, v84
	v_cvt_f16_f32_e32 v83, v85
.LBB99_21:                              ;   in Loop: Header=BB99_6 Depth=1
	;; [unrolled: 60-line block ×3, first 2 shown]
	v_mov_b32_e32 v88, 0
	s_andn2_b64 vcc, exec, s[50:51]
	v_mov_b32_e32 v90, 0
	v_mov_b32_e32 v89, 0
	s_cbranch_vccnz .LBB99_30
; %bb.28:                               ;   in Loop: Header=BB99_6 Depth=1
	s_load_dword vcc_lo, s[36:37], 0x1c
	v_mov_b32_e32 v89, 0
	v_mov_b32_e32 v90, 0
	s_waitcnt lgkmcnt(0)
	s_mul_hi_u32 s48, vcc_lo, s16
	s_add_i32 s48, vcc_lo, s48
	s_lshr_b32 vcc_hi, s48, s17
	s_cmp_ge_i32 vcc_hi, s13
	s_cbranch_scc1 .LBB99_30
; %bb.29:                               ;   in Loop: Header=BB99_6 Depth=1
	s_mul_i32 s48, vcc_hi, s18
	s_sub_i32 s48, vcc_lo, s48
	s_mul_i32 vcc_hi, vcc_hi, s20
	s_mul_i32 s48, s48, s9
	v_add_u32_e32 v89, vcc_hi, v72
	v_lshl_add_u32 v90, v89, 1, s48
	v_ashrrev_i32_e32 v91, 31, v90
	v_lshl_add_u64 v[90:91], v[90:91], 2, s[6:7]
	global_load_dwordx2 v[90:91], v[90:91], off
	s_waitcnt vmcnt(0)
	v_cvt_f16_f32_e32 v90, v90
	v_cvt_f16_f32_e32 v89, v91
.LBB99_30:                              ;   in Loop: Header=BB99_6 Depth=1
	s_andn2_b64 vcc, exec, s[52:53]
	v_mov_b32_e32 v91, 0
	s_cbranch_vccnz .LBB99_33
; %bb.31:                               ;   in Loop: Header=BB99_6 Depth=1
	s_load_dword vcc_lo, s[36:37], 0x20
	v_mov_b32_e32 v91, 0
	v_mov_b32_e32 v88, 0
	s_waitcnt lgkmcnt(0)
	s_mul_hi_u32 s48, vcc_lo, s16
	s_add_i32 s48, vcc_lo, s48
	s_lshr_b32 vcc_hi, s48, s17
	s_cmp_ge_i32 vcc_hi, s13
	s_cbranch_scc1 .LBB99_33
; %bb.32:                               ;   in Loop: Header=BB99_6 Depth=1
	s_mul_i32 s48, vcc_hi, s18
	s_sub_i32 s48, vcc_lo, s48
	s_mul_i32 vcc_hi, vcc_hi, s20
	s_mul_i32 s48, s48, s9
	v_add_u32_e32 v88, vcc_hi, v72
	v_lshl_add_u32 v92, v88, 1, s48
	v_ashrrev_i32_e32 v93, 31, v92
	v_lshl_add_u64 v[92:93], v[92:93], 2, s[6:7]
	global_load_dwordx2 v[92:93], v[92:93], off
	s_waitcnt vmcnt(0)
	v_cvt_f16_f32_e32 v88, v92
	v_cvt_f16_f32_e32 v91, v93
.LBB99_33:                              ;   in Loop: Header=BB99_6 Depth=1
	v_mov_b32_e32 v92, 0
	s_andn2_b64 vcc, exec, s[54:55]
	v_mov_b32_e32 v94, 0
	v_mov_b32_e32 v93, 0
	s_cbranch_vccnz .LBB99_36
; %bb.34:                               ;   in Loop: Header=BB99_6 Depth=1
	s_load_dword vcc_lo, s[36:37], 0x24
	v_mov_b32_e32 v93, 0
	v_mov_b32_e32 v94, 0
	s_waitcnt lgkmcnt(0)
	s_mul_hi_u32 s48, vcc_lo, s16
	s_add_i32 s48, vcc_lo, s48
	s_lshr_b32 vcc_hi, s48, s17
	s_cmp_ge_i32 vcc_hi, s13
	s_cbranch_scc1 .LBB99_36
; %bb.35:                               ;   in Loop: Header=BB99_6 Depth=1
	s_mul_i32 s48, vcc_hi, s18
	s_sub_i32 s48, vcc_lo, s48
	s_mul_i32 vcc_hi, vcc_hi, s20
	s_mul_i32 s48, s48, s9
	v_add_u32_e32 v93, vcc_hi, v72
	v_lshl_add_u32 v94, v93, 1, s48
	v_ashrrev_i32_e32 v95, 31, v94
	v_lshl_add_u64 v[94:95], v[94:95], 2, s[6:7]
	global_load_dwordx2 v[94:95], v[94:95], off
	s_waitcnt vmcnt(0)
	v_cvt_f16_f32_e32 v94, v94
	v_cvt_f16_f32_e32 v93, v95
.LBB99_36:                              ;   in Loop: Header=BB99_6 Depth=1
	s_andn2_b64 vcc, exec, s[56:57]
	v_mov_b32_e32 v95, 0
	s_cbranch_vccnz .LBB99_39
; %bb.37:                               ;   in Loop: Header=BB99_6 Depth=1
	s_load_dword vcc_lo, s[36:37], 0x28
	v_mov_b32_e32 v95, 0
	v_mov_b32_e32 v92, 0
	s_waitcnt lgkmcnt(0)
	s_mul_hi_u32 s48, vcc_lo, s16
	s_add_i32 s48, vcc_lo, s48
	s_lshr_b32 vcc_hi, s48, s17
	s_cmp_ge_i32 vcc_hi, s13
	s_cbranch_scc1 .LBB99_39
; %bb.38:                               ;   in Loop: Header=BB99_6 Depth=1
	s_mul_i32 s48, vcc_hi, s18
	s_sub_i32 s48, vcc_lo, s48
	s_mul_i32 vcc_hi, vcc_hi, s20
	s_mul_i32 s48, s48, s9
	v_add_u32_e32 v92, vcc_hi, v72
	v_lshl_add_u32 v96, v92, 1, s48
	v_ashrrev_i32_e32 v97, 31, v96
	v_lshl_add_u64 v[96:97], v[96:97], 2, s[6:7]
	global_load_dwordx2 v[96:97], v[96:97], off
	s_waitcnt vmcnt(0)
	v_cvt_f16_f32_e32 v92, v96
	v_cvt_f16_f32_e32 v95, v97
.LBB99_39:                              ;   in Loop: Header=BB99_6 Depth=1
	v_mov_b32_e32 v96, 0
	s_andn2_b64 vcc, exec, s[58:59]
	v_mov_b32_e32 v98, 0
	v_mov_b32_e32 v97, 0
	s_cbranch_vccnz .LBB99_42
; %bb.40:                               ;   in Loop: Header=BB99_6 Depth=1
	s_load_dword vcc_lo, s[36:37], 0x2c
	v_mov_b32_e32 v97, 0
	v_mov_b32_e32 v98, 0
	s_waitcnt lgkmcnt(0)
	s_mul_hi_u32 s48, vcc_lo, s16
	s_add_i32 s48, vcc_lo, s48
	s_lshr_b32 vcc_hi, s48, s17
	s_cmp_ge_i32 vcc_hi, s13
	s_cbranch_scc1 .LBB99_42
; %bb.41:                               ;   in Loop: Header=BB99_6 Depth=1
	s_mul_i32 s48, vcc_hi, s18
	s_sub_i32 s48, vcc_lo, s48
	s_mul_i32 vcc_hi, vcc_hi, s20
	s_mul_i32 s48, s48, s9
	v_add_u32_e32 v97, vcc_hi, v72
	v_lshl_add_u32 v98, v97, 1, s48
	v_ashrrev_i32_e32 v99, 31, v98
	v_lshl_add_u64 v[98:99], v[98:99], 2, s[6:7]
	global_load_dwordx2 v[98:99], v[98:99], off
	s_waitcnt vmcnt(0)
	v_cvt_f16_f32_e32 v98, v98
	v_cvt_f16_f32_e32 v97, v99
.LBB99_42:                              ;   in Loop: Header=BB99_6 Depth=1
	s_andn2_b64 vcc, exec, s[60:61]
	v_mov_b32_e32 v99, 0
	s_cbranch_vccnz .LBB99_5
; %bb.43:                               ;   in Loop: Header=BB99_6 Depth=1
	s_load_dword vcc_lo, s[36:37], 0x30
	v_mov_b32_e32 v99, 0
	v_mov_b32_e32 v96, 0
	s_waitcnt lgkmcnt(0)
	s_mul_hi_u32 s48, vcc_lo, s16
	s_add_i32 s48, vcc_lo, s48
	s_lshr_b32 vcc_hi, s48, s17
	s_cmp_ge_i32 vcc_hi, s13
	s_cbranch_scc1 .LBB99_5
; %bb.44:                               ;   in Loop: Header=BB99_6 Depth=1
	s_mul_i32 s48, vcc_hi, s18
	s_sub_i32 s48, vcc_lo, s48
	s_mul_i32 vcc_hi, vcc_hi, s20
	s_mul_i32 s48, s48, s9
	v_add_u32_e32 v96, vcc_hi, v72
	v_lshl_add_u32 v100, v96, 1, s48
	v_ashrrev_i32_e32 v101, 31, v100
	v_lshl_add_u64 v[100:101], v[100:101], 2, s[6:7]
	global_load_dwordx2 v[100:101], v[100:101], off
	s_waitcnt vmcnt(0)
	v_cvt_f16_f32_e32 v96, v100
	v_cvt_f16_f32_e32 v99, v101
	s_branch .LBB99_5
.LBB99_45:
	s_or_b64 exec, exec, s[4:5]
	v_readlane_b32 s24, v102, 6
	v_readlane_b32 s28, v102, 9
	;; [unrolled: 1-line block ×10, first 2 shown]
.LBB99_46:
	s_or_b64 exec, exec, s[30:31]
	v_lshl_add_u32 v0, v70, 2, 0
	v_and_b32_e32 v1, 0x3f0, v3
	v_add3_u32 v0, v0, v71, v1
	v_accvgpr_read_b32 v1, a5
	v_accvgpr_read_b32 v4, a4
	ds_write2_b32 v0, v4, v1 offset1:1
	v_accvgpr_read_b32 v1, a7
	v_accvgpr_read_b32 v4, a6
	ds_write2_b32 v0, v4, v1 offset0:2 offset1:3
	v_accvgpr_read_b32 v1, a1
	v_accvgpr_read_b32 v4, a0
	ds_write2_b32 v0, v4, v1 offset0:16 offset1:17
	;; [unrolled: 3-line block ×3, first 2 shown]
	v_accvgpr_read_b32 v1, a9
	v_accvgpr_read_b32 v4, a8
	s_lshl_b64 s[0:1], s[28:29], 2
	ds_write2_b32 v0, v4, v1 offset0:32 offset1:33
	v_accvgpr_read_b32 v1, a11
	v_accvgpr_read_b32 v4, a10
	s_add_u32 s4, s22, s0
	ds_write2_b32 v0, v4, v1 offset0:34 offset1:35
	v_accvgpr_read_b32 v1, a13
	v_accvgpr_read_b32 v4, a12
	s_addc_u32 s5, s23, s1
	ds_write2_b32 v0, v4, v1 offset0:48 offset1:49
	v_accvgpr_read_b32 v1, a15
	v_accvgpr_read_b32 v4, a14
	ds_write2_b32 v0, v4, v1 offset0:50 offset1:51
	s_cmp_gt_i32 s14, 0
	v_add_u32_e32 v0, s2, v2
	s_cselect_b64 s[6:7], -1, 0
	v_cmp_gt_i32_e64 s[0:1], s26, v0
	v_cmp_gt_u32_e32 vcc, 13, v2
	s_and_b64 s[0:1], s[6:7], s[0:1]
	v_lshl_add_u32 v5, v3, 2, 0
	v_add_u32_e32 v4, s3, v3
	v_mul_u32_u24_e32 v6, 0x108, v2
	s_and_b64 s[8:9], vcc, s[0:1]
	s_and_saveexec_b64 s[0:1], s[8:9]
	v_readlane_b32 s14, v102, 0
	v_readlane_b32 s15, v102, 1
	s_cbranch_execz .LBB99_49
; %bb.47:
	v_ashrrev_i32_e32 v1, 31, v0
	v_lshl_add_u64 v[8:9], v[0:1], 2, s[4:5]
	global_load_dword v1, v[8:9], off
	s_waitcnt vmcnt(0)
	v_mul_hi_u32 v3, v1, s19
	v_add_u32_e32 v3, v1, v3
	v_lshrrev_b32_e32 v3, s24, v3
	v_cmp_gt_i32_e32 vcc, s13, v3
	s_and_b64 exec, exec, vcc
	s_cbranch_execz .LBB99_49
; %bb.48:
	v_add_u32_e32 v7, v5, v6
	ds_read_b32 v7, v7
	v_mul_lo_u32 v8, v3, s25
	v_sub_u32_e32 v1, v1, v8
	v_mul_lo_u32 v3, v3, s21
	v_mul_lo_u32 v1, v1, s10
	v_add3_u32 v8, v4, v3, v1
	v_mov_b32_e32 v9, 0
	s_waitcnt lgkmcnt(0)
	v_add_f32_e32 v7, 0, v7
	v_lshl_add_u64 v[8:9], v[8:9], 2, s[14:15]
	global_store_dword v[8:9], v7, off
.LBB99_49:
	s_or_b64 exec, exec, s[0:1]
	v_add_u32_e32 v1, 1, v0
	v_cmp_gt_i32_e64 s[0:1], s26, v1
	v_cmp_gt_u32_e32 vcc, 12, v2
	s_and_b64 s[0:1], s[6:7], s[0:1]
	s_and_b64 s[8:9], vcc, s[0:1]
	s_and_saveexec_b64 s[0:1], s[8:9]
	s_cbranch_execz .LBB99_52
; %bb.50:
	s_ashr_i32 s3, s2, 31
	v_mov_b32_e32 v3, 0
	v_lshl_add_u64 v[8:9], v[2:3], 0, s[2:3]
	v_lshl_add_u64 v[8:9], v[8:9], 2, s[4:5]
	global_load_dword v1, v[8:9], off offset:4
	s_waitcnt vmcnt(0)
	v_mul_hi_u32 v7, v1, s19
	v_add_u32_e32 v7, v1, v7
	v_lshrrev_b32_e32 v7, s24, v7
	v_cmp_gt_i32_e32 vcc, s13, v7
	s_and_b64 exec, exec, vcc
	s_cbranch_execz .LBB99_52
; %bb.51:
	v_add_u32_e32 v8, v6, v5
	ds_read_b32 v8, v8 offset:264
	v_mul_lo_u32 v9, v7, s25
	v_sub_u32_e32 v1, v1, v9
	v_mul_lo_u32 v7, v7, s21
	v_mul_lo_u32 v1, v1, s10
	s_waitcnt lgkmcnt(0)
	v_add_f32_e32 v10, 0, v8
	v_add3_u32 v8, v4, v7, v1
	v_mov_b32_e32 v9, v3
	v_lshl_add_u64 v[8:9], v[8:9], 2, s[14:15]
	global_store_dword v[8:9], v10, off
.LBB99_52:
	s_or_b64 exec, exec, s[0:1]
	v_add_u32_e32 v1, 2, v0
	v_cmp_gt_i32_e64 s[0:1], s26, v1
	v_cmp_gt_u32_e32 vcc, 11, v2
	s_and_b64 s[0:1], s[6:7], s[0:1]
	s_and_b64 s[8:9], vcc, s[0:1]
	s_and_saveexec_b64 s[0:1], s[8:9]
	s_cbranch_execz .LBB99_55
; %bb.53:
	s_ashr_i32 s3, s2, 31
	v_mov_b32_e32 v3, 0
	v_lshl_add_u64 v[8:9], v[2:3], 0, s[2:3]
	v_lshl_add_u64 v[8:9], v[8:9], 2, s[4:5]
	global_load_dword v1, v[8:9], off offset:8
	s_waitcnt vmcnt(0)
	v_mul_hi_u32 v7, v1, s19
	v_add_u32_e32 v7, v1, v7
	v_lshrrev_b32_e32 v7, s24, v7
	v_cmp_gt_i32_e32 vcc, s13, v7
	s_and_b64 exec, exec, vcc
	s_cbranch_execz .LBB99_55
; %bb.54:
	v_add_u32_e32 v8, v5, v6
	ds_read_b32 v8, v8 offset:528
	v_mul_lo_u32 v9, v7, s25
	v_sub_u32_e32 v1, v1, v9
	v_mul_lo_u32 v7, v7, s21
	v_mul_lo_u32 v1, v1, s10
	s_waitcnt lgkmcnt(0)
	v_add_f32_e32 v10, 0, v8
	v_add3_u32 v8, v4, v7, v1
	v_mov_b32_e32 v9, v3
	v_lshl_add_u64 v[8:9], v[8:9], 2, s[14:15]
	global_store_dword v[8:9], v10, off
.LBB99_55:
	;; [unrolled: 35-line block ×11, first 2 shown]
	s_or_b64 exec, exec, s[0:1]
	v_add_u32_e32 v0, 12, v0
	v_cmp_gt_i32_e64 s[0:1], s26, v0
	v_cmp_eq_u32_e32 vcc, 0, v2
	s_and_b64 s[0:1], s[6:7], s[0:1]
	s_and_b64 s[0:1], vcc, s[0:1]
	s_and_saveexec_b64 s[6:7], s[0:1]
	s_cbranch_execz .LBB99_85
; %bb.83:
	s_ashr_i32 s3, s2, 31
	s_lshl_b64 s[0:1], s[2:3], 2
	s_add_u32 s0, s4, s0
	s_addc_u32 s1, s5, s1
	s_load_dword s0, s[0:1], 0x30
	s_waitcnt lgkmcnt(0)
	s_mul_hi_u32 s1, s0, s19
	s_add_i32 s1, s0, s1
	s_lshr_b32 s1, s1, s24
	s_cmp_ge_i32 s1, s13
	s_cbranch_scc1 .LBB99_85
; %bb.84:
	v_add_u32_e32 v0, v5, v6
	ds_read_b32 v0, v0 offset:3168
	s_mul_i32 s2, s1, s25
	s_sub_i32 s0, s0, s2
	s_mul_i32 s1, s1, s21
	s_mul_i32 s0, s0, s10
	s_add_i32 s0, s0, s1
	s_waitcnt lgkmcnt(0)
	v_add_f32_e32 v2, 0, v0
	v_add_u32_e32 v0, s0, v4
	v_mov_b32_e32 v1, 0
	v_lshl_add_u64 v[0:1], v[0:1], 2, s[14:15]
	global_store_dword v[0:1], v2, off
.LBB99_85:
	s_endpgm
	.section	.rodata,"a",@progbits
	.p2align	6, 0x0
	.amdhsa_kernel _ZL13mul_mat_f_idsI7__half2Li64ELi13ELi1EEvPKT_PKfPKiS7_S7_Pfiiiiiiiiiiiiii15HIP_vector_typeIjLj3EESA_
		.amdhsa_group_segment_fixed_size 0
		.amdhsa_private_segment_fixed_size 0
		.amdhsa_kernarg_size 128
		.amdhsa_user_sgpr_count 2
		.amdhsa_user_sgpr_dispatch_ptr 0
		.amdhsa_user_sgpr_queue_ptr 0
		.amdhsa_user_sgpr_kernarg_segment_ptr 1
		.amdhsa_user_sgpr_dispatch_id 0
		.amdhsa_user_sgpr_kernarg_preload_length 0
		.amdhsa_user_sgpr_kernarg_preload_offset 0
		.amdhsa_user_sgpr_private_segment_size 0
		.amdhsa_uses_dynamic_stack 0
		.amdhsa_enable_private_segment 0
		.amdhsa_system_sgpr_workgroup_id_x 1
		.amdhsa_system_sgpr_workgroup_id_y 1
		.amdhsa_system_sgpr_workgroup_id_z 1
		.amdhsa_system_sgpr_workgroup_info 0
		.amdhsa_system_vgpr_workitem_id 1
		.amdhsa_next_free_vgpr 120
		.amdhsa_next_free_sgpr 100
		.amdhsa_accum_offset 104
		.amdhsa_reserve_vcc 1
		.amdhsa_float_round_mode_32 0
		.amdhsa_float_round_mode_16_64 0
		.amdhsa_float_denorm_mode_32 3
		.amdhsa_float_denorm_mode_16_64 3
		.amdhsa_dx10_clamp 1
		.amdhsa_ieee_mode 1
		.amdhsa_fp16_overflow 0
		.amdhsa_tg_split 0
		.amdhsa_exception_fp_ieee_invalid_op 0
		.amdhsa_exception_fp_denorm_src 0
		.amdhsa_exception_fp_ieee_div_zero 0
		.amdhsa_exception_fp_ieee_overflow 0
		.amdhsa_exception_fp_ieee_underflow 0
		.amdhsa_exception_fp_ieee_inexact 0
		.amdhsa_exception_int_div_zero 0
	.end_amdhsa_kernel
	.section	.text._ZL13mul_mat_f_idsI7__half2Li64ELi13ELi1EEvPKT_PKfPKiS7_S7_Pfiiiiiiiiiiiiii15HIP_vector_typeIjLj3EESA_,"axG",@progbits,_ZL13mul_mat_f_idsI7__half2Li64ELi13ELi1EEvPKT_PKfPKiS7_S7_Pfiiiiiiiiiiiiii15HIP_vector_typeIjLj3EESA_,comdat
.Lfunc_end99:
	.size	_ZL13mul_mat_f_idsI7__half2Li64ELi13ELi1EEvPKT_PKfPKiS7_S7_Pfiiiiiiiiiiiiii15HIP_vector_typeIjLj3EESA_, .Lfunc_end99-_ZL13mul_mat_f_idsI7__half2Li64ELi13ELi1EEvPKT_PKfPKiS7_S7_Pfiiiiiiiiiiiiii15HIP_vector_typeIjLj3EESA_
                                        ; -- End function
	.set _ZL13mul_mat_f_idsI7__half2Li64ELi13ELi1EEvPKT_PKfPKiS7_S7_Pfiiiiiiiiiiiiii15HIP_vector_typeIjLj3EESA_.num_vgpr, 103
	.set _ZL13mul_mat_f_idsI7__half2Li64ELi13ELi1EEvPKT_PKfPKiS7_S7_Pfiiiiiiiiiiiiii15HIP_vector_typeIjLj3EESA_.num_agpr, 16
	.set _ZL13mul_mat_f_idsI7__half2Li64ELi13ELi1EEvPKT_PKfPKiS7_S7_Pfiiiiiiiiiiiiii15HIP_vector_typeIjLj3EESA_.numbered_sgpr, 100
	.set _ZL13mul_mat_f_idsI7__half2Li64ELi13ELi1EEvPKT_PKfPKiS7_S7_Pfiiiiiiiiiiiiii15HIP_vector_typeIjLj3EESA_.num_named_barrier, 0
	.set _ZL13mul_mat_f_idsI7__half2Li64ELi13ELi1EEvPKT_PKfPKiS7_S7_Pfiiiiiiiiiiiiii15HIP_vector_typeIjLj3EESA_.private_seg_size, 0
	.set _ZL13mul_mat_f_idsI7__half2Li64ELi13ELi1EEvPKT_PKfPKiS7_S7_Pfiiiiiiiiiiiiii15HIP_vector_typeIjLj3EESA_.uses_vcc, 1
	.set _ZL13mul_mat_f_idsI7__half2Li64ELi13ELi1EEvPKT_PKfPKiS7_S7_Pfiiiiiiiiiiiiii15HIP_vector_typeIjLj3EESA_.uses_flat_scratch, 0
	.set _ZL13mul_mat_f_idsI7__half2Li64ELi13ELi1EEvPKT_PKfPKiS7_S7_Pfiiiiiiiiiiiiii15HIP_vector_typeIjLj3EESA_.has_dyn_sized_stack, 0
	.set _ZL13mul_mat_f_idsI7__half2Li64ELi13ELi1EEvPKT_PKfPKiS7_S7_Pfiiiiiiiiiiiiii15HIP_vector_typeIjLj3EESA_.has_recursion, 0
	.set _ZL13mul_mat_f_idsI7__half2Li64ELi13ELi1EEvPKT_PKfPKiS7_S7_Pfiiiiiiiiiiiiii15HIP_vector_typeIjLj3EESA_.has_indirect_call, 0
	.section	.AMDGPU.csdata,"",@progbits
; Kernel info:
; codeLenInByte = 8608
; TotalNumSgprs: 106
; NumVgprs: 103
; NumAgprs: 16
; TotalNumVgprs: 120
; ScratchSize: 0
; MemoryBound: 0
; FloatMode: 240
; IeeeMode: 1
; LDSByteSize: 0 bytes/workgroup (compile time only)
; SGPRBlocks: 13
; VGPRBlocks: 14
; NumSGPRsForWavesPerEU: 106
; NumVGPRsForWavesPerEU: 120
; AccumOffset: 104
; Occupancy: 4
; WaveLimiterHint : 1
; COMPUTE_PGM_RSRC2:SCRATCH_EN: 0
; COMPUTE_PGM_RSRC2:USER_SGPR: 2
; COMPUTE_PGM_RSRC2:TRAP_HANDLER: 0
; COMPUTE_PGM_RSRC2:TGID_X_EN: 1
; COMPUTE_PGM_RSRC2:TGID_Y_EN: 1
; COMPUTE_PGM_RSRC2:TGID_Z_EN: 1
; COMPUTE_PGM_RSRC2:TIDIG_COMP_CNT: 1
; COMPUTE_PGM_RSRC3_GFX90A:ACCUM_OFFSET: 25
; COMPUTE_PGM_RSRC3_GFX90A:TG_SPLIT: 0
	.section	.text._ZL9mul_mat_fI7__half2Li64ELi13ELi1ELb1EEvPKT_PKfPKiPfiiiiiiiiiiiiiiii,"axG",@progbits,_ZL9mul_mat_fI7__half2Li64ELi13ELi1ELb1EEvPKT_PKfPKiPfiiiiiiiiiiiiiiii,comdat
	.globl	_ZL9mul_mat_fI7__half2Li64ELi13ELi1ELb1EEvPKT_PKfPKiPfiiiiiiiiiiiiiiii ; -- Begin function _ZL9mul_mat_fI7__half2Li64ELi13ELi1ELb1EEvPKT_PKfPKiPfiiiiiiiiiiiiiiii
	.p2align	8
	.type	_ZL9mul_mat_fI7__half2Li64ELi13ELi1ELb1EEvPKT_PKfPKiPfiiiiiiiiiiiiiiii,@function
_ZL9mul_mat_fI7__half2Li64ELi13ELi1ELb1EEvPKT_PKfPKiPfiiiiiiiiiiiiiiii: ; @_ZL9mul_mat_fI7__half2Li64ELi13ELi1ELb1EEvPKT_PKfPKiPfiiiiiiiiiiiiiiii
; %bb.0:
	s_load_dwordx8 s[60:67], s[0:1], 0x20
	s_mov_b32 s26, s4
	s_load_dwordx2 s[8:9], s[0:1], 0x10
	s_waitcnt lgkmcnt(0)
	s_add_i32 s4, s61, 12
	s_mul_hi_i32 s4, s4, 0x4ec4ec4f
	s_lshr_b32 s5, s4, 31
	s_ashr_i32 s4, s4, 2
	s_add_i32 s4, s4, s5
	v_cvt_f32_u32_e32 v1, s4
	s_load_dword s5, s[0:1], 0x64
	s_add_u32 s34, s0, 0x60
	s_addc_u32 s35, s1, 0
	v_rcp_iflag_f32_e32 v1, v1
	s_sub_i32 s6, 0, s4
	v_mul_f32_e32 v1, 0x4f7ffffe, v1
	v_cvt_u32_f32_e32 v1, v1
	v_mul_lo_u32 v2, s6, v1
	v_mul_hi_u32 v2, v1, v2
	v_add_u32_e32 v1, v1, v2
	s_waitcnt lgkmcnt(0)
	v_mul_hi_u32 v1, s5, v1
	v_mul_lo_u32 v2, v1, s4
	v_sub_u32_e32 v2, s5, v2
	v_add_u32_e32 v3, 1, v1
	v_subrev_u32_e32 v4, s4, v2
	v_cmp_le_u32_e32 vcc, s4, v2
	s_nop 1
	v_cndmask_b32_e32 v1, v1, v3, vcc
	v_cndmask_b32_e32 v2, v2, v4, vcc
	v_add_u32_e32 v3, 1, v1
	v_cmp_le_u32_e32 vcc, s4, v2
	s_nop 1
	v_cndmask_b32_e32 v1, v1, v3, vcc
	v_cvt_f32_u32_e32 v2, v1
	v_sub_u32_e32 v5, 0, v1
	v_bfe_u32 v3, v0, 10, 10
	v_rcp_iflag_f32_e32 v2, v2
	s_nop 0
	v_mul_f32_e32 v2, 0x4f7ffffe, v2
	v_cvt_u32_f32_e32 v4, v2
	v_and_b32_e32 v2, 0x3ff, v0
	v_cmp_eq_u32_e32 vcc, 0, v2
	v_mul_lo_u32 v5, v5, v4
	v_mul_hi_u32 v5, v4, v5
	v_add_u32_e32 v4, v4, v5
	v_mul_hi_u32 v4, s3, v4
	s_and_saveexec_b64 s[6:7], vcc
; %bb.1:
	v_mov_b32_e32 v5, 0x100
	v_lshl_add_u32 v5, v3, 2, v5
	v_mov_b32_e32 v6, -1
	ds_write_b32 v5, v6
; %bb.2:
	s_or_b64 exec, exec, s[6:7]
	v_mul_lo_u32 v5, v4, v1
	v_sub_u32_e32 v5, s3, v5
	v_add_u32_e32 v6, 1, v4
	v_sub_u32_e32 v7, v5, v1
	v_cmp_ge_u32_e64 s[6:7], v5, v1
	v_cmp_gt_i32_e64 s[28:29], s62, v2
	s_nop 0
	v_cndmask_b32_e64 v4, v4, v6, s[6:7]
	v_cndmask_b32_e64 v5, v5, v7, s[6:7]
	v_add_u32_e32 v6, 1, v4
	v_cmp_ge_u32_e64 s[6:7], v5, v1
	s_nop 1
	v_cndmask_b32_e64 v4, v4, v6, s[6:7]
	v_mul_lo_u32 v80, v4, 13
	v_mul_lo_u32 v1, v4, v1
	v_mul_hi_i32 v5, v80, s67
	v_mul_lo_u32 v4, v80, s67
	v_sub_u32_e32 v10, s3, v1
	v_lshlrev_b64 v[4:5], 2, v[4:5]
	v_add_u32_e32 v1, v3, v80
	v_lshl_add_u64 v[4:5], s[8:9], 0, v[4:5]
	v_cmp_gt_i32_e64 s[44:45], s61, v1
	v_mov_b32_e32 v1, 0
	s_and_saveexec_b64 s[10:11], s[44:45]
	s_cbranch_execz .LBB100_10
; %bb.3:
	v_mov_b32_e32 v1, 0
	s_and_saveexec_b64 s[12:13], s[28:29]
	s_cbranch_execz .LBB100_9
; %bb.4:
	v_mul_lo_u32 v6, v3, s67
	v_ashrrev_i32_e32 v7, 31, v6
	v_mov_b32_e32 v1, 0x100
	v_lshl_add_u64 v[6:7], v[6:7], 2, v[4:5]
	v_lshl_add_u32 v11, v3, 2, v1
	v_mul_lo_u32 v8, v2, s66
	s_lshl_b32 s3, s66, 6
	v_mov_b32_e32 v1, 0
	s_mov_b64 s[14:15], 0
	v_mov_b32_e32 v12, v2
	s_branch .LBB100_6
.LBB100_5:                              ;   in Loop: Header=BB100_6 Depth=1
	s_or_b64 exec, exec, s[16:17]
	v_add_u32_e32 v12, 64, v12
	v_cmp_le_i32_e64 s[8:9], s62, v12
	s_xor_b64 s[4:5], s[6:7], -1
	s_or_b64 s[4:5], s[4:5], s[8:9]
	s_and_b64 s[4:5], exec, s[4:5]
	s_or_b64 s[14:15], s[4:5], s[14:15]
	v_add_u32_e32 v8, s3, v8
	s_andn2_b64 exec, exec, s[14:15]
	s_cbranch_execz .LBB100_8
.LBB100_6:                              ; =>This Inner Loop Header: Depth=1
	v_ashrrev_i32_e32 v9, 31, v8
	v_lshl_add_u64 v[14:15], v[8:9], 2, v[6:7]
	global_load_dword v9, v[14:15], off
	s_waitcnt vmcnt(0)
	v_cmp_ne_u32_e64 s[6:7], v9, v10
	v_cmp_eq_u32_e64 s[8:9], v9, v10
	s_and_saveexec_b64 s[16:17], s[8:9]
	s_cbranch_execz .LBB100_5
; %bb.7:                                ;   in Loop: Header=BB100_6 Depth=1
	v_mov_b32_e32 v1, 1
	ds_write_b32 v11, v12
	s_branch .LBB100_5
.LBB100_8:
	s_or_b64 exec, exec, s[14:15]
.LBB100_9:
	s_or_b64 exec, exec, s[12:13]
.LBB100_10:
	s_or_b64 exec, exec, s[10:11]
	s_and_saveexec_b64 s[6:7], vcc
; %bb.11:
	v_mov_b32_e32 v6, 0x100
	v_lshl_add_u32 v6, v3, 2, v6
	v_mov_b32_e32 v7, -1
	ds_write_b32 v6, v7 offset:4
; %bb.12:
	s_or_b64 exec, exec, s[6:7]
	v_add_u32_e32 v81, 1, v3
	v_add_u32_e32 v6, v81, v80
	v_cmp_gt_i32_e64 s[4:5], s61, v6
	s_mov_b64 s[10:11], exec
                                        ; implicit-def: $vgpr101 : SGPR spill to VGPR lane
	s_nop 0
	v_writelane_b32 v101, s4, 0
	s_nop 1
	v_writelane_b32 v101, s5, 1
	s_and_b64 s[4:5], s[10:11], s[4:5]
	s_mov_b64 exec, s[4:5]
	s_cbranch_execz .LBB100_20
; %bb.13:
	s_and_saveexec_b64 s[12:13], s[28:29]
	s_cbranch_execz .LBB100_19
; %bb.14:
	v_mul_lo_u32 v6, v81, s67
	v_ashrrev_i32_e32 v7, 31, v6
	v_mov_b32_e32 v8, 0x100
	v_lshl_add_u64 v[6:7], v[6:7], 2, v[4:5]
	v_lshl_add_u32 v11, v3, 2, v8
	v_mul_lo_u32 v8, v2, s66
	s_lshl_b32 s3, s66, 6
	s_mov_b64 s[14:15], 0
	v_mov_b32_e32 v12, v2
	s_branch .LBB100_16
.LBB100_15:                             ;   in Loop: Header=BB100_16 Depth=1
	s_or_b64 exec, exec, s[16:17]
	v_add_u32_e32 v12, 64, v12
	v_cmp_le_i32_e64 s[8:9], s62, v12
	s_xor_b64 s[4:5], s[6:7], -1
	s_or_b64 s[4:5], s[4:5], s[8:9]
	s_and_b64 s[4:5], exec, s[4:5]
	s_or_b64 s[14:15], s[4:5], s[14:15]
	v_add_u32_e32 v8, s3, v8
	s_andn2_b64 exec, exec, s[14:15]
	s_cbranch_execz .LBB100_18
.LBB100_16:                             ; =>This Inner Loop Header: Depth=1
	v_ashrrev_i32_e32 v9, 31, v8
	v_lshl_add_u64 v[14:15], v[8:9], 2, v[6:7]
	global_load_dword v9, v[14:15], off
	s_waitcnt vmcnt(0)
	v_cmp_ne_u32_e64 s[6:7], v9, v10
	v_cmp_eq_u32_e64 s[8:9], v9, v10
	s_and_saveexec_b64 s[16:17], s[8:9]
	s_cbranch_execz .LBB100_15
; %bb.17:                               ;   in Loop: Header=BB100_16 Depth=1
	v_mov_b32_e32 v1, 1
	ds_write_b32 v11, v12 offset:4
	s_branch .LBB100_15
.LBB100_18:
	s_or_b64 exec, exec, s[14:15]
.LBB100_19:
	s_or_b64 exec, exec, s[12:13]
.LBB100_20:
	s_or_b64 exec, exec, s[10:11]
	s_and_saveexec_b64 s[6:7], vcc
; %bb.21:
	v_mov_b32_e32 v6, 0x100
	v_lshl_add_u32 v6, v3, 2, v6
	v_mov_b32_e32 v7, -1
	ds_write_b32 v6, v7 offset:8
; %bb.22:
	s_or_b64 exec, exec, s[6:7]
	v_add_u32_e32 v82, 2, v3
	v_add_u32_e32 v6, v82, v80
	v_cmp_gt_i32_e64 s[4:5], s61, v6
	s_mov_b64 s[10:11], exec
	s_nop 0
	v_writelane_b32 v101, s4, 2
	s_nop 1
	v_writelane_b32 v101, s5, 3
	s_and_b64 s[4:5], s[10:11], s[4:5]
	s_mov_b64 exec, s[4:5]
	s_cbranch_execz .LBB100_30
; %bb.23:
	s_and_saveexec_b64 s[12:13], s[28:29]
	s_cbranch_execz .LBB100_29
; %bb.24:
	v_mul_lo_u32 v6, v82, s67
	v_ashrrev_i32_e32 v7, 31, v6
	v_mov_b32_e32 v8, 0x100
	v_lshl_add_u64 v[6:7], v[6:7], 2, v[4:5]
	v_lshl_add_u32 v11, v3, 2, v8
	v_mul_lo_u32 v8, v2, s66
	s_lshl_b32 s3, s66, 6
	s_mov_b64 s[14:15], 0
	v_mov_b32_e32 v12, v2
	s_branch .LBB100_26
.LBB100_25:                             ;   in Loop: Header=BB100_26 Depth=1
	s_or_b64 exec, exec, s[16:17]
	v_add_u32_e32 v12, 64, v12
	v_cmp_le_i32_e64 s[8:9], s62, v12
	s_xor_b64 s[4:5], s[6:7], -1
	s_or_b64 s[4:5], s[4:5], s[8:9]
	s_and_b64 s[4:5], exec, s[4:5]
	s_or_b64 s[14:15], s[4:5], s[14:15]
	v_add_u32_e32 v8, s3, v8
	s_andn2_b64 exec, exec, s[14:15]
	s_cbranch_execz .LBB100_28
.LBB100_26:                             ; =>This Inner Loop Header: Depth=1
	v_ashrrev_i32_e32 v9, 31, v8
	v_lshl_add_u64 v[14:15], v[8:9], 2, v[6:7]
	global_load_dword v9, v[14:15], off
	s_waitcnt vmcnt(0)
	v_cmp_ne_u32_e64 s[6:7], v9, v10
	v_cmp_eq_u32_e64 s[8:9], v9, v10
	s_and_saveexec_b64 s[16:17], s[8:9]
	s_cbranch_execz .LBB100_25
; %bb.27:                               ;   in Loop: Header=BB100_26 Depth=1
	v_mov_b32_e32 v1, 1
	ds_write_b32 v11, v12 offset:8
	s_branch .LBB100_25
.LBB100_28:
	s_or_b64 exec, exec, s[14:15]
.LBB100_29:
	s_or_b64 exec, exec, s[12:13]
.LBB100_30:
	s_or_b64 exec, exec, s[10:11]
	s_and_saveexec_b64 s[6:7], vcc
; %bb.31:
	v_mov_b32_e32 v6, 0x100
	v_lshl_add_u32 v6, v3, 2, v6
	v_mov_b32_e32 v7, -1
	ds_write_b32 v6, v7 offset:12
; %bb.32:
	s_or_b64 exec, exec, s[6:7]
	v_add_u32_e32 v83, 3, v3
	v_add_u32_e32 v6, v83, v80
	v_cmp_gt_i32_e64 s[4:5], s61, v6
	s_mov_b64 s[12:13], exec
	;; [unrolled: 63-line block ×6, first 2 shown]
	s_nop 0
	v_writelane_b32 v101, s4, 12
	s_nop 1
	v_writelane_b32 v101, s5, 13
	s_and_b64 s[4:5], s[20:21], s[4:5]
	s_mov_b64 exec, s[4:5]
	s_cbranch_execz .LBB100_80
; %bb.73:
	s_and_saveexec_b64 s[22:23], s[28:29]
	s_cbranch_execz .LBB100_79
; %bb.74:
	v_mul_lo_u32 v6, v87, s67
	v_ashrrev_i32_e32 v7, 31, v6
	v_mov_b32_e32 v8, 0x100
	v_lshl_add_u64 v[6:7], v[6:7], 2, v[4:5]
	v_lshl_add_u32 v11, v3, 2, v8
	v_mul_lo_u32 v8, v2, s66
	s_lshl_b32 s3, s66, 6
	s_mov_b64 s[24:25], 0
	v_mov_b32_e32 v12, v2
	s_branch .LBB100_76
.LBB100_75:                             ;   in Loop: Header=BB100_76 Depth=1
	s_or_b64 exec, exec, s[30:31]
	v_add_u32_e32 v12, 64, v12
	v_cmp_le_i32_e64 s[18:19], s62, v12
	s_xor_b64 s[4:5], s[16:17], -1
	s_or_b64 s[4:5], s[4:5], s[18:19]
	s_and_b64 s[4:5], exec, s[4:5]
	s_or_b64 s[24:25], s[4:5], s[24:25]
	v_add_u32_e32 v8, s3, v8
	s_andn2_b64 exec, exec, s[24:25]
	s_cbranch_execz .LBB100_78
.LBB100_76:                             ; =>This Inner Loop Header: Depth=1
	v_ashrrev_i32_e32 v9, 31, v8
	v_lshl_add_u64 v[14:15], v[8:9], 2, v[6:7]
	global_load_dword v9, v[14:15], off
	s_waitcnt vmcnt(0)
	v_cmp_ne_u32_e64 s[16:17], v9, v10
	v_cmp_eq_u32_e64 s[18:19], v9, v10
	s_and_saveexec_b64 s[30:31], s[18:19]
	s_cbranch_execz .LBB100_75
; %bb.77:                               ;   in Loop: Header=BB100_76 Depth=1
	v_mov_b32_e32 v1, 1
	ds_write_b32 v11, v12 offset:28
	s_branch .LBB100_75
.LBB100_78:
	s_or_b64 exec, exec, s[24:25]
.LBB100_79:
	s_or_b64 exec, exec, s[22:23]
.LBB100_80:
	s_or_b64 exec, exec, s[20:21]
	s_load_dwordx4 s[68:71], s[0:1], 0x44
	s_and_saveexec_b64 s[16:17], vcc
; %bb.81:
	v_mov_b32_e32 v6, 0x100
	v_lshl_add_u32 v6, v3, 2, v6
	v_mov_b32_e32 v7, -1
	ds_write_b32 v6, v7 offset:32
; %bb.82:
	s_or_b64 exec, exec, s[16:17]
	v_add_u32_e32 v88, 8, v3
	v_add_u32_e32 v6, v88, v80
	v_cmp_gt_i32_e64 s[4:5], s61, v6
	s_mov_b64 s[22:23], exec
	s_nop 0
	v_writelane_b32 v101, s4, 14
	s_nop 1
	v_writelane_b32 v101, s5, 15
	s_and_b64 s[4:5], s[22:23], s[4:5]
	s_mov_b64 exec, s[4:5]
	s_cbranch_execz .LBB100_90
; %bb.83:
	s_and_saveexec_b64 s[24:25], s[28:29]
	s_cbranch_execz .LBB100_89
; %bb.84:
	v_mul_lo_u32 v6, v88, s67
	v_ashrrev_i32_e32 v7, 31, v6
	v_mov_b32_e32 v8, 0x100
	v_lshl_add_u64 v[6:7], v[6:7], 2, v[4:5]
	v_lshl_add_u32 v11, v3, 2, v8
	v_mul_lo_u32 v8, v2, s66
	s_lshl_b32 s3, s66, 6
	s_mov_b64 s[30:31], 0
	v_mov_b32_e32 v12, v2
	s_branch .LBB100_86
.LBB100_85:                             ;   in Loop: Header=BB100_86 Depth=1
	s_or_b64 exec, exec, s[36:37]
	v_add_u32_e32 v12, 64, v12
	v_cmp_le_i32_e64 s[20:21], s62, v12
	s_xor_b64 s[4:5], s[18:19], -1
	s_or_b64 s[4:5], s[4:5], s[20:21]
	s_and_b64 s[4:5], exec, s[4:5]
	s_or_b64 s[30:31], s[4:5], s[30:31]
	v_add_u32_e32 v8, s3, v8
	s_andn2_b64 exec, exec, s[30:31]
	s_cbranch_execz .LBB100_88
.LBB100_86:                             ; =>This Inner Loop Header: Depth=1
	v_ashrrev_i32_e32 v9, 31, v8
	v_lshl_add_u64 v[14:15], v[8:9], 2, v[6:7]
	global_load_dword v9, v[14:15], off
	s_waitcnt vmcnt(0)
	v_cmp_ne_u32_e64 s[18:19], v9, v10
	v_cmp_eq_u32_e64 s[20:21], v9, v10
	s_and_saveexec_b64 s[36:37], s[20:21]
	s_cbranch_execz .LBB100_85
; %bb.87:                               ;   in Loop: Header=BB100_86 Depth=1
	v_mov_b32_e32 v1, 1
	ds_write_b32 v11, v12 offset:32
	s_branch .LBB100_85
.LBB100_88:
	s_or_b64 exec, exec, s[30:31]
.LBB100_89:
	s_or_b64 exec, exec, s[24:25]
.LBB100_90:
	s_or_b64 exec, exec, s[22:23]
	s_waitcnt lgkmcnt(0)
	s_abs_i32 s3, s71
	s_and_saveexec_b64 s[18:19], vcc
; %bb.91:
	v_mov_b32_e32 v6, 0x100
	v_lshl_add_u32 v6, v3, 2, v6
	v_mov_b32_e32 v7, -1
	ds_write_b32 v6, v7 offset:36
; %bb.92:
	s_or_b64 exec, exec, s[18:19]
	v_cvt_f32_u32_e32 v11, s3
	v_add_u32_e32 v89, 9, v3
	v_add_u32_e32 v6, v89, v80
	v_cmp_gt_i32_e64 s[4:5], s61, v6
	s_mov_b64 s[24:25], exec
	s_nop 0
	v_writelane_b32 v101, s4, 16
	s_nop 1
	v_writelane_b32 v101, s5, 17
	s_and_b64 s[4:5], s[24:25], s[4:5]
	s_mov_b64 exec, s[4:5]
	s_cbranch_execz .LBB100_100
; %bb.93:
	s_and_saveexec_b64 s[30:31], s[28:29]
	s_cbranch_execz .LBB100_99
; %bb.94:
	v_mul_lo_u32 v6, v89, s67
	v_ashrrev_i32_e32 v7, 31, v6
	v_mov_b32_e32 v8, 0x100
	v_lshl_add_u64 v[6:7], v[6:7], 2, v[4:5]
	v_lshl_add_u32 v12, v3, 2, v8
	v_mul_lo_u32 v8, v2, s66
	s_lshl_b32 s4, s66, 6
	s_mov_b64 s[36:37], 0
	v_mov_b32_e32 v13, v2
	s_branch .LBB100_96
.LBB100_95:                             ;   in Loop: Header=BB100_96 Depth=1
	s_or_b64 exec, exec, s[38:39]
	v_add_u32_e32 v13, 64, v13
	v_cmp_le_i32_e64 s[22:23], s62, v13
	s_xor_b64 s[6:7], s[20:21], -1
	s_or_b64 s[6:7], s[6:7], s[22:23]
	s_and_b64 s[6:7], exec, s[6:7]
	s_or_b64 s[36:37], s[6:7], s[36:37]
	v_add_u32_e32 v8, s4, v8
	s_andn2_b64 exec, exec, s[36:37]
	s_cbranch_execz .LBB100_98
.LBB100_96:                             ; =>This Inner Loop Header: Depth=1
	v_ashrrev_i32_e32 v9, 31, v8
	v_lshl_add_u64 v[14:15], v[8:9], 2, v[6:7]
	global_load_dword v9, v[14:15], off
	s_waitcnt vmcnt(0)
	v_cmp_ne_u32_e64 s[20:21], v9, v10
	v_cmp_eq_u32_e64 s[22:23], v9, v10
	s_and_saveexec_b64 s[38:39], s[22:23]
	s_cbranch_execz .LBB100_95
; %bb.97:                               ;   in Loop: Header=BB100_96 Depth=1
	v_mov_b32_e32 v1, 1
	ds_write_b32 v12, v13 offset:36
	s_branch .LBB100_95
.LBB100_98:
	s_or_b64 exec, exec, s[36:37]
.LBB100_99:
	s_or_b64 exec, exec, s[30:31]
.LBB100_100:
	s_or_b64 exec, exec, s[24:25]
	v_rcp_iflag_f32_e32 v6, v11
	s_and_saveexec_b64 s[20:21], vcc
; %bb.101:
	v_mov_b32_e32 v7, 0x100
	v_lshl_add_u32 v7, v3, 2, v7
	v_mov_b32_e32 v8, -1
	ds_write_b32 v7, v8 offset:40
; %bb.102:
	s_or_b64 exec, exec, s[20:21]
	v_add_u32_e32 v90, 10, v3
	v_mul_f32_e32 v11, 0x4f7ffffe, v6
	v_add_u32_e32 v6, v90, v80
	v_cmp_gt_i32_e64 s[4:5], s61, v6
	s_mov_b64 s[30:31], exec
	s_nop 0
	v_writelane_b32 v101, s4, 18
	s_nop 1
	v_writelane_b32 v101, s5, 19
	s_and_b64 s[4:5], s[30:31], s[4:5]
	s_mov_b64 exec, s[4:5]
	s_cbranch_execz .LBB100_110
; %bb.103:
	s_and_saveexec_b64 s[36:37], s[28:29]
	s_cbranch_execz .LBB100_109
; %bb.104:
	v_mul_lo_u32 v6, v90, s67
	v_ashrrev_i32_e32 v7, 31, v6
	v_mov_b32_e32 v8, 0x100
	v_lshl_add_u64 v[6:7], v[6:7], 2, v[4:5]
	v_lshl_add_u32 v12, v3, 2, v8
	v_mul_lo_u32 v8, v2, s66
	s_lshl_b32 s4, s66, 6
	s_mov_b64 s[38:39], 0
	v_mov_b32_e32 v13, v2
	s_branch .LBB100_106
.LBB100_105:                            ;   in Loop: Header=BB100_106 Depth=1
	s_or_b64 exec, exec, s[40:41]
	v_add_u32_e32 v13, 64, v13
	v_cmp_le_i32_e64 s[24:25], s62, v13
	s_xor_b64 s[6:7], s[22:23], -1
	s_or_b64 s[6:7], s[6:7], s[24:25]
	s_and_b64 s[6:7], exec, s[6:7]
	s_or_b64 s[38:39], s[6:7], s[38:39]
	v_add_u32_e32 v8, s4, v8
	s_andn2_b64 exec, exec, s[38:39]
	s_cbranch_execz .LBB100_108
.LBB100_106:                            ; =>This Inner Loop Header: Depth=1
	v_ashrrev_i32_e32 v9, 31, v8
	v_lshl_add_u64 v[14:15], v[8:9], 2, v[6:7]
	global_load_dword v9, v[14:15], off
	s_waitcnt vmcnt(0)
	v_cmp_ne_u32_e64 s[22:23], v9, v10
	v_cmp_eq_u32_e64 s[24:25], v9, v10
	s_and_saveexec_b64 s[40:41], s[24:25]
	s_cbranch_execz .LBB100_105
; %bb.107:                              ;   in Loop: Header=BB100_106 Depth=1
	v_mov_b32_e32 v1, 1
	ds_write_b32 v12, v13 offset:40
	s_branch .LBB100_105
.LBB100_108:
	s_or_b64 exec, exec, s[38:39]
.LBB100_109:
	s_or_b64 exec, exec, s[36:37]
.LBB100_110:
	s_or_b64 exec, exec, s[30:31]
	v_cvt_u32_f32_e32 v11, v11
	s_sub_i32 s4, 0, s3
	s_and_saveexec_b64 s[22:23], vcc
; %bb.111:
	v_mov_b32_e32 v6, 0x100
	v_lshl_add_u32 v6, v3, 2, v6
	v_mov_b32_e32 v7, -1
	ds_write_b32 v6, v7 offset:44
; %bb.112:
	s_or_b64 exec, exec, s[22:23]
	v_add_u32_e32 v91, 11, v3
	v_mul_lo_u32 v12, s4, v11
	v_add_u32_e32 v6, v91, v80
	v_cmp_gt_i32_e64 s[4:5], s61, v6
	s_mov_b64 s[36:37], exec
	s_nop 0
	v_writelane_b32 v101, s4, 20
	s_nop 1
	v_writelane_b32 v101, s5, 21
	s_and_b64 s[4:5], s[36:37], s[4:5]
	s_mov_b64 exec, s[4:5]
	s_cbranch_execz .LBB100_120
; %bb.113:
	s_and_saveexec_b64 s[38:39], s[28:29]
	s_cbranch_execz .LBB100_119
; %bb.114:
	v_mul_lo_u32 v6, v91, s67
	v_ashrrev_i32_e32 v7, 31, v6
	v_mov_b32_e32 v8, 0x100
	v_lshl_add_u64 v[6:7], v[6:7], 2, v[4:5]
	v_lshl_add_u32 v13, v3, 2, v8
	v_mul_lo_u32 v8, v2, s66
	s_lshl_b32 s4, s66, 6
	s_mov_b64 s[40:41], 0
	v_mov_b32_e32 v14, v2
	s_branch .LBB100_116
.LBB100_115:                            ;   in Loop: Header=BB100_116 Depth=1
	s_or_b64 exec, exec, s[42:43]
	v_add_u32_e32 v14, 64, v14
	v_cmp_le_i32_e64 s[30:31], s62, v14
	s_xor_b64 s[6:7], s[24:25], -1
	s_or_b64 s[6:7], s[6:7], s[30:31]
	s_and_b64 s[6:7], exec, s[6:7]
	s_or_b64 s[40:41], s[6:7], s[40:41]
	v_add_u32_e32 v8, s4, v8
	s_andn2_b64 exec, exec, s[40:41]
	s_cbranch_execz .LBB100_118
.LBB100_116:                            ; =>This Inner Loop Header: Depth=1
	v_ashrrev_i32_e32 v9, 31, v8
	v_lshl_add_u64 v[16:17], v[8:9], 2, v[6:7]
	global_load_dword v9, v[16:17], off
	s_waitcnt vmcnt(0)
	v_cmp_ne_u32_e64 s[24:25], v9, v10
	v_cmp_eq_u32_e64 s[30:31], v9, v10
	s_and_saveexec_b64 s[42:43], s[30:31]
	s_cbranch_execz .LBB100_115
; %bb.117:                              ;   in Loop: Header=BB100_116 Depth=1
	v_mov_b32_e32 v1, 1
	ds_write_b32 v13, v14 offset:44
	s_branch .LBB100_115
.LBB100_118:
	s_or_b64 exec, exec, s[40:41]
.LBB100_119:
	s_or_b64 exec, exec, s[38:39]
.LBB100_120:
	s_or_b64 exec, exec, s[36:37]
	v_mul_hi_u32 v6, v11, v12
	s_and_saveexec_b64 s[24:25], vcc
; %bb.121:
	v_mov_b32_e32 v7, 0x100
	v_lshl_add_u32 v7, v3, 2, v7
	v_mov_b32_e32 v8, -1
	ds_write_b32 v7, v8 offset:48
; %bb.122:
	s_or_b64 exec, exec, s[24:25]
	s_load_dwordx4 s[12:15], s[0:1], 0x54
	v_add_u32_e32 v92, 12, v3
	s_abs_i32 s4, s26
	v_add_u32_e32 v8, v11, v6
	v_add_u32_e32 v6, v92, v80
	v_cmp_gt_i32_e64 s[6:7], s61, v6
	s_mov_b64 s[30:31], exec
	s_nop 0
	v_writelane_b32 v101, s6, 22
	s_nop 1
	v_writelane_b32 v101, s7, 23
	s_and_b64 s[6:7], s[30:31], s[6:7]
	s_mov_b64 exec, s[6:7]
	s_cbranch_execz .LBB100_130
; %bb.123:
	s_and_saveexec_b64 s[36:37], s[28:29]
	s_cbranch_execz .LBB100_129
; %bb.124:
	v_mul_lo_u32 v6, v92, s67
	v_ashrrev_i32_e32 v7, 31, v6
	v_lshl_add_u64 v[4:5], v[6:7], 2, v[4:5]
	v_mov_b32_e32 v6, 0x100
	v_lshl_add_u32 v9, v3, 2, v6
	v_mul_lo_u32 v6, v2, s66
	s_lshl_b32 s5, s66, 6
	s_mov_b64 s[38:39], 0
	v_mov_b32_e32 v11, v2
	s_branch .LBB100_126
.LBB100_125:                            ;   in Loop: Header=BB100_126 Depth=1
	s_or_b64 exec, exec, s[40:41]
	v_add_u32_e32 v11, 64, v11
	v_cmp_le_i32_e64 s[28:29], s62, v11
	s_xor_b64 s[6:7], vcc, -1
	s_or_b64 s[6:7], s[6:7], s[28:29]
	s_and_b64 s[6:7], exec, s[6:7]
	s_or_b64 s[38:39], s[6:7], s[38:39]
	v_add_u32_e32 v6, s5, v6
	s_andn2_b64 exec, exec, s[38:39]
	s_cbranch_execz .LBB100_128
.LBB100_126:                            ; =>This Inner Loop Header: Depth=1
	v_ashrrev_i32_e32 v7, 31, v6
	v_lshl_add_u64 v[12:13], v[6:7], 2, v[4:5]
	global_load_dword v7, v[12:13], off
	s_waitcnt vmcnt(0)
	v_cmp_ne_u32_e32 vcc, v7, v10
	v_cmp_eq_u32_e64 s[28:29], v7, v10
	s_and_saveexec_b64 s[40:41], s[28:29]
	s_cbranch_execz .LBB100_125
; %bb.127:                              ;   in Loop: Header=BB100_126 Depth=1
	v_mov_b32_e32 v1, 1
	ds_write_b32 v9, v11 offset:48
	s_branch .LBB100_125
.LBB100_128:
	s_or_b64 exec, exec, s[38:39]
.LBB100_129:
	s_or_b64 exec, exec, s[36:37]
.LBB100_130:
	s_or_b64 exec, exec, s[30:31]
	s_load_dwordx2 s[6:7], s[34:35], 0xc
	s_load_dwordx2 s[30:31], s[0:1], 0x8
	;; [unrolled: 1-line block ×3, first 2 shown]
	v_or_b32_dpp v1, v1, v1 row_shl:1 row_mask:0xf bank_mask:0xf bound_ctrl:1
	v_mul_hi_u32 v4, s4, v8
	s_waitcnt lgkmcnt(0)
	s_and_b32 s5, s7, 0xffff
	s_lshr_b32 s7, s6, 16
	v_writelane_b32 v101, s8, 24
	s_and_b32 s6, s6, 0xffff
	v_or_b32_dpp v1, v1, v1 row_shl:2 row_mask:0xf bank_mask:0xf bound_ctrl:1
	v_writelane_b32 v101, s9, 25
	s_mul_i32 s8, s7, s6
	v_or_b32_dpp v1, v1, v1 row_shl:4 row_mask:0xf bank_mask:0xf bound_ctrl:1
	s_bfe_i32 s8, s8, 0x180000
	s_mul_i32 s5, s8, s5
	v_or_b32_dpp v1, v1, v1 row_shl:8 row_mask:0xf bank_mask:0xf bound_ctrl:1
	s_add_i32 s8, s5, 63
	s_bitcmp1_b32 exec_hi, 0
	v_mov_b32_dpp v5, v1 wave_shl:1 row_mask:0xf bank_mask:0xf bound_ctrl:1
	s_nop 1
	v_or_b32_dpp v1, v5, v1 row_mirror row_mask:0xf bank_mask:0xf bound_ctrl:1
	s_nop 0
	v_readlane_b32 s5, v1, 32
	s_cselect_b32 s5, s5, 0
	v_readlane_b32 s9, v1, 0
	s_or_b32 s5, s5, s9
	s_andn2_b32 s8, s8, 63
	s_cmp_lg_u32 s8, 64
	v_mov_b32_e32 v1, s5
	s_cbranch_scc0 .LBB100_137
; %bb.131:
	v_bfe_u32 v0, v0, 20, 10
	v_mbcnt_lo_u32_b32 v1, -1, 0
	v_mad_u32_u24 v0, v0, s7, v3
	v_mbcnt_hi_u32_b32 v5, -1, v1
	v_mad_u64_u32 v[0:1], s[6:7], v0, s6, v[2:3]
	v_lshrrev_b32_e32 v1, 6, v0
	v_or_b32_e32 v1, v5, v1
	v_cmp_eq_u32_e32 vcc, 0, v1
	s_and_saveexec_b64 s[28:29], vcc
; %bb.132:
	v_mov_b32_e32 v1, 0
	v_mov_b32_e32 v6, s5
	ds_write_b32 v1, v6
; %bb.133:
	s_or_b64 exec, exec, s[28:29]
	v_cmp_eq_u32_e32 vcc, 0, v5
	v_cmp_lt_u32_e64 s[28:29], 63, v0
	s_and_b64 s[6:7], s[28:29], vcc
	s_waitcnt lgkmcnt(0)
	; wave barrier
	s_and_saveexec_b64 s[28:29], s[6:7]
	s_cbranch_execz .LBB100_136
; %bb.134:
	v_mbcnt_lo_u32_b32 v0, exec_lo, 0
	v_mbcnt_hi_u32_b32 v0, exec_hi, v0
	v_cmp_eq_u32_e32 vcc, 0, v0
	s_and_b64 exec, exec, vcc
; %bb.135:
	v_mov_b32_e32 v0, 0
	v_mov_b32_e32 v1, s5
	ds_or_b32 v0, v1
.LBB100_136:
	s_or_b64 exec, exec, s[28:29]
	v_mov_b32_e32 v0, 0
	s_waitcnt lgkmcnt(0)
	; wave barrier
	ds_read_b32 v1, v0
	s_waitcnt lgkmcnt(0)
	; wave barrier
.LBB100_137:
	s_load_dwordx2 s[0:1], s[0:1], 0x0
	v_cmp_ne_u32_e32 vcc, 0, v1
	s_ashr_i32 s5, s26, 31
	s_ashr_i32 s6, s71, 31
	s_cbranch_vccz .LBB100_248
; %bb.138:
	v_lshlrev_b32_e32 v93, 6, v3
	v_add_u32_e32 v94, v93, v2
	v_cmp_le_i32_e32 vcc, s60, v94
	v_and_b32_e32 v0, 15, v2
                                        ; implicit-def: $vgpr95
	s_and_saveexec_b64 s[8:9], vcc
	s_xor_b64 s[28:29], exec, s[8:9]
; %bb.139:
	v_mul_u32_u24_e32 v95, 0x108, v0
                                        ; implicit-def: $vgpr94
                                        ; implicit-def: $vgpr4
                                        ; implicit-def: $vgpr10
                                        ; implicit-def: $vgpr0
; %bb.140:
	s_or_saveexec_b64 s[8:9], s[28:29]
	s_lshl_b32 s7, s2, 6
	v_mov_b32_e32 v1, 0
	v_accvgpr_write_b32 a0, 0
	v_accvgpr_write_b32 a1, 0
	;; [unrolled: 1-line block ×16, first 2 shown]
	v_writelane_b32 v101, s8, 26
	s_nop 1
	v_writelane_b32 v101, s9, 27
	s_xor_b64 exec, exec, s[8:9]
	s_cbranch_execz .LBB100_196
; %bb.141:
	v_mul_lo_u32 v5, v4, s3
	v_sub_u32_e32 v5, s4, v5
	v_add_u32_e32 v6, 1, v4
	v_subrev_u32_e32 v7, s3, v5
	v_cmp_le_u32_e32 vcc, s3, v5
	v_writelane_b32 v101, s44, 28
	s_xor_b32 s2, s5, s6
	v_cndmask_b32_e32 v4, v4, v6, vcc
	v_cndmask_b32_e32 v5, v5, v7, vcc
	v_add_u32_e32 v6, 1, v4
	v_cmp_le_u32_e32 vcc, s3, v5
	v_writelane_b32 v101, s45, 29
	v_writelane_b32 v101, s7, 30
	v_cndmask_b32_e32 v4, v4, v6, vcc
	v_xor_b32_e32 v4, s2, v4
	v_subrev_u32_e32 v4, s2, v4
	s_mul_i32 s2, s63, s7
	s_movk_i32 s4, 0x1080
	v_mov_b32_e32 v96, 0x100
	v_writelane_b32 v101, s26, 31
	v_mul_hi_i32 v5, v4, s12
	v_mul_lo_u32 v4, v4, s12
	v_mul_lo_u32 v6, v10, s68
	s_ashr_i32 s3, s2, 31
	v_mad_u32_u24 v12, v3, s4, v96
	s_mul_hi_i32 s5, s13, s26
	v_writelane_b32 v101, s12, 32
	s_mul_i32 s4, s13, s26
	v_ashrrev_i32_e32 v7, 31, v6
	s_lshl_b64 s[2:3], s[2:3], 2
	s_lshl_b64 s[4:5], s[4:5], 2
	v_lshlrev_b64 v[10:11], 2, v[6:7]
	v_writelane_b32 v101, s13, 33
	v_mul_hi_i32 v7, s64, v80
	v_mul_lo_u32 v6, s64, v80
	s_add_u32 s4, s30, s4
	v_writelane_b32 v101, s14, 34
	v_lshlrev_b64 v[6:7], 3, v[6:7]
	s_addc_u32 s5, s31, s5
	v_writelane_b32 v101, s15, 35
	v_lshl_add_u64 v[6:7], s[4:5], 0, v[6:7]
	s_lshl_b32 s4, s64, 3
	v_writelane_b32 v101, s4, 36
	s_mul_i32 s4, s64, 6
	v_lshlrev_b64 v[8:9], 2, v[4:5]
	v_writelane_b32 v101, s4, 37
	s_lshl_b32 s4, s64, 4
	s_waitcnt lgkmcnt(0)
	v_lshl_add_u64 v[4:5], s[0:1], 0, v[8:9]
	v_writelane_b32 v101, s4, 38
	s_mul_i32 s4, s64, 10
	v_lshl_add_u64 v[4:5], v[4:5], 0, v[10:11]
	v_writelane_b32 v101, s4, 39
	s_mul_i32 s4, s64, 12
	s_ashr_i32 s29, s63, 31
	s_mov_b32 s28, s63
	v_lshl_add_u64 v[4:5], v[4:5], 0, s[2:3]
	v_mul_u32_u24_e32 v95, 0x108, v0
	v_lshrrev_b32_e32 v0, 1, v2
	v_writelane_b32 v101, s4, 40
	v_lshl_add_u64 v[8:9], v[8:9], 0, s[2:3]
	s_lshl_b64 s[2:3], s[28:29], 2
	s_mul_i32 s28, s64, 24
	v_and_b32_e32 v0, 0x1f8, v0
	v_writelane_b32 v101, s28, 41
	s_mul_i32 s28, s64, 22
	v_add3_u32 v98, v12, v95, v0
	v_lshl_add_u64 v[8:9], v[8:9], 0, v[10:11]
	v_lshlrev_b32_e32 v0, 1, v2
	v_writelane_b32 v101, s28, 42
	s_mul_i32 s28, s64, 20
	v_lshl_add_u32 v97, v2, 2, v12
	v_add_u32_e32 v12, 1, v80
	v_add_u32_e32 v13, 2, v80
	s_lshl_b32 s62, s64, 2
	v_add_u32_e32 v14, 3, v80
	v_add_u32_e32 v15, 4, v80
	;; [unrolled: 1-line block ×10, first 2 shown]
	v_lshl_add_u64 v[8:9], s[0:1], 0, v[8:9]
	v_lshl_add_u32 v99, v3, 7, v0
	v_lshlrev_b32_e32 v0, 2, v94
	v_writelane_b32 v101, s28, 43
	s_mul_i32 s28, s64, 18
	s_add_i32 s76, s63, s63
	s_mul_i32 s77, s63, 3
	s_lshl_b32 s78, s63, 2
	s_mul_i32 s79, s63, 5
	s_mul_i32 s80, s63, 6
	;; [unrolled: 1-line block ×3, first 2 shown]
	s_lshl_b32 s82, s63, 3
	s_mul_i32 s83, s63, 9
	s_mul_i32 s84, s63, 10
	;; [unrolled: 1-line block ×7, first 2 shown]
	s_lshl_b32 s90, s63, 4
	s_mul_i32 s91, s63, 17
	s_mul_i32 s92, s63, 18
	;; [unrolled: 1-line block ×15, first 2 shown]
	s_lshl_b32 s6, s63, 5
	s_mul_i32 s7, s63, 33
	s_mul_i32 s5, s63, 34
	;; [unrolled: 1-line block ×17, first 2 shown]
	v_cmp_gt_i32_e64 s[0:1], s61, v80
	s_mul_i32 s23, s63, 50
	s_mul_i32 s24, s63, 51
	v_accvgpr_write_b32 a15, 0
	v_accvgpr_write_b32 a14, 0
	;; [unrolled: 1-line block ×16, first 2 shown]
	v_lshl_add_u64 v[8:9], v[8:9], 0, v[0:1]
	s_mul_i32 s25, s63, 52
	s_mul_i32 s66, s63, 53
	;; [unrolled: 1-line block ×12, first 2 shown]
	v_writelane_b32 v101, s28, 44
	s_mul_i32 s75, s64, 14
	s_lshl_b32 s64, s64, 1
	v_cmp_gt_i32_e64 s[28:29], s61, v12
	v_cmp_gt_i32_e64 s[30:31], s61, v13
	;; [unrolled: 1-line block ×12, first 2 shown]
	s_mov_b32 s61, s62
	s_mov_b64 s[62:63], 0
	s_branch .LBB100_144
.LBB100_142:                            ;   in Loop: Header=BB100_144 Depth=1
	v_mul_lo_u32 v0, v0, s69
	v_readlane_b32 vcc_lo, v101, 41
	s_nop 1
	v_add_u32_e32 v0, vcc_lo, v0
	v_add_u32_e32 v74, v0, v99
	v_ashrrev_i32_e32 v75, 31, v74
	v_lshl_add_u64 v[74:75], v[74:75], 2, v[6:7]
	global_load_dwordx2 v[74:75], v[74:75], off
.LBB100_143:                            ;   in Loop: Header=BB100_144 Depth=1
	s_waitcnt vmcnt(0)
	v_cvt_pk_f16_f32 v0, v74, v75
	v_add_u32_e32 v74, 0xc00, v97
	ds_write2_b32 v74, v0, v1 offset0:40 offset1:106
	ds_write2_b32 v74, v1, v1 offset0:172 offset1:238
	ds_read2_b64 v[74:77], v98 offset0:8 offset1:12
	v_add_u32_e32 v94, 64, v94
	s_mov_b64 vcc, 0x100
	v_lshl_add_u64 v[8:9], v[8:9], 0, vcc
	s_waitcnt lgkmcnt(0)
	v_mfma_f32_16x16x16_f16 a[12:15], v[16:17], v[74:75], a[12:15]
	v_cmp_le_i32_e32 vcc, s60, v94
	v_add_u32_e32 v99, 0x80, v99
	s_or_b64 s[62:63], vcc, s[62:63]
	v_mfma_f32_16x16x16_f16 a[8:11], v[42:43], v[74:75], a[8:11]
	v_mfma_f32_16x16x16_f16 a[4:7], v[56:57], v[74:75], a[4:7]
	;; [unrolled: 1-line block ×4, first 2 shown]
	ds_read2_b64 v[14:17], v98 offset0:16 offset1:20
	v_mfma_f32_16x16x16_f16 a[8:11], v[40:41], v[76:77], a[8:11]
	v_mfma_f32_16x16x16_f16 a[4:7], v[54:55], v[76:77], a[4:7]
	v_mfma_f32_16x16x16_f16 a[0:3], v[70:71], v[76:77], a[0:3]
	s_waitcnt lgkmcnt(0)
	v_mfma_f32_16x16x16_f16 a[12:15], v[12:13], v[14:15], a[12:15]
	v_mfma_f32_16x16x16_f16 a[8:11], v[36:37], v[14:15], a[8:11]
	;; [unrolled: 1-line block ×5, first 2 shown]
	ds_read2_b64 v[10:13], v98 offset0:24 offset1:28
	v_mfma_f32_16x16x16_f16 a[8:11], v[34:35], v[16:17], a[8:11]
	v_mfma_f32_16x16x16_f16 a[4:7], v[50:51], v[16:17], a[4:7]
	;; [unrolled: 1-line block ×3, first 2 shown]
	s_waitcnt lgkmcnt(0)
	v_mfma_f32_16x16x16_f16 a[12:15], v[24:25], v[10:11], a[12:15]
	v_mfma_f32_16x16x16_f16 a[8:11], v[32:33], v[10:11], a[8:11]
	;; [unrolled: 1-line block ×8, first 2 shown]
	ds_read2_b64 v[10:13], v98 offset0:32 offset1:36
	s_waitcnt lgkmcnt(0)
	v_mfma_f32_16x16x16_f16 a[12:15], v[20:21], v[10:11], a[12:15]
	v_mfma_f32_16x16x16_f16 a[8:11], v[28:29], v[10:11], a[8:11]
	;; [unrolled: 1-line block ×8, first 2 shown]
	s_andn2_b64 exec, exec, s[62:63]
	s_cbranch_execz .LBB100_195
.LBB100_144:                            ; =>This Inner Loop Header: Depth=1
	v_lshl_add_u64 v[10:11], v[8:9], 0, s[2:3]
	global_load_dword v0, v[8:9], off
	global_load_dword v26, v[10:11], off
	v_add_u32_e32 v10, s76, v94
	v_add_u32_e32 v14, s78, v94
	;; [unrolled: 1-line block ×4, first 2 shown]
	v_ashrrev_i32_e32 v11, 31, v10
	v_add_u32_e32 v12, s77, v94
	v_ashrrev_i32_e32 v15, 31, v14
	v_ashrrev_i32_e32 v17, 31, v16
	v_add_u32_e32 v18, s80, v94
	v_add_u32_e32 v20, s81, v94
	v_ashrrev_i32_e32 v23, 31, v22
	v_add_u32_e32 v24, s83, v94
	v_lshl_add_u64 v[10:11], v[10:11], 2, v[4:5]
	v_ashrrev_i32_e32 v13, 31, v12
	v_lshl_add_u64 v[14:15], v[14:15], 2, v[4:5]
	v_lshl_add_u64 v[16:17], v[16:17], 2, v[4:5]
	v_ashrrev_i32_e32 v19, 31, v18
	v_ashrrev_i32_e32 v21, 31, v20
	v_lshl_add_u64 v[22:23], v[22:23], 2, v[4:5]
	v_ashrrev_i32_e32 v25, 31, v24
	v_lshl_add_u64 v[12:13], v[12:13], 2, v[4:5]
	v_lshl_add_u64 v[18:19], v[18:19], 2, v[4:5]
	;; [unrolled: 1-line block ×4, first 2 shown]
	global_load_dword v27, v[10:11], off
	global_load_dword v28, v[12:13], off
	;; [unrolled: 1-line block ×6, first 2 shown]
	s_nop 0
	global_load_dword v22, v[22:23], off
	s_nop 0
	global_load_dword v23, v[24:25], off
	v_add_u32_e32 v10, s84, v94
	v_add_u32_e32 v14, s86, v94
	;; [unrolled: 1-line block ×3, first 2 shown]
	v_ashrrev_i32_e32 v11, 31, v10
	v_add_u32_e32 v12, s85, v94
	v_ashrrev_i32_e32 v15, 31, v14
	v_ashrrev_i32_e32 v17, 31, v16
	v_add_u32_e32 v18, s88, v94
	v_add_u32_e32 v20, s89, v94
	v_lshl_add_u64 v[10:11], v[10:11], 2, v[4:5]
	v_ashrrev_i32_e32 v13, 31, v12
	v_lshl_add_u64 v[14:15], v[14:15], 2, v[4:5]
	v_lshl_add_u64 v[16:17], v[16:17], 2, v[4:5]
	v_ashrrev_i32_e32 v19, 31, v18
	v_ashrrev_i32_e32 v21, 31, v20
	v_lshl_add_u64 v[12:13], v[12:13], 2, v[4:5]
	v_lshl_add_u64 v[18:19], v[18:19], 2, v[4:5]
	;; [unrolled: 1-line block ×3, first 2 shown]
	global_load_dword v24, v[10:11], off
	global_load_dword v25, v[12:13], off
	s_nop 0
	global_load_dword v14, v[14:15], off
	s_nop 0
	;; [unrolled: 2-line block ×3, first 2 shown]
	global_load_dword v16, v[18:19], off
	global_load_dword v17, v[20:21], off
	v_add_u32_e32 v10, s90, v94
	v_add_u32_e32 v12, s91, v94
	v_ashrrev_i32_e32 v11, 31, v10
	v_ashrrev_i32_e32 v13, 31, v12
	v_lshl_add_u64 v[10:11], v[10:11], 2, v[4:5]
	v_add_u32_e32 v18, s92, v94
	v_lshl_add_u64 v[12:13], v[12:13], 2, v[4:5]
	global_load_dword v34, v[10:11], off
	global_load_dword v35, v[12:13], off
	v_ashrrev_i32_e32 v19, 31, v18
	v_add_u32_e32 v20, s93, v94
	v_lshl_add_u64 v[18:19], v[18:19], 2, v[4:5]
	v_ashrrev_i32_e32 v21, 31, v20
	v_lshl_add_u64 v[20:21], v[20:21], 2, v[4:5]
	s_andn2_b64 vcc, exec, s[0:1]
	s_waitcnt vmcnt(17)
	ds_write_b32 v97, v0 offset:64
	s_waitcnt vmcnt(16)
	ds_write_b32 v97, v26 offset:328
	;; [unrolled: 2-line block ×16, first 2 shown]
	v_add_u32_e32 v22, s94, v94
	v_add_u32_e32 v24, s95, v94
	;; [unrolled: 1-line block ×6, first 2 shown]
	v_ashrrev_i32_e32 v23, 31, v22
	v_ashrrev_i32_e32 v25, 31, v24
	;; [unrolled: 1-line block ×6, first 2 shown]
	ds_read_b64 v[16:17], v98 offset:64
	ds_read_b64 v[14:15], v98 offset:96
	;; [unrolled: 1-line block ×4, first 2 shown]
	v_lshl_add_u64 v[22:23], v[22:23], 2, v[4:5]
	v_lshl_add_u64 v[24:25], v[24:25], 2, v[4:5]
	v_lshl_add_u64 v[26:27], v[26:27], 2, v[4:5]
	v_lshl_add_u64 v[28:29], v[28:29], 2, v[4:5]
	v_lshl_add_u64 v[30:31], v[30:31], 2, v[4:5]
	v_lshl_add_u64 v[32:33], v[32:33], 2, v[4:5]
	global_load_dword v0, v[18:19], off
	global_load_dword v36, v[20:21], off
	global_load_dword v37, v[22:23], off
	global_load_dword v38, v[24:25], off
	global_load_dword v39, v[26:27], off
	global_load_dword v40, v[28:29], off
	global_load_dword v41, v[30:31], off
	global_load_dword v42, v[32:33], off
	v_add_u32_e32 v18, s26, v94
	v_ashrrev_i32_e32 v19, 31, v18
	v_add_u32_e32 v20, s27, v94
	v_add_u32_e32 v22, s56, v94
	v_add_u32_e32 v24, s57, v94
	v_add_u32_e32 v26, s54, v94
	v_add_u32_e32 v28, s55, v94
	v_add_u32_e32 v30, s6, v94
	v_add_u32_e32 v32, s7, v94
	v_lshl_add_u64 v[18:19], v[18:19], 2, v[4:5]
	v_ashrrev_i32_e32 v21, 31, v20
	v_ashrrev_i32_e32 v23, 31, v22
	v_ashrrev_i32_e32 v25, 31, v24
	v_ashrrev_i32_e32 v27, 31, v26
	v_ashrrev_i32_e32 v29, 31, v28
	v_ashrrev_i32_e32 v31, 31, v30
	v_ashrrev_i32_e32 v33, 31, v32
	v_lshl_add_u64 v[20:21], v[20:21], 2, v[4:5]
	v_lshl_add_u64 v[22:23], v[22:23], 2, v[4:5]
	v_lshl_add_u64 v[24:25], v[24:25], 2, v[4:5]
	v_lshl_add_u64 v[26:27], v[26:27], 2, v[4:5]
	v_lshl_add_u64 v[28:29], v[28:29], 2, v[4:5]
	v_lshl_add_u64 v[30:31], v[30:31], 2, v[4:5]
	v_lshl_add_u64 v[32:33], v[32:33], 2, v[4:5]
	global_load_dword v43, v[18:19], off
	global_load_dword v44, v[20:21], off
	global_load_dword v45, v[22:23], off
	global_load_dword v46, v[24:25], off
	global_load_dword v47, v[26:27], off
	global_load_dword v48, v[28:29], off
	global_load_dword v49, v[30:31], off
	global_load_dword v50, v[32:33], off
	v_add_u32_e32 v18, s5, v94
	v_ashrrev_i32_e32 v19, 31, v18
	v_add_u32_e32 v20, s8, v94
	v_add_u32_e32 v22, s9, v94
	v_add_u32_e32 v24, s10, v94
	v_add_u32_e32 v26, s11, v94
	v_add_u32_e32 v28, s12, v94
	v_add_u32_e32 v30, s13, v94
	v_add_u32_e32 v32, s14, v94
	v_lshl_add_u64 v[18:19], v[18:19], 2, v[4:5]
	v_ashrrev_i32_e32 v21, 31, v20
	v_ashrrev_i32_e32 v23, 31, v22
	v_ashrrev_i32_e32 v25, 31, v24
	v_ashrrev_i32_e32 v27, 31, v26
	v_ashrrev_i32_e32 v29, 31, v28
	v_ashrrev_i32_e32 v31, 31, v30
	v_ashrrev_i32_e32 v33, 31, v32
	v_lshl_add_u64 v[20:21], v[20:21], 2, v[4:5]
	;; [unrolled: 32-line block ×4, first 2 shown]
	v_lshl_add_u64 v[22:23], v[22:23], 2, v[4:5]
	v_lshl_add_u64 v[24:25], v[24:25], 2, v[4:5]
	;; [unrolled: 1-line block ×6, first 2 shown]
	global_load_dword v67, v[18:19], off
	global_load_dword v68, v[20:21], off
	;; [unrolled: 1-line block ×8, first 2 shown]
	v_add_u32_e32 v18, s33, v94
	v_ashrrev_i32_e32 v19, 31, v18
	v_add_u32_e32 v20, s4, v94
	v_add_u32_e32 v22, s68, v94
	v_add_u32_e32 v24, s71, v94
	v_add_u32_e32 v26, s72, v94
	v_add_u32_e32 v28, s73, v94
	v_lshl_add_u64 v[18:19], v[18:19], 2, v[4:5]
	v_ashrrev_i32_e32 v21, 31, v20
	v_ashrrev_i32_e32 v23, 31, v22
	v_ashrrev_i32_e32 v25, 31, v24
	v_ashrrev_i32_e32 v27, 31, v26
	v_ashrrev_i32_e32 v29, 31, v28
	v_lshl_add_u64 v[20:21], v[20:21], 2, v[4:5]
	v_lshl_add_u64 v[22:23], v[22:23], 2, v[4:5]
	;; [unrolled: 1-line block ×5, first 2 shown]
	global_load_dword v75, v[18:19], off
	global_load_dword v76, v[20:21], off
	;; [unrolled: 1-line block ×6, first 2 shown]
	ds_read_b64 v[24:25], v98 offset:192
	ds_read_b64 v[22:23], v98 offset:224
	ds_read_b64 v[20:21], v98 offset:256
	ds_read_b64 v[18:19], v98 offset:288
	s_waitcnt vmcnt(47)
	ds_write_b32 v97, v34 offset:64
	s_waitcnt vmcnt(46)
	ds_write_b32 v97, v35 offset:328
	s_waitcnt vmcnt(45)
	ds_write_b32 v97, v0 offset:592
	s_waitcnt vmcnt(44)
	ds_write_b32 v97, v36 offset:856
	s_waitcnt vmcnt(43)
	ds_write_b32 v97, v37 offset:1120
	s_waitcnt vmcnt(42)
	ds_write_b32 v97, v38 offset:1384
	s_waitcnt vmcnt(41)
	ds_write_b32 v97, v39 offset:1648
	s_waitcnt vmcnt(40)
	ds_write_b32 v97, v40 offset:1912
	s_waitcnt vmcnt(39)
	ds_write_b32 v97, v41 offset:2176
	s_waitcnt vmcnt(38)
	ds_write_b32 v97, v42 offset:2440
	s_waitcnt vmcnt(37)
	ds_write_b32 v97, v43 offset:2704
	s_waitcnt vmcnt(36)
	ds_write_b32 v97, v44 offset:2968
	s_waitcnt vmcnt(35)
	ds_write_b32 v97, v45 offset:3232
	s_waitcnt vmcnt(34)
	ds_write_b32 v97, v46 offset:3496
	s_waitcnt vmcnt(33)
	ds_write_b32 v97, v47 offset:3760
	s_waitcnt vmcnt(32)
	ds_write_b32 v97, v48 offset:4024
	ds_read_b64 v[42:43], v98 offset:64
	ds_read_b64 v[40:41], v98 offset:96
	ds_read_b64 v[36:37], v98 offset:128
	ds_read_b64 v[34:35], v98 offset:160
	ds_read_b64 v[32:33], v98 offset:192
	ds_read_b64 v[30:31], v98 offset:224
	ds_read_b64 v[28:29], v98 offset:256
	ds_read_b64 v[26:27], v98 offset:288
	s_waitcnt vmcnt(31)
	ds_write_b32 v97, v49 offset:64
	s_waitcnt vmcnt(30)
	ds_write_b32 v97, v50 offset:328
	s_waitcnt vmcnt(29)
	ds_write_b32 v97, v51 offset:592
	s_waitcnt vmcnt(28)
	ds_write_b32 v97, v52 offset:856
	s_waitcnt vmcnt(27)
	ds_write_b32 v97, v53 offset:1120
	s_waitcnt vmcnt(26)
	ds_write_b32 v97, v54 offset:1384
	s_waitcnt vmcnt(25)
	ds_write_b32 v97, v55 offset:1648
	s_waitcnt vmcnt(24)
	ds_write_b32 v97, v56 offset:1912
	s_waitcnt vmcnt(23)
	ds_write_b32 v97, v57 offset:2176
	s_waitcnt vmcnt(22)
	ds_write_b32 v97, v58 offset:2440
	s_waitcnt vmcnt(21)
	ds_write_b32 v97, v59 offset:2704
	s_waitcnt vmcnt(20)
	ds_write_b32 v97, v60 offset:2968
	s_waitcnt vmcnt(19)
	ds_write_b32 v97, v61 offset:3232
	s_waitcnt vmcnt(18)
	ds_write_b32 v97, v62 offset:3496
	s_waitcnt vmcnt(17)
	ds_write_b32 v97, v63 offset:3760
	s_waitcnt vmcnt(16)
	ds_write_b32 v97, v64 offset:4024
	ds_read_b64 v[56:57], v98 offset:64
	ds_read_b64 v[54:55], v98 offset:96
	ds_read_b64 v[52:53], v98 offset:128
	ds_read_b64 v[50:51], v98 offset:160
	;; [unrolled: 40-line block ×3, first 2 shown]
	ds_read_b64 v[68:69], v98 offset:192
	ds_read_b64 v[64:65], v98 offset:224
	;; [unrolled: 1-line block ×4, first 2 shown]
	v_mov_b32_e32 v76, 0
	v_mov_b32_e32 v77, 0
	;; [unrolled: 1-line block ×3, first 2 shown]
	s_cbranch_vccnz .LBB100_148
; %bb.145:                              ;   in Loop: Header=BB100_144 Depth=1
	ds_read_b32 v0, v96
	s_waitcnt lgkmcnt(0)
	v_cmp_gt_i32_e32 vcc, 0, v0
	s_cbranch_vccnz .LBB100_147
; %bb.146:                              ;   in Loop: Header=BB100_144 Depth=1
	v_mul_lo_u32 v0, v0, s69
	v_add_u32_e32 v76, v99, v0
	v_ashrrev_i32_e32 v77, 31, v76
	v_lshl_add_u64 v[76:77], v[76:77], 2, v[6:7]
	global_load_dwordx2 v[76:77], v[76:77], off
	s_branch .LBB100_148
.LBB100_147:                            ;   in Loop: Header=BB100_144 Depth=1
	v_mov_b32_e32 v76, 0
	v_mov_b32_e32 v77, 0
.LBB100_148:                            ;   in Loop: Header=BB100_144 Depth=1
	s_waitcnt vmcnt(0)
	v_cvt_pk_f16_f32 v0, v76, v77
	s_andn2_b64 vcc, exec, s[28:29]
	v_mov_b32_e32 v76, 0
	v_mov_b32_e32 v77, 0
	ds_write_b32 v97, v0 offset:64
	s_cbranch_vccnz .LBB100_152
; %bb.149:                              ;   in Loop: Header=BB100_144 Depth=1
	ds_read_b32 v0, v96 offset:4
	s_waitcnt lgkmcnt(0)
	v_cmp_gt_i32_e32 vcc, 0, v0
	s_cbranch_vccnz .LBB100_151
; %bb.150:                              ;   in Loop: Header=BB100_144 Depth=1
	v_mul_lo_u32 v0, v0, s69
	v_add_u32_e32 v0, s64, v0
	v_add_u32_e32 v76, v0, v99
	v_ashrrev_i32_e32 v77, 31, v76
	v_lshl_add_u64 v[76:77], v[76:77], 2, v[6:7]
	global_load_dwordx2 v[76:77], v[76:77], off
	s_branch .LBB100_152
.LBB100_151:                            ;   in Loop: Header=BB100_144 Depth=1
	v_mov_b32_e32 v76, 0
	v_mov_b32_e32 v77, 0
.LBB100_152:                            ;   in Loop: Header=BB100_144 Depth=1
	s_waitcnt vmcnt(0)
	v_cvt_pk_f16_f32 v0, v76, v77
	v_mov_b32_e32 v76, 0
	s_andn2_b64 vcc, exec, s[30:31]
	v_mov_b32_e32 v75, 0
	ds_write_b32 v97, v0 offset:328
	s_cbranch_vccnz .LBB100_156
; %bb.153:                              ;   in Loop: Header=BB100_144 Depth=1
	ds_read_b32 v0, v96 offset:8
	s_waitcnt lgkmcnt(0)
	v_cmp_gt_i32_e32 vcc, 0, v0
	s_cbranch_vccnz .LBB100_155
; %bb.154:                              ;   in Loop: Header=BB100_144 Depth=1
	v_mul_lo_u32 v0, v0, s69
	v_add_u32_e32 v0, s61, v0
	v_add_u32_e32 v74, v0, v99
	v_ashrrev_i32_e32 v75, 31, v74
	v_lshl_add_u64 v[74:75], v[74:75], 2, v[6:7]
	global_load_dwordx2 v[74:75], v[74:75], off
	s_branch .LBB100_156
.LBB100_155:                            ;   in Loop: Header=BB100_144 Depth=1
	v_mov_b32_e32 v74, 0
	v_mov_b32_e32 v75, 0
.LBB100_156:                            ;   in Loop: Header=BB100_144 Depth=1
	s_waitcnt vmcnt(0)
	v_cvt_pk_f16_f32 v0, v74, v75
	s_andn2_b64 vcc, exec, s[34:35]
	v_mov_b32_e32 v74, 0
	v_mov_b32_e32 v75, 0
	ds_write_b32 v97, v0 offset:592
	s_cbranch_vccnz .LBB100_160
; %bb.157:                              ;   in Loop: Header=BB100_144 Depth=1
	ds_read_b32 v0, v96 offset:12
	s_waitcnt lgkmcnt(0)
	v_cmp_gt_i32_e32 vcc, 0, v0
	s_cbranch_vccnz .LBB100_159
; %bb.158:                              ;   in Loop: Header=BB100_144 Depth=1
	v_mul_lo_u32 v0, v0, s69
	v_readlane_b32 vcc_lo, v101, 37
	s_nop 1
	v_add_u32_e32 v0, vcc_lo, v0
	v_add_u32_e32 v74, v0, v99
	v_ashrrev_i32_e32 v75, 31, v74
	v_lshl_add_u64 v[74:75], v[74:75], 2, v[6:7]
	global_load_dwordx2 v[74:75], v[74:75], off
	s_branch .LBB100_160
.LBB100_159:                            ;   in Loop: Header=BB100_144 Depth=1
	v_mov_b32_e32 v74, 0
	v_mov_b32_e32 v75, 0
.LBB100_160:                            ;   in Loop: Header=BB100_144 Depth=1
	s_waitcnt vmcnt(0)
	v_cvt_pk_f16_f32 v0, v74, v75
	v_mov_b32_e32 v74, 0
	s_andn2_b64 vcc, exec, s[36:37]
	v_mov_b32_e32 v77, 0
	ds_write_b32 v97, v0 offset:856
	s_cbranch_vccnz .LBB100_164
; %bb.161:                              ;   in Loop: Header=BB100_144 Depth=1
	ds_read_b32 v0, v96 offset:16
	s_waitcnt lgkmcnt(0)
	v_cmp_gt_i32_e32 vcc, 0, v0
	s_cbranch_vccnz .LBB100_163
; %bb.162:                              ;   in Loop: Header=BB100_144 Depth=1
	v_mul_lo_u32 v0, v0, s69
	v_readlane_b32 vcc_lo, v101, 36
	s_nop 1
	v_add_u32_e32 v0, vcc_lo, v0
	v_add_u32_e32 v76, v0, v99
	v_ashrrev_i32_e32 v77, 31, v76
	v_lshl_add_u64 v[76:77], v[76:77], 2, v[6:7]
	global_load_dwordx2 v[76:77], v[76:77], off
	s_branch .LBB100_164
.LBB100_163:                            ;   in Loop: Header=BB100_144 Depth=1
	v_mov_b32_e32 v76, 0
	v_mov_b32_e32 v77, 0
.LBB100_164:                            ;   in Loop: Header=BB100_144 Depth=1
	s_waitcnt vmcnt(0)
	v_cvt_pk_f16_f32 v0, v76, v77
	s_andn2_b64 vcc, exec, s[38:39]
	v_mov_b32_e32 v76, 0
	v_mov_b32_e32 v77, 0
	ds_write_b32 v97, v0 offset:1120
	s_cbranch_vccnz .LBB100_168
; %bb.165:                              ;   in Loop: Header=BB100_144 Depth=1
	ds_read_b32 v0, v96 offset:20
	s_waitcnt lgkmcnt(0)
	v_cmp_gt_i32_e32 vcc, 0, v0
	s_cbranch_vccnz .LBB100_167
; %bb.166:                              ;   in Loop: Header=BB100_144 Depth=1
	v_mul_lo_u32 v0, v0, s69
	v_readlane_b32 vcc_lo, v101, 39
	s_nop 1
	v_add_u32_e32 v0, vcc_lo, v0
	v_add_u32_e32 v76, v0, v99
	v_ashrrev_i32_e32 v77, 31, v76
	v_lshl_add_u64 v[76:77], v[76:77], 2, v[6:7]
	global_load_dwordx2 v[76:77], v[76:77], off
	s_branch .LBB100_168
.LBB100_167:                            ;   in Loop: Header=BB100_144 Depth=1
	v_mov_b32_e32 v76, 0
	v_mov_b32_e32 v77, 0
.LBB100_168:                            ;   in Loop: Header=BB100_144 Depth=1
	s_waitcnt vmcnt(0)
	v_cvt_pk_f16_f32 v0, v76, v77
	v_mov_b32_e32 v78, 0
	s_andn2_b64 vcc, exec, s[40:41]
	v_mov_b32_e32 v75, 0
	ds_write_b32 v97, v0 offset:1384
	s_cbranch_vccnz .LBB100_172
; %bb.169:                              ;   in Loop: Header=BB100_144 Depth=1
	ds_read_b32 v0, v96 offset:24
	s_waitcnt lgkmcnt(0)
	v_cmp_gt_i32_e32 vcc, 0, v0
	s_cbranch_vccnz .LBB100_171
; %bb.170:                              ;   in Loop: Header=BB100_144 Depth=1
	v_mul_lo_u32 v0, v0, s69
	v_readlane_b32 vcc_lo, v101, 40
	s_nop 1
	v_add_u32_e32 v0, vcc_lo, v0
	v_add_u32_e32 v74, v0, v99
	v_ashrrev_i32_e32 v75, 31, v74
	v_lshl_add_u64 v[74:75], v[74:75], 2, v[6:7]
	global_load_dwordx2 v[74:75], v[74:75], off
	s_branch .LBB100_172
.LBB100_171:                            ;   in Loop: Header=BB100_144 Depth=1
	v_mov_b32_e32 v74, 0
	v_mov_b32_e32 v75, 0
.LBB100_172:                            ;   in Loop: Header=BB100_144 Depth=1
	s_waitcnt vmcnt(0)
	v_cvt_pk_f16_f32 v0, v74, v75
	s_andn2_b64 vcc, exec, s[42:43]
	v_mov_b32_e32 v74, 0
	v_mov_b32_e32 v75, 0
	ds_write_b32 v97, v0 offset:1648
	s_cbranch_vccnz .LBB100_176
; %bb.173:                              ;   in Loop: Header=BB100_144 Depth=1
	ds_read_b32 v0, v96 offset:28
	s_waitcnt lgkmcnt(0)
	v_cmp_gt_i32_e32 vcc, 0, v0
	s_cbranch_vccnz .LBB100_175
; %bb.174:                              ;   in Loop: Header=BB100_144 Depth=1
	v_mul_lo_u32 v0, v0, s69
	v_add_u32_e32 v0, s75, v0
	v_add_u32_e32 v74, v0, v99
	v_ashrrev_i32_e32 v75, 31, v74
	v_lshl_add_u64 v[74:75], v[74:75], 2, v[6:7]
	global_load_dwordx2 v[74:75], v[74:75], off
	s_branch .LBB100_176
.LBB100_175:                            ;   in Loop: Header=BB100_144 Depth=1
	v_mov_b32_e32 v74, 0
	v_mov_b32_e32 v75, 0
.LBB100_176:                            ;   in Loop: Header=BB100_144 Depth=1
	s_waitcnt vmcnt(0)
	v_cvt_pk_f16_f32 v0, v74, v75
	v_mov_b32_e32 v76, 0
	s_andn2_b64 vcc, exec, s[44:45]
	v_mov_b32_e32 v79, 0
	ds_write_b32 v97, v0 offset:1912
	s_cbranch_vccnz .LBB100_180
; %bb.177:                              ;   in Loop: Header=BB100_144 Depth=1
	ds_read_b32 v0, v96 offset:32
	s_waitcnt lgkmcnt(0)
	v_cmp_gt_i32_e32 vcc, 0, v0
	s_cbranch_vccnz .LBB100_179
; %bb.178:                              ;   in Loop: Header=BB100_144 Depth=1
	v_mul_lo_u32 v0, v0, s69
	v_readlane_b32 vcc_lo, v101, 38
	s_nop 1
	v_add_u32_e32 v0, vcc_lo, v0
	v_add_u32_e32 v74, v0, v99
	v_ashrrev_i32_e32 v75, 31, v74
	v_lshl_add_u64 v[74:75], v[74:75], 2, v[6:7]
	global_load_dwordx2 v[78:79], v[74:75], off
	s_branch .LBB100_180
.LBB100_179:                            ;   in Loop: Header=BB100_144 Depth=1
	v_mov_b32_e32 v78, 0
	v_mov_b32_e32 v79, 0
.LBB100_180:                            ;   in Loop: Header=BB100_144 Depth=1
	s_waitcnt vmcnt(0)
	v_cvt_pk_f16_f32 v0, v78, v79
	s_andn2_b64 vcc, exec, s[46:47]
	v_mov_b32_e32 v74, 0
	v_mov_b32_e32 v75, 0
	ds_write_b32 v97, v0 offset:2176
	s_cbranch_vccnz .LBB100_184
; %bb.181:                              ;   in Loop: Header=BB100_144 Depth=1
	ds_read_b32 v0, v96 offset:36
	s_waitcnt lgkmcnt(0)
	v_cmp_gt_i32_e32 vcc, 0, v0
	s_cbranch_vccnz .LBB100_183
; %bb.182:                              ;   in Loop: Header=BB100_144 Depth=1
	v_mul_lo_u32 v0, v0, s69
	v_readlane_b32 vcc_lo, v101, 44
	s_nop 1
	v_add_u32_e32 v0, vcc_lo, v0
	v_add_u32_e32 v74, v0, v99
	v_ashrrev_i32_e32 v75, 31, v74
	v_lshl_add_u64 v[74:75], v[74:75], 2, v[6:7]
	global_load_dwordx2 v[74:75], v[74:75], off
	s_branch .LBB100_184
.LBB100_183:                            ;   in Loop: Header=BB100_144 Depth=1
	v_mov_b32_e32 v74, 0
	v_mov_b32_e32 v75, 0
.LBB100_184:                            ;   in Loop: Header=BB100_144 Depth=1
	s_waitcnt vmcnt(0)
	v_cvt_pk_f16_f32 v0, v74, v75
	v_mov_b32_e32 v74, 0
	s_andn2_b64 vcc, exec, s[48:49]
	v_mov_b32_e32 v77, 0
	ds_write_b32 v97, v0 offset:2440
	s_cbranch_vccnz .LBB100_188
; %bb.185:                              ;   in Loop: Header=BB100_144 Depth=1
	ds_read_b32 v0, v96 offset:40
	s_waitcnt lgkmcnt(0)
	v_cmp_gt_i32_e32 vcc, 0, v0
	s_cbranch_vccnz .LBB100_187
; %bb.186:                              ;   in Loop: Header=BB100_144 Depth=1
	v_mul_lo_u32 v0, v0, s69
	v_readlane_b32 vcc_lo, v101, 43
	s_nop 1
	v_add_u32_e32 v0, vcc_lo, v0
	v_add_u32_e32 v76, v0, v99
	v_ashrrev_i32_e32 v77, 31, v76
	v_lshl_add_u64 v[76:77], v[76:77], 2, v[6:7]
	global_load_dwordx2 v[76:77], v[76:77], off
	s_branch .LBB100_188
.LBB100_187:                            ;   in Loop: Header=BB100_144 Depth=1
	v_mov_b32_e32 v76, 0
	v_mov_b32_e32 v77, 0
.LBB100_188:                            ;   in Loop: Header=BB100_144 Depth=1
	s_waitcnt vmcnt(0)
	v_cvt_pk_f16_f32 v0, v76, v77
	s_andn2_b64 vcc, exec, s[50:51]
	v_mov_b32_e32 v76, 0
	v_mov_b32_e32 v77, 0
	ds_write_b32 v97, v0 offset:2704
	s_cbranch_vccnz .LBB100_192
; %bb.189:                              ;   in Loop: Header=BB100_144 Depth=1
	ds_read_b32 v0, v96 offset:44
	s_waitcnt lgkmcnt(0)
	v_cmp_gt_i32_e32 vcc, 0, v0
	s_cbranch_vccnz .LBB100_191
; %bb.190:                              ;   in Loop: Header=BB100_144 Depth=1
	v_mul_lo_u32 v0, v0, s69
	v_readlane_b32 vcc_lo, v101, 42
	s_nop 1
	v_add_u32_e32 v0, vcc_lo, v0
	v_add_u32_e32 v76, v0, v99
	v_ashrrev_i32_e32 v77, 31, v76
	v_lshl_add_u64 v[76:77], v[76:77], 2, v[6:7]
	global_load_dwordx2 v[76:77], v[76:77], off
	s_branch .LBB100_192
.LBB100_191:                            ;   in Loop: Header=BB100_144 Depth=1
	v_mov_b32_e32 v76, 0
	v_mov_b32_e32 v77, 0
.LBB100_192:                            ;   in Loop: Header=BB100_144 Depth=1
	s_waitcnt vmcnt(0)
	v_cvt_pk_f16_f32 v0, v76, v77
	s_andn2_b64 vcc, exec, s[52:53]
	v_mov_b32_e32 v75, 0
	ds_write_b32 v97, v0 offset:2968
	s_cbranch_vccnz .LBB100_143
; %bb.193:                              ;   in Loop: Header=BB100_144 Depth=1
	ds_read_b32 v0, v96 offset:48
	s_waitcnt lgkmcnt(0)
	v_cmp_gt_i32_e32 vcc, 0, v0
	s_cbranch_vccz .LBB100_142
; %bb.194:                              ;   in Loop: Header=BB100_144 Depth=1
	v_mov_b32_e32 v74, 0
	v_mov_b32_e32 v75, 0
	s_branch .LBB100_143
.LBB100_195:
	s_or_b64 exec, exec, s[62:63]
	v_readlane_b32 s44, v101, 28
	v_readlane_b32 s12, v101, 32
	;; [unrolled: 1-line block ×8, first 2 shown]
.LBB100_196:
	s_waitcnt lgkmcnt(0)
	v_readlane_b32 s0, v101, 26
	v_readlane_b32 s1, v101, 27
	s_or_b64 exec, exec, s[0:1]
	v_mov_b32_e32 v0, 0x100
	v_lshl_add_u32 v5, v93, 2, v0
	v_and_b32_e32 v1, 0x3f0, v2
	v_add3_u32 v1, v5, v95, v1
	v_accvgpr_read_b32 v4, a13
	v_accvgpr_read_b32 v6, a12
	ds_write2_b32 v1, v6, v4 offset0:16 offset1:17
	v_accvgpr_read_b32 v4, a15
	v_accvgpr_read_b32 v6, a14
	ds_write2_b32 v1, v6, v4 offset0:18 offset1:19
	;; [unrolled: 3-line block ×8, first 2 shown]
	v_lshl_add_u32 v4, v2, 2, v0
	s_movk_i32 s0, 0x108
	v_mad_u32_u24 v0, v3, s0, v4
	ds_read_b32 v6, v0 offset:64
	v_cmp_gt_u32_e32 vcc, 13, v3
	v_mov_b32_e32 v7, -1
	s_and_saveexec_b64 s[0:1], vcc
; %bb.197:
	s_movk_i32 s2, 0xff04
	v_mad_i32_i24 v0, v3, s2, v5
	ds_read_b32 v7, v0
; %bb.198:
	s_or_b64 exec, exec, s[0:1]
	s_mul_hi_i32 s1, s14, s26
	s_mul_i32 s0, s14, s26
	s_lshl_b64 s[0:1], s[0:1], 2
	v_readlane_b32 s2, v101, 24
	v_mul_hi_i32 v1, v80, s65
	v_mul_lo_u32 v0, v80, s65
	v_readlane_b32 s3, v101, 25
	s_add_u32 s0, s2, s0
	s_addc_u32 s1, s3, s1
	v_lshlrev_b64 v[0:1], 2, v[0:1]
	s_waitcnt lgkmcnt(0)
	v_cmp_lt_i32_e32 vcc, -1, v7
	v_mul_u32_u24_e32 v8, 0x108, v3
	v_add_u32_e32 v2, s7, v2
	v_lshl_add_u64 v[0:1], s[0:1], 0, v[0:1]
	s_and_b64 s[2:3], vcc, s[44:45]
	s_and_saveexec_b64 s[0:1], s[2:3]
	s_cbranch_execz .LBB100_200
; %bb.199:
	v_add_f32_e32 v9, 0, v6
	v_mul_lo_u32 v6, v7, s70
	v_mul_lo_u32 v7, v3, s65
	v_add3_u32 v6, v2, v7, v6
	v_mov_b32_e32 v7, 0
	v_lshl_add_u64 v[6:7], v[6:7], 2, v[0:1]
	global_store_dword v[6:7], v9, off
.LBB100_200:
	s_or_b64 exec, exec, s[0:1]
	v_add_u32_e32 v4, v8, v4
	ds_read_b32 v6, v4 offset:328
	v_cmp_gt_u32_e32 vcc, 12, v3
	v_mov_b32_e32 v7, -1
	s_and_saveexec_b64 s[0:1], vcc
; %bb.201:
	s_movk_i32 s2, 0xff04
	v_mad_i32_i24 v5, v3, s2, v5
	ds_read_b32 v7, v5 offset:4
; %bb.202:
	s_or_b64 exec, exec, s[0:1]
	v_readlane_b32 s0, v101, 0
	s_waitcnt lgkmcnt(0)
	v_cmp_lt_i32_e32 vcc, -1, v7
	v_readlane_b32 s1, v101, 1
	s_and_b64 s[2:3], vcc, s[0:1]
	s_and_saveexec_b64 s[0:1], s[2:3]
	s_cbranch_execz .LBB100_204
; %bb.203:
	v_add_f32_e32 v5, 0, v6
	v_mul_lo_u32 v6, v7, s70
	v_mul_lo_u32 v7, v81, s65
	v_add3_u32 v6, v2, v7, v6
	v_mov_b32_e32 v7, 0
	v_lshl_add_u64 v[6:7], v[6:7], 2, v[0:1]
	global_store_dword v[6:7], v5, off
.LBB100_204:
	s_or_b64 exec, exec, s[0:1]
	ds_read_b32 v5, v4 offset:592
	v_cmp_gt_u32_e32 vcc, 11, v3
	v_mov_b32_e32 v6, -1
	s_and_saveexec_b64 s[0:1], vcc
; %bb.205:
	v_mov_b32_e32 v6, 0x100
	v_lshl_add_u32 v6, v3, 2, v6
	ds_read_b32 v6, v6 offset:8
; %bb.206:
	s_or_b64 exec, exec, s[0:1]
	v_readlane_b32 s0, v101, 2
	s_waitcnt lgkmcnt(0)
	v_cmp_lt_i32_e32 vcc, -1, v6
	v_readlane_b32 s1, v101, 3
	s_and_b64 s[2:3], vcc, s[0:1]
	s_and_saveexec_b64 s[0:1], s[2:3]
	s_cbranch_execz .LBB100_208
; %bb.207:
	v_mul_lo_u32 v6, v6, s70
	v_mul_lo_u32 v7, v82, s65
	v_add3_u32 v6, v2, v7, v6
	v_mov_b32_e32 v7, 0
	v_add_f32_e32 v5, 0, v5
	v_lshl_add_u64 v[6:7], v[6:7], 2, v[0:1]
	global_store_dword v[6:7], v5, off
.LBB100_208:
	s_or_b64 exec, exec, s[0:1]
	ds_read_b32 v5, v4 offset:856
	v_cmp_gt_u32_e32 vcc, 10, v3
	v_mov_b32_e32 v6, -1
	s_and_saveexec_b64 s[0:1], vcc
; %bb.209:
	v_mov_b32_e32 v6, 0x100
	v_lshl_add_u32 v6, v3, 2, v6
	ds_read_b32 v6, v6 offset:12
; %bb.210:
	s_or_b64 exec, exec, s[0:1]
	v_readlane_b32 s0, v101, 4
	s_waitcnt lgkmcnt(0)
	v_cmp_lt_i32_e32 vcc, -1, v6
	v_readlane_b32 s1, v101, 5
	s_and_b64 s[2:3], vcc, s[0:1]
	s_and_saveexec_b64 s[0:1], s[2:3]
	s_cbranch_execz .LBB100_212
; %bb.211:
	v_mul_lo_u32 v6, v6, s70
	v_mul_lo_u32 v7, v83, s65
	v_add3_u32 v6, v2, v7, v6
	v_mov_b32_e32 v7, 0
	v_add_f32_e32 v5, 0, v5
	v_lshl_add_u64 v[6:7], v[6:7], 2, v[0:1]
	global_store_dword v[6:7], v5, off
.LBB100_212:
	s_or_b64 exec, exec, s[0:1]
	ds_read_b32 v5, v4 offset:1120
	v_cmp_gt_u32_e32 vcc, 9, v3
	v_mov_b32_e32 v6, -1
	s_and_saveexec_b64 s[0:1], vcc
; %bb.213:
	v_mov_b32_e32 v6, 0x100
	v_lshl_add_u32 v6, v3, 2, v6
	ds_read_b32 v6, v6 offset:16
; %bb.214:
	s_or_b64 exec, exec, s[0:1]
	v_readlane_b32 s0, v101, 6
	s_waitcnt lgkmcnt(0)
	v_cmp_lt_i32_e32 vcc, -1, v6
	v_readlane_b32 s1, v101, 7
	s_and_b64 s[2:3], vcc, s[0:1]
	s_and_saveexec_b64 s[0:1], s[2:3]
	s_cbranch_execz .LBB100_216
; %bb.215:
	v_mul_lo_u32 v6, v6, s70
	v_mul_lo_u32 v7, v84, s65
	v_add3_u32 v6, v2, v7, v6
	v_mov_b32_e32 v7, 0
	v_add_f32_e32 v5, 0, v5
	v_lshl_add_u64 v[6:7], v[6:7], 2, v[0:1]
	global_store_dword v[6:7], v5, off
.LBB100_216:
	s_or_b64 exec, exec, s[0:1]
	ds_read_b32 v5, v4 offset:1384
	v_cmp_gt_u32_e32 vcc, 8, v3
	v_mov_b32_e32 v6, -1
	s_and_saveexec_b64 s[0:1], vcc
; %bb.217:
	v_mov_b32_e32 v6, 0x100
	v_lshl_add_u32 v6, v3, 2, v6
	ds_read_b32 v6, v6 offset:20
; %bb.218:
	s_or_b64 exec, exec, s[0:1]
	v_readlane_b32 s0, v101, 8
	s_waitcnt lgkmcnt(0)
	v_cmp_lt_i32_e32 vcc, -1, v6
	v_readlane_b32 s1, v101, 9
	s_and_b64 s[2:3], vcc, s[0:1]
	s_and_saveexec_b64 s[0:1], s[2:3]
	s_cbranch_execz .LBB100_220
; %bb.219:
	v_mul_lo_u32 v6, v6, s70
	v_mul_lo_u32 v7, v85, s65
	v_add3_u32 v6, v2, v7, v6
	v_mov_b32_e32 v7, 0
	v_add_f32_e32 v5, 0, v5
	v_lshl_add_u64 v[6:7], v[6:7], 2, v[0:1]
	global_store_dword v[6:7], v5, off
.LBB100_220:
	s_or_b64 exec, exec, s[0:1]
	ds_read_b32 v5, v4 offset:1648
	v_cmp_gt_u32_e32 vcc, 7, v3
	v_mov_b32_e32 v6, -1
	s_and_saveexec_b64 s[0:1], vcc
; %bb.221:
	v_mov_b32_e32 v6, 0x100
	v_lshl_add_u32 v6, v3, 2, v6
	ds_read_b32 v6, v6 offset:24
; %bb.222:
	s_or_b64 exec, exec, s[0:1]
	v_readlane_b32 s0, v101, 10
	s_waitcnt lgkmcnt(0)
	v_cmp_lt_i32_e32 vcc, -1, v6
	v_readlane_b32 s1, v101, 11
	s_and_b64 s[2:3], vcc, s[0:1]
	s_and_saveexec_b64 s[0:1], s[2:3]
	s_cbranch_execz .LBB100_224
; %bb.223:
	v_mul_lo_u32 v6, v6, s70
	v_mul_lo_u32 v7, v86, s65
	v_add3_u32 v6, v2, v7, v6
	v_mov_b32_e32 v7, 0
	v_add_f32_e32 v5, 0, v5
	v_lshl_add_u64 v[6:7], v[6:7], 2, v[0:1]
	global_store_dword v[6:7], v5, off
.LBB100_224:
	s_or_b64 exec, exec, s[0:1]
	ds_read_b32 v5, v4 offset:1912
	v_cmp_gt_u32_e32 vcc, 6, v3
	v_mov_b32_e32 v6, -1
	s_and_saveexec_b64 s[0:1], vcc
; %bb.225:
	v_mov_b32_e32 v6, 0x100
	v_lshl_add_u32 v6, v3, 2, v6
	ds_read_b32 v6, v6 offset:28
; %bb.226:
	s_or_b64 exec, exec, s[0:1]
	v_readlane_b32 s0, v101, 12
	s_waitcnt lgkmcnt(0)
	v_cmp_lt_i32_e32 vcc, -1, v6
	v_readlane_b32 s1, v101, 13
	s_and_b64 s[2:3], vcc, s[0:1]
	s_and_saveexec_b64 s[0:1], s[2:3]
	s_cbranch_execz .LBB100_228
; %bb.227:
	v_mul_lo_u32 v6, v6, s70
	v_mul_lo_u32 v7, v87, s65
	v_add3_u32 v6, v2, v7, v6
	v_mov_b32_e32 v7, 0
	v_add_f32_e32 v5, 0, v5
	v_lshl_add_u64 v[6:7], v[6:7], 2, v[0:1]
	global_store_dword v[6:7], v5, off
.LBB100_228:
	s_or_b64 exec, exec, s[0:1]
	ds_read_b32 v5, v4 offset:2176
	v_cmp_gt_u32_e32 vcc, 5, v3
	v_mov_b32_e32 v6, -1
	s_and_saveexec_b64 s[0:1], vcc
; %bb.229:
	v_mov_b32_e32 v6, 0x100
	v_lshl_add_u32 v6, v3, 2, v6
	ds_read_b32 v6, v6 offset:32
; %bb.230:
	s_or_b64 exec, exec, s[0:1]
	v_readlane_b32 s0, v101, 14
	s_waitcnt lgkmcnt(0)
	v_cmp_lt_i32_e32 vcc, -1, v6
	v_readlane_b32 s1, v101, 15
	s_and_b64 s[2:3], vcc, s[0:1]
	s_and_saveexec_b64 s[0:1], s[2:3]
	s_cbranch_execz .LBB100_232
; %bb.231:
	v_mul_lo_u32 v6, v6, s70
	v_mul_lo_u32 v7, v88, s65
	v_add3_u32 v6, v2, v7, v6
	v_mov_b32_e32 v7, 0
	v_add_f32_e32 v5, 0, v5
	v_lshl_add_u64 v[6:7], v[6:7], 2, v[0:1]
	global_store_dword v[6:7], v5, off
.LBB100_232:
	s_or_b64 exec, exec, s[0:1]
	ds_read_b32 v5, v4 offset:2440
	v_cmp_gt_u32_e32 vcc, 4, v3
	v_mov_b32_e32 v6, -1
	s_and_saveexec_b64 s[0:1], vcc
; %bb.233:
	v_mov_b32_e32 v6, 0x100
	v_lshl_add_u32 v6, v3, 2, v6
	ds_read_b32 v6, v6 offset:36
; %bb.234:
	s_or_b64 exec, exec, s[0:1]
	v_readlane_b32 s0, v101, 16
	s_waitcnt lgkmcnt(0)
	v_cmp_lt_i32_e32 vcc, -1, v6
	v_readlane_b32 s1, v101, 17
	s_and_b64 s[2:3], vcc, s[0:1]
	s_and_saveexec_b64 s[0:1], s[2:3]
	s_cbranch_execz .LBB100_236
; %bb.235:
	v_mul_lo_u32 v6, v6, s70
	v_mul_lo_u32 v7, v89, s65
	v_add3_u32 v6, v2, v7, v6
	v_mov_b32_e32 v7, 0
	v_add_f32_e32 v5, 0, v5
	v_lshl_add_u64 v[6:7], v[6:7], 2, v[0:1]
	global_store_dword v[6:7], v5, off
.LBB100_236:
	s_or_b64 exec, exec, s[0:1]
	ds_read_b32 v5, v4 offset:2704
	v_cmp_gt_u32_e32 vcc, 3, v3
	v_mov_b32_e32 v6, -1
	s_and_saveexec_b64 s[0:1], vcc
; %bb.237:
	v_mov_b32_e32 v6, 0x100
	v_lshl_add_u32 v6, v3, 2, v6
	ds_read_b32 v6, v6 offset:40
; %bb.238:
	s_or_b64 exec, exec, s[0:1]
	v_readlane_b32 s0, v101, 18
	s_waitcnt lgkmcnt(0)
	v_cmp_lt_i32_e32 vcc, -1, v6
	v_readlane_b32 s1, v101, 19
	s_and_b64 s[2:3], vcc, s[0:1]
	s_and_saveexec_b64 s[0:1], s[2:3]
	s_cbranch_execz .LBB100_240
; %bb.239:
	v_mul_lo_u32 v6, v6, s70
	v_mul_lo_u32 v7, v90, s65
	v_add3_u32 v6, v2, v7, v6
	v_mov_b32_e32 v7, 0
	v_add_f32_e32 v5, 0, v5
	v_lshl_add_u64 v[6:7], v[6:7], 2, v[0:1]
	global_store_dword v[6:7], v5, off
.LBB100_240:
	s_or_b64 exec, exec, s[0:1]
	ds_read_b32 v5, v4 offset:2968
	v_cmp_gt_u32_e32 vcc, 2, v3
	v_mov_b32_e32 v6, -1
	s_and_saveexec_b64 s[0:1], vcc
; %bb.241:
	v_mov_b32_e32 v6, 0x100
	v_lshl_add_u32 v6, v3, 2, v6
	ds_read_b32 v6, v6 offset:44
; %bb.242:
	s_or_b64 exec, exec, s[0:1]
	v_readlane_b32 s0, v101, 20
	s_waitcnt lgkmcnt(0)
	v_cmp_lt_i32_e32 vcc, -1, v6
	v_readlane_b32 s1, v101, 21
	s_and_b64 s[2:3], vcc, s[0:1]
	s_and_saveexec_b64 s[0:1], s[2:3]
	s_cbranch_execz .LBB100_244
; %bb.243:
	v_mul_lo_u32 v6, v6, s70
	v_mul_lo_u32 v7, v91, s65
	v_add3_u32 v6, v2, v7, v6
	v_mov_b32_e32 v7, 0
	v_add_f32_e32 v5, 0, v5
	v_lshl_add_u64 v[6:7], v[6:7], 2, v[0:1]
	global_store_dword v[6:7], v5, off
.LBB100_244:
	s_or_b64 exec, exec, s[0:1]
	ds_read_b32 v4, v4 offset:3232
	v_cmp_eq_u32_e32 vcc, 0, v3
	v_mov_b32_e32 v3, -1
	s_and_saveexec_b64 s[0:1], vcc
; %bb.245:
	v_mov_b32_e32 v3, 0x100
	ds_read_b32 v3, v3 offset:48
; %bb.246:
	s_or_b64 exec, exec, s[0:1]
	v_readlane_b32 s0, v101, 22
	s_waitcnt lgkmcnt(0)
	v_cmp_lt_i32_e32 vcc, -1, v3
	v_readlane_b32 s1, v101, 23
	s_and_b64 s[0:1], vcc, s[0:1]
	s_and_saveexec_b64 s[2:3], s[0:1]
	s_cbranch_execz .LBB100_248
; %bb.247:
	v_mul_lo_u32 v3, v3, s70
	v_mul_lo_u32 v5, v92, s65
	v_add3_u32 v2, v2, v5, v3
	v_mov_b32_e32 v3, 0
	v_add_f32_e32 v4, 0, v4
	v_lshl_add_u64 v[0:1], v[2:3], 2, v[0:1]
	global_store_dword v[0:1], v4, off
.LBB100_248:
	s_endpgm
	.section	.rodata,"a",@progbits
	.p2align	6, 0x0
	.amdhsa_kernel _ZL9mul_mat_fI7__half2Li64ELi13ELi1ELb1EEvPKT_PKfPKiPfiiiiiiiiiiiiiiii
		.amdhsa_group_segment_fixed_size 256
		.amdhsa_private_segment_fixed_size 0
		.amdhsa_kernarg_size 352
		.amdhsa_user_sgpr_count 2
		.amdhsa_user_sgpr_dispatch_ptr 0
		.amdhsa_user_sgpr_queue_ptr 0
		.amdhsa_user_sgpr_kernarg_segment_ptr 1
		.amdhsa_user_sgpr_dispatch_id 0
		.amdhsa_user_sgpr_kernarg_preload_length 0
		.amdhsa_user_sgpr_kernarg_preload_offset 0
		.amdhsa_user_sgpr_private_segment_size 0
		.amdhsa_uses_dynamic_stack 0
		.amdhsa_enable_private_segment 0
		.amdhsa_system_sgpr_workgroup_id_x 1
		.amdhsa_system_sgpr_workgroup_id_y 1
		.amdhsa_system_sgpr_workgroup_id_z 1
		.amdhsa_system_sgpr_workgroup_info 0
		.amdhsa_system_vgpr_workitem_id 2
		.amdhsa_next_free_vgpr 120
		.amdhsa_next_free_sgpr 100
		.amdhsa_accum_offset 104
		.amdhsa_reserve_vcc 1
		.amdhsa_float_round_mode_32 0
		.amdhsa_float_round_mode_16_64 0
		.amdhsa_float_denorm_mode_32 3
		.amdhsa_float_denorm_mode_16_64 3
		.amdhsa_dx10_clamp 1
		.amdhsa_ieee_mode 1
		.amdhsa_fp16_overflow 0
		.amdhsa_tg_split 0
		.amdhsa_exception_fp_ieee_invalid_op 0
		.amdhsa_exception_fp_denorm_src 0
		.amdhsa_exception_fp_ieee_div_zero 0
		.amdhsa_exception_fp_ieee_overflow 0
		.amdhsa_exception_fp_ieee_underflow 0
		.amdhsa_exception_fp_ieee_inexact 0
		.amdhsa_exception_int_div_zero 0
	.end_amdhsa_kernel
	.section	.text._ZL9mul_mat_fI7__half2Li64ELi13ELi1ELb1EEvPKT_PKfPKiPfiiiiiiiiiiiiiiii,"axG",@progbits,_ZL9mul_mat_fI7__half2Li64ELi13ELi1ELb1EEvPKT_PKfPKiPfiiiiiiiiiiiiiiii,comdat
.Lfunc_end100:
	.size	_ZL9mul_mat_fI7__half2Li64ELi13ELi1ELb1EEvPKT_PKfPKiPfiiiiiiiiiiiiiiii, .Lfunc_end100-_ZL9mul_mat_fI7__half2Li64ELi13ELi1ELb1EEvPKT_PKfPKiPfiiiiiiiiiiiiiiii
                                        ; -- End function
	.set _ZL9mul_mat_fI7__half2Li64ELi13ELi1ELb1EEvPKT_PKfPKiPfiiiiiiiiiiiiiiii.num_vgpr, 102
	.set _ZL9mul_mat_fI7__half2Li64ELi13ELi1ELb1EEvPKT_PKfPKiPfiiiiiiiiiiiiiiii.num_agpr, 16
	.set _ZL9mul_mat_fI7__half2Li64ELi13ELi1ELb1EEvPKT_PKfPKiPfiiiiiiiiiiiiiiii.numbered_sgpr, 100
	.set _ZL9mul_mat_fI7__half2Li64ELi13ELi1ELb1EEvPKT_PKfPKiPfiiiiiiiiiiiiiiii.num_named_barrier, 0
	.set _ZL9mul_mat_fI7__half2Li64ELi13ELi1ELb1EEvPKT_PKfPKiPfiiiiiiiiiiiiiiii.private_seg_size, 0
	.set _ZL9mul_mat_fI7__half2Li64ELi13ELi1ELb1EEvPKT_PKfPKiPfiiiiiiiiiiiiiiii.uses_vcc, 1
	.set _ZL9mul_mat_fI7__half2Li64ELi13ELi1ELb1EEvPKT_PKfPKiPfiiiiiiiiiiiiiiii.uses_flat_scratch, 0
	.set _ZL9mul_mat_fI7__half2Li64ELi13ELi1ELb1EEvPKT_PKfPKiPfiiiiiiiiiiiiiiii.has_dyn_sized_stack, 0
	.set _ZL9mul_mat_fI7__half2Li64ELi13ELi1ELb1EEvPKT_PKfPKiPfiiiiiiiiiiiiiiii.has_recursion, 0
	.set _ZL9mul_mat_fI7__half2Li64ELi13ELi1ELb1EEvPKT_PKfPKiPfiiiiiiiiiiiiiiii.has_indirect_call, 0
	.section	.AMDGPU.csdata,"",@progbits
; Kernel info:
; codeLenInByte = 12216
; TotalNumSgprs: 106
; NumVgprs: 102
; NumAgprs: 16
; TotalNumVgprs: 120
; ScratchSize: 0
; MemoryBound: 0
; FloatMode: 240
; IeeeMode: 1
; LDSByteSize: 256 bytes/workgroup (compile time only)
; SGPRBlocks: 13
; VGPRBlocks: 14
; NumSGPRsForWavesPerEU: 106
; NumVGPRsForWavesPerEU: 120
; AccumOffset: 104
; Occupancy: 4
; WaveLimiterHint : 0
; COMPUTE_PGM_RSRC2:SCRATCH_EN: 0
; COMPUTE_PGM_RSRC2:USER_SGPR: 2
; COMPUTE_PGM_RSRC2:TRAP_HANDLER: 0
; COMPUTE_PGM_RSRC2:TGID_X_EN: 1
; COMPUTE_PGM_RSRC2:TGID_Y_EN: 1
; COMPUTE_PGM_RSRC2:TGID_Z_EN: 1
; COMPUTE_PGM_RSRC2:TIDIG_COMP_CNT: 2
; COMPUTE_PGM_RSRC3_GFX90A:ACCUM_OFFSET: 25
; COMPUTE_PGM_RSRC3_GFX90A:TG_SPLIT: 0
	.section	.text._ZL9mul_mat_fI7__half2Li64ELi13ELi1ELb0EEvPKT_PKfPKiPfiiiiiiiiiiiiiiii,"axG",@progbits,_ZL9mul_mat_fI7__half2Li64ELi13ELi1ELb0EEvPKT_PKfPKiPfiiiiiiiiiiiiiiii,comdat
	.globl	_ZL9mul_mat_fI7__half2Li64ELi13ELi1ELb0EEvPKT_PKfPKiPfiiiiiiiiiiiiiiii ; -- Begin function _ZL9mul_mat_fI7__half2Li64ELi13ELi1ELb0EEvPKT_PKfPKiPfiiiiiiiiiiiiiiii
	.p2align	8
	.type	_ZL9mul_mat_fI7__half2Li64ELi13ELi1ELb0EEvPKT_PKfPKiPfiiiiiiiiiiiiiiii,@function
_ZL9mul_mat_fI7__half2Li64ELi13ELi1ELb0EEvPKT_PKfPKiPfiiiiiiiiiiiiiiii: ; @_ZL9mul_mat_fI7__half2Li64ELi13ELi1ELb0EEvPKT_PKfPKiPfiiiiiiiiiiiiiiii
; %bb.0:
	s_load_dword s5, s[0:1], 0x20
	s_load_dwordx4 s[16:19], s[0:1], 0x2c
	v_bfe_u32 v84, v0, 10, 10
	v_lshlrev_b32_e32 v86, 6, v84
	v_and_b32_e32 v85, 0x3ff, v0
	v_or_b32_e32 v87, v86, v85
	s_waitcnt lgkmcnt(0)
	s_ashr_i32 s19, s4, 31
	v_cmp_le_i32_e32 vcc, s5, v87
	v_and_b32_e32 v1, 15, v85
                                        ; implicit-def: $vgpr88
	s_and_saveexec_b64 s[6:7], vcc
	s_xor_b64 s[6:7], exec, s[6:7]
; %bb.1:
	v_mul_u32_u24_e32 v88, 0x108, v1
                                        ; implicit-def: $vgpr87
                                        ; implicit-def: $vgpr1
; %bb.2:
	s_or_saveexec_b64 s[24:25], s[6:7]
	s_load_dwordx8 s[8:15], s[0:1], 0x40
	s_load_dwordx2 s[6:7], s[0:1], 0x18
	s_lshl_b32 s2, s2, 6
	v_mov_b32_e32 v3, 0
	v_accvgpr_write_b32 a0, 0
	v_accvgpr_write_b32 a1, 0
	;; [unrolled: 1-line block ×16, first 2 shown]
	v_lshlrev_b32_e32 v0, 2, v85
	s_xor_b64 exec, exec, s[24:25]
	s_cbranch_execz .LBB101_6
; %bb.3:
	s_waitcnt lgkmcnt(0)
	s_abs_i32 s26, s8
	v_cvt_f32_u32_e32 v2, s26
	s_abs_i32 s27, s12
	v_cvt_f32_u32_e32 v4, s27
	s_sub_i32 s20, 0, s26
	v_rcp_iflag_f32_e32 v2, v2
	s_abs_i32 s28, s3
	v_rcp_iflag_f32_e32 v4, v4
	s_sub_i32 s21, 0, s27
	v_mul_f32_e32 v2, 0x4f7ffffe, v2
	v_cvt_u32_f32_e32 v2, v2
	v_mul_f32_e32 v4, 0x4f7ffffe, v4
	v_cvt_u32_f32_e32 v4, v4
	s_abs_i32 s29, s4
	v_mul_lo_u32 v5, s20, v2
	v_mul_hi_u32 v5, v2, v5
	v_add_u32_e32 v2, v2, v5
	v_mul_hi_u32 v2, s28, v2
	v_mul_lo_u32 v6, s21, v4
	v_mul_lo_u32 v5, v2, s26
	v_mul_hi_u32 v6, v4, v6
	v_sub_u32_e32 v5, s28, v5
	v_add_u32_e32 v4, v4, v6
	v_subrev_u32_e32 v7, s26, v5
	v_cmp_le_u32_e32 vcc, s26, v5
	v_mul_hi_u32 v4, s29, v4
	v_add_u32_e32 v6, 1, v2
	v_cndmask_b32_e32 v5, v5, v7, vcc
	v_cndmask_b32_e32 v2, v2, v6, vcc
	v_cmp_le_u32_e32 vcc, s26, v5
	v_mul_lo_u32 v5, v4, s27
	s_load_dwordx4 s[20:23], s[0:1], 0x0
	s_ashr_i32 s0, s3, 31
	s_ashr_i32 s1, s8, 31
	v_add_u32_e32 v6, 1, v2
	v_sub_u32_e32 v5, s29, v5
	s_xor_b32 s0, s0, s1
	v_cndmask_b32_e32 v2, v2, v6, vcc
	v_add_u32_e32 v6, 1, v4
	v_subrev_u32_e32 v7, s27, v5
	v_cmp_le_u32_e32 vcc, s27, v5
	v_xor_b32_e32 v2, s0, v2
	s_ashr_i32 s8, s12, 31
	v_cndmask_b32_e32 v4, v4, v6, vcc
	v_cndmask_b32_e32 v5, v5, v7, vcc
	v_subrev_u32_e32 v2, s0, v2
	v_add_u32_e32 v6, 1, v4
	v_cmp_le_u32_e32 vcc, s27, v5
	s_xor_b32 s0, s19, s8
	s_mul_i32 s8, s14, s4
	v_cndmask_b32_e32 v4, v4, v6, vcc
	v_mul_lo_u32 v6, v2, s9
	s_mul_hi_i32 s9, s14, s4
	v_xor_b32_e32 v4, s0, v4
	s_lshl_b64 s[26:27], s[8:9], 2
	v_subrev_u32_e32 v4, s0, v4
	s_mul_i32 s0, s16, s2
	s_mul_i32 s28, s10, s3
	s_waitcnt lgkmcnt(0)
	s_add_u32 s8, s22, s26
	v_mul_hi_i32 v5, v4, s13
	v_mul_lo_u32 v4, v4, s13
	s_addc_u32 s9, s23, s27
	s_ashr_i32 s1, s0, 31
	s_ashr_i32 s29, s28, 31
	v_ashrrev_i32_e32 v7, 31, v6
	v_lshlrev_b64 v[8:9], 2, v[4:5]
	s_lshl_b64 s[12:13], s[0:1], 2
	s_lshl_b64 s[28:29], s[28:29], 2
	v_lshl_add_u64 v[4:5], s[20:21], 0, v[8:9]
	v_lshlrev_b64 v[6:7], 2, v[6:7]
	s_add_u32 s0, s8, s28
	s_movk_i32 s8, 0x1080
	v_mul_u32_u24_e32 v88, 0x108, v1
	v_lshrrev_b32_e32 v1, 1, v85
	v_lshl_add_u64 v[4:5], v[4:5], 0, v[6:7]
	v_mad_u32_u24 v2, v84, s8, 0
	v_and_b32_e32 v1, 0x1f8, v1
	v_lshl_add_u64 v[6:7], v[6:7], 0, s[12:13]
	s_addc_u32 s1, s9, s29
	v_add_u32_e32 v89, v2, v0
	v_add3_u32 v90, v2, v88, v1
	s_ashr_i32 s9, s16, 31
	s_mov_b32 s8, s16
	s_ashr_i32 s31, s17, 31
	s_mov_b32 s30, s17
	v_lshlrev_b32_e32 v2, 8, v84
	v_lshl_add_u64 v[6:7], v[6:7], 0, v[8:9]
	v_lshl_add_u64 v[4:5], v[4:5], 0, s[12:13]
	s_add_i32 s10, s16, s16
	s_add_i32 s14, s17, s17
	s_lshl_b32 s33, s17, 2
	s_lshl_b32 s37, s17, 3
	;; [unrolled: 1-line block ×6, first 2 shown]
	s_lshl_b64 s[8:9], s[8:9], 2
	s_lshl_b64 s[12:13], s[30:31], 3
	v_lshl_add_u64 v[6:7], v[6:7], 0, v[2:3]
	v_lshlrev_b32_e32 v2, 9, v84
	s_add_u32 s22, s22, s28
	v_mov_b32_e32 v1, v3
	v_lshl_add_u64 v[8:9], s[26:27], 0, v[2:3]
	v_lshlrev_b32_e32 v2, 3, v85
	s_addc_u32 s23, s23, s29
	v_lshl_add_u64 v[6:7], v[6:7], 0, v[0:1]
	v_lshl_add_u64 v[8:9], v[8:9], 0, v[2:3]
	s_mul_i32 s19, s17, 3
	s_mul_i32 s34, s17, 5
	;; [unrolled: 1-line block ×39, first 2 shown]
	v_lshl_add_u64 v[6:7], s[20:21], 0, v[6:7]
	s_mul_i32 s30, s16, 38
	s_mul_i32 s31, s16, 39
	;; [unrolled: 1-line block ×6, first 2 shown]
	v_lshl_add_u64 v[8:9], s[22:23], 0, v[8:9]
	s_mul_i32 s77, s16, 44
	s_mul_i32 s78, s16, 45
	v_accvgpr_write_b32 a15, 0
	v_accvgpr_write_b32 a14, 0
	;; [unrolled: 1-line block ×16, first 2 shown]
	s_mul_i32 s79, s16, 46
	s_mul_i32 s80, s16, 47
	;; [unrolled: 1-line block ×18, first 2 shown]
	s_mov_b64 s[16:17], 0
	s_mov_b64 s[20:21], 0x100
	;; [unrolled: 1-line block ×3, first 2 shown]
.LBB101_4:                              ; =>This Inner Loop Header: Depth=1
	v_add_u32_e32 v82, s10, v87
	v_add_u32_e32 v12, s42, v87
	;; [unrolled: 1-line block ×3, first 2 shown]
	v_lshl_add_u64 v[10:11], v[6:7], 0, s[8:9]
	v_add_u32_e32 v14, s44, v87
	v_add_u32_e32 v78, s45, v87
	v_ashrrev_i32_e32 v83, 31, v82
	v_ashrrev_i32_e32 v13, 31, v12
	;; [unrolled: 1-line block ×3, first 2 shown]
	v_add_u32_e32 v16, s46, v87
	v_add_u32_e32 v76, s47, v87
	global_load_dword v91, v[10:11], off
	v_lshl_add_u64 v[10:11], v[82:83], 2, v[4:5]
	v_lshl_add_u64 v[12:13], v[12:13], 2, v[4:5]
	;; [unrolled: 1-line block ×3, first 2 shown]
	v_ashrrev_i32_e32 v15, 31, v14
	v_ashrrev_i32_e32 v79, 31, v78
	v_add_u32_e32 v20, s48, v87
	v_add_u32_e32 v74, s49, v87
	global_load_dword v82, v[10:11], off
	global_load_dword v81, v[12:13], off
	;; [unrolled: 1-line block ×3, first 2 shown]
	v_lshl_add_u64 v[14:15], v[14:15], 2, v[4:5]
	v_lshl_add_u64 v[92:93], v[78:79], 2, v[4:5]
	v_ashrrev_i32_e32 v17, 31, v16
	v_ashrrev_i32_e32 v77, 31, v76
	v_add_u32_e32 v42, s50, v87
	v_add_u32_e32 v72, s51, v87
	global_load_dword v79, v[14:15], off
	global_load_dword v78, v[92:93], off
	v_lshl_add_u64 v[16:17], v[16:17], 2, v[4:5]
	v_lshl_add_u64 v[92:93], v[76:77], 2, v[4:5]
	v_ashrrev_i32_e32 v21, 31, v20
	v_ashrrev_i32_e32 v75, 31, v74
	v_add_u32_e32 v46, s52, v87
	v_add_u32_e32 v70, s53, v87
	global_load_dword v77, v[16:17], off
	global_load_dword v76, v[92:93], off
	;; [unrolled: 8-line block ×10, first 2 shown]
	v_lshl_add_u64 v[44:45], v[44:45], 2, v[4:5]
	v_lshl_add_u64 v[92:93], v[48:49], 2, v[4:5]
	v_ashrrev_i32_e32 v33, 31, v32
	v_ashrrev_i32_e32 v41, 31, v40
	v_add_u32_e32 v18, s70, v87
	v_add_u32_e32 v34, s71, v87
	v_add_u32_e32 v24, s72, v87
	v_add_u32_e32 v36, s73, v87
	v_add_u32_e32 v26, s74, v87
	v_add_u32_e32 v28, s29, v87
	v_add_u32_e32 v10, s30, v87
	v_add_u32_e32 v12, s31, v87
	global_load_dword v48, v[44:45], off
	global_load_dword v49, v[92:93], off
	v_lshl_add_u64 v[32:33], v[32:33], 2, v[4:5]
	v_lshl_add_u64 v[92:93], v[40:41], 2, v[4:5]
	v_ashrrev_i32_e32 v23, 31, v22
	v_ashrrev_i32_e32 v31, 31, v30
	v_add_u32_e32 v38, s28, v87
	v_add_u32_e32 v14, s75, v87
	;; [unrolled: 1-line block ×3, first 2 shown]
	global_load_dword v40, v[32:33], off
	global_load_dword v41, v[92:93], off
	v_lshl_add_u64 v[22:23], v[22:23], 2, v[4:5]
	v_lshl_add_u64 v[92:93], v[30:31], 2, v[4:5]
	v_ashrrev_i32_e32 v19, 31, v18
	v_ashrrev_i32_e32 v35, 31, v34
	;; [unrolled: 1-line block ×8, first 2 shown]
	v_add_u32_e32 v20, s26, v87
	v_add_u32_e32 v42, s27, v87
	global_load_dword v30, v[22:23], off
	global_load_dword v31, v[92:93], off
	v_lshl_add_u64 v[18:19], v[18:19], 2, v[4:5]
	v_lshl_add_u64 v[92:93], v[34:35], 2, v[4:5]
	;; [unrolled: 1-line block ×4, first 2 shown]
	v_ashrrev_i32_e32 v39, 31, v38
	v_lshl_add_u64 v[26:27], v[26:27], 2, v[4:5]
	v_lshl_add_u64 v[28:29], v[28:29], 2, v[4:5]
	;; [unrolled: 1-line block ×4, first 2 shown]
	v_ashrrev_i32_e32 v15, 31, v14
	v_ashrrev_i32_e32 v17, 31, v16
	v_add_u32_e32 v46, s77, v87
	v_add_u32_e32 v54, s78, v87
	global_load_dword v34, v[18:19], off
	global_load_dword v69, v[92:93], off
	;; [unrolled: 1-line block ×4, first 2 shown]
	v_lshl_add_u64 v[36:37], v[38:39], 2, v[4:5]
	global_load_dword v92, v[26:27], off
	global_load_dword v93, v[36:37], off
	s_nop 0
	global_load_dword v28, v[28:29], off
	s_nop 0
	global_load_dword v35, v[6:7], off
	global_load_dword v29, v[10:11], off
	;; [unrolled: 1-line block ×3, first 2 shown]
	s_nop 0
	global_load_dwordx2 v[10:11], v[8:9], off
	v_lshl_add_u64 v[12:13], v[14:15], 2, v[4:5]
	v_lshl_add_u64 v[14:15], v[16:17], 2, v[4:5]
	v_ashrrev_i32_e32 v21, 31, v20
	v_ashrrev_i32_e32 v43, 31, v42
	v_add_u32_e32 v58, s79, v87
	v_add_u32_e32 v62, s80, v87
	global_load_dword v95, v[12:13], off
	global_load_dword v96, v[14:15], off
	v_lshl_add_u64 v[14:15], v[20:21], 2, v[4:5]
	v_lshl_add_u64 v[16:17], v[42:43], 2, v[4:5]
	v_ashrrev_i32_e32 v47, 31, v46
	v_ashrrev_i32_e32 v55, 31, v54
	v_add_u32_e32 v56, s81, v87
	v_add_u32_e32 v50, s82, v87
	global_load_dword v97, v[14:15], off
	global_load_dword v98, v[16:17], off
	v_lshl_add_u64 v[16:17], v[46:47], 2, v[4:5]
	v_lshl_add_u64 v[20:21], v[54:55], 2, v[4:5]
	v_ashrrev_i32_e32 v59, 31, v58
	v_ashrrev_i32_e32 v63, 31, v62
	v_add_u32_e32 v44, s83, v87
	v_add_u32_e32 v32, s84, v87
	;; [unrolled: 1-line block ×4, first 2 shown]
	global_load_dword v46, v[16:17], off
	global_load_dword v47, v[20:21], off
	v_lshl_add_u64 v[20:21], v[58:59], 2, v[4:5]
	v_lshl_add_u64 v[36:37], v[62:63], 2, v[4:5]
	v_ashrrev_i32_e32 v57, 31, v56
	v_ashrrev_i32_e32 v51, 31, v50
	v_add_u32_e32 v24, s87, v87
	v_add_u32_e32 v12, s89, v87
	;; [unrolled: 1-line block ×3, first 2 shown]
	global_load_dword v54, v[20:21], off
	global_load_dword v55, v[36:37], off
	v_lshl_add_u64 v[36:37], v[56:57], 2, v[4:5]
	v_lshl_add_u64 v[38:39], v[50:51], 2, v[4:5]
	v_ashrrev_i32_e32 v45, 31, v44
	v_ashrrev_i32_e32 v33, 31, v32
	v_ashrrev_i32_e32 v23, 31, v22
	v_ashrrev_i32_e32 v19, 31, v18
	v_add_u32_e32 v26, s88, v87
	v_add_u32_e32 v16, s91, v87
	;; [unrolled: 1-line block ×3, first 2 shown]
	global_load_dword v58, v[36:37], off
	global_load_dword v59, v[38:39], off
	v_lshl_add_u64 v[38:39], v[44:45], 2, v[4:5]
	v_lshl_add_u64 v[32:33], v[32:33], 2, v[4:5]
	;; [unrolled: 1-line block ×4, first 2 shown]
	v_ashrrev_i32_e32 v25, 31, v24
	v_ashrrev_i32_e32 v13, 31, v12
	;; [unrolled: 1-line block ×3, first 2 shown]
	v_add_u32_e32 v36, s93, v87
	global_load_dword v44, v[38:39], off
	global_load_dword v45, v[32:33], off
	v_add_u32_e32 v32, s94, v87
	global_load_dword v99, v[22:23], off
	global_load_dword v100, v[18:19], off
	v_add_u32_e32 v18, s95, v87
	v_ashrrev_i32_e32 v27, 31, v26
	v_lshl_add_u64 v[22:23], v[24:25], 2, v[4:5]
	v_lshl_add_u64 v[12:13], v[12:13], 2, v[4:5]
	;; [unrolled: 1-line block ×3, first 2 shown]
	v_ashrrev_i32_e32 v17, 31, v16
	v_ashrrev_i32_e32 v21, 31, v20
	v_lshl_add_u64 v[24:25], v[26:27], 2, v[4:5]
	global_load_dword v101, v[22:23], off
	global_load_dword v102, v[24:25], off
	v_add_u32_e32 v22, s96, v87
	global_load_dword v103, v[12:13], off
	global_load_dword v104, v[14:15], off
	v_lshl_add_u64 v[14:15], v[16:17], 2, v[4:5]
	v_lshl_add_u64 v[16:17], v[20:21], 2, v[4:5]
	v_ashrrev_i32_e32 v37, 31, v36
	v_ashrrev_i32_e32 v33, 31, v32
	;; [unrolled: 1-line block ×3, first 2 shown]
	v_lshl_add_u64 v[12:13], v[8:9], 0, s[12:13]
	global_load_dword v105, v[14:15], off
	global_load_dword v106, v[16:17], off
	v_lshl_add_u64 v[16:17], v[36:37], 2, v[4:5]
	v_lshl_add_u64 v[20:21], v[32:33], 2, v[4:5]
	v_ashrrev_i32_e32 v23, 31, v22
	v_lshl_add_u64 v[18:19], v[18:19], 2, v[4:5]
	global_load_dword v107, v[16:17], off
	global_load_dword v108, v[20:21], off
	v_lshl_add_u64 v[20:21], v[22:23], 2, v[4:5]
	global_load_dword v109, v[18:19], off
	global_load_dword v110, v[20:21], off
	v_add_u32_e32 v14, s14, v87
	global_load_dwordx2 v[12:13], v[12:13], off
	v_add_u32_e32 v16, s19, v87
	v_add_u32_e32 v18, s33, v87
	s_waitcnt vmcnt(25)
	v_cvt_pk_f16_f32 v111, v10, v11
	v_add_u32_e32 v10, s34, v87
	ds_write_b32 v89, v91 offset:264
	v_add_u32_e32 v20, s36, v87
	v_add_u32_e32 v22, s37, v87
	;; [unrolled: 1-line block ×6, first 2 shown]
	v_ashrrev_i32_e32 v15, 31, v14
	v_ashrrev_i32_e32 v17, 31, v16
	;; [unrolled: 1-line block ×10, first 2 shown]
	ds_write_b32 v89, v35
	ds_write_b32 v89, v82 offset:528
	ds_write_b32 v89, v81 offset:792
	;; [unrolled: 1-line block ×12, first 2 shown]
	v_lshl_add_u64 v[14:15], v[14:15], 3, s[0:1]
	v_lshl_add_u64 v[16:17], v[16:17], 3, s[0:1]
	;; [unrolled: 1-line block ×10, first 2 shown]
	v_accvgpr_mov_b32 a17, a3
	v_accvgpr_mov_b32 a16, a2
	v_lshl_add_u64 v[6:7], v[6:7], 0, s[20:21]
	v_lshl_add_u64 v[8:9], v[8:9], 0, s[22:23]
	s_waitcnt vmcnt(0)
	v_cvt_pk_f16_f32 v91, v12, v13
	v_add_u32_e32 v12, s35, v87
	v_ashrrev_i32_e32 v13, 31, v12
	v_lshl_add_u64 v[12:13], v[12:13], 3, s[0:1]
	global_load_dwordx2 v[14:15], v[14:15], off
	s_nop 0
	global_load_dwordx2 v[16:17], v[16:17], off
	s_nop 0
	;; [unrolled: 2-line block ×10, first 2 shown]
	global_load_dwordx2 v[36:37], v[36:37], off
	ds_write_b32 v89, v1 offset:3696
	ds_write_b32 v89, v68 offset:3960
	v_add_u32_e32 v87, 64, v87
	v_cmp_le_i32_e32 vcc, s5, v87
	s_or_b64 s[16:17], vcc, s[16:17]
	s_waitcnt vmcnt(10)
	v_cvt_pk_f16_f32 v1, v14, v15
	s_waitcnt vmcnt(9)
	v_cvt_pk_f16_f32 v74, v16, v17
	;; [unrolled: 2-line block ×9, first 2 shown]
	ds_read_b64 v[56:57], v90
	ds_read_b64 v[42:43], v90 offset:32
	ds_read_b64 v[38:39], v90 offset:64
	;; [unrolled: 1-line block ×7, first 2 shown]
	ds_write_b32 v89, v2
	ds_write_b32 v89, v66 offset:264
	ds_write_b32 v89, v67 offset:528
	;; [unrolled: 1-line block ×15, first 2 shown]
	s_waitcnt vmcnt(0)
	v_cvt_pk_f16_f32 v112, v36, v37
	ds_read_b64 v[64:65], v90
	ds_read_b64 v[52:53], v90 offset:32
	ds_read_b64 v[50:51], v90 offset:64
	ds_read_b64 v[36:37], v90 offset:96
	ds_read_b64 v[34:35], v90 offset:128
	ds_read_b64 v[22:23], v90 offset:160
	ds_read_b64 v[18:19], v90 offset:192
	ds_read_b64 v[14:15], v90 offset:224
	ds_write_b32 v89, v69
	ds_write_b32 v89, v71 offset:264
	ds_write_b32 v89, v83 offset:528
	;; [unrolled: 1-line block ×15, first 2 shown]
	v_cvt_pk_f16_f32 v82, v32, v33
	ds_read_b64 v[70:71], v90
	ds_read_b64 v[62:63], v90 offset:32
	ds_read_b64 v[60:61], v90 offset:64
	;; [unrolled: 1-line block ×7, first 2 shown]
	ds_write_b32 v89, v58
	ds_write_b32 v89, v59 offset:264
	ds_write_b32 v89, v44 offset:528
	;; [unrolled: 1-line block ×15, first 2 shown]
	ds_read_b64 v[72:73], v90
	ds_read_b64 v[68:69], v90 offset:32
	ds_read_b64 v[66:67], v90 offset:64
	;; [unrolled: 1-line block ×7, first 2 shown]
	ds_write_b32 v89, v111
	ds_write_b32 v89, v91 offset:264
	ds_write_b32 v89, v1 offset:528
	;; [unrolled: 1-line block ×15, first 2 shown]
	ds_read_b64 v[74:75], v90
	v_accvgpr_read_b32 v93, a9
	v_accvgpr_read_b32 v92, a8
	;; [unrolled: 1-line block ×4, first 2 shown]
	v_accvgpr_mov_b32 a6, a12
	v_accvgpr_mov_b32 a7, a13
	v_accvgpr_mov_b32 a8, a14
	v_accvgpr_mov_b32 a9, a15
	v_accvgpr_read_b32 v96, a4
	v_accvgpr_read_b32 v97, a5
	s_waitcnt lgkmcnt(0)
	v_mfma_f32_16x16x16_f16 a[6:9], v[56:57], v[74:75], a[6:9]
	ds_read_b64 v[56:57], v90 offset:32
	v_accvgpr_write_b32 a2, v96
	v_accvgpr_read_b32 v95, a11
	v_accvgpr_read_b32 v94, a10
	v_accvgpr_write_b32 a10, v92
	v_accvgpr_write_b32 a3, v97
	;; [unrolled: 1-line block ×4, first 2 shown]
	s_waitcnt lgkmcnt(0)
	v_mfma_f32_16x16x16_f16 a[6:9], v[42:43], v[56:57], a[6:9]
	ds_read_b64 v[42:43], v90 offset:64
	v_accvgpr_write_b32 a11, v93
	v_accvgpr_write_b32 a12, v94
	;; [unrolled: 1-line block ×3, first 2 shown]
	v_mfma_f32_16x16x16_f16 a[2:5], v[70:71], v[74:75], a[2:5]
	v_accvgpr_mov_b32 a15, a1
	v_accvgpr_mov_b32 a14, a0
	v_mfma_f32_16x16x16_f16 a[10:13], v[64:65], v[74:75], a[10:13]
	s_nop 0
	v_mfma_f32_16x16x16_f16 a[14:17], v[72:73], v[74:75], a[14:17]
	v_mfma_f32_16x16x16_f16 a[0:3], v[62:63], v[56:57], a[2:5]
	s_waitcnt lgkmcnt(0)
	v_mfma_f32_16x16x16_f16 a[4:7], v[38:39], v[42:43], a[6:9]
	ds_read_b64 v[38:39], v90 offset:96
	v_mfma_f32_16x16x16_f16 a[10:13], v[52:53], v[56:57], a[10:13]
	v_mfma_f32_16x16x16_f16 a[14:17], v[68:69], v[56:57], a[14:17]
	;; [unrolled: 1-line block ×5, first 2 shown]
	s_waitcnt lgkmcnt(0)
	v_mfma_f32_16x16x16_f16 a[4:7], v[26:27], v[38:39], a[4:7]
	ds_read_b64 v[26:27], v90 offset:128
	v_mfma_f32_16x16x16_f16 a[8:11], v[36:37], v[38:39], a[8:11]
	v_mfma_f32_16x16x16_f16 a[0:3], v[48:49], v[38:39], a[0:3]
	v_mfma_f32_16x16x16_f16 a[12:15], v[58:59], v[38:39], a[12:15]
	s_waitcnt lgkmcnt(0)
	v_mfma_f32_16x16x16_f16 a[4:7], v[24:25], v[26:27], a[4:7]
	ds_read_b64 v[24:25], v90 offset:160
	v_mfma_f32_16x16x16_f16 a[8:11], v[34:35], v[26:27], a[8:11]
	v_mfma_f32_16x16x16_f16 a[0:3], v[46:47], v[26:27], a[0:3]
	v_mfma_f32_16x16x16_f16 a[12:15], v[54:55], v[26:27], a[12:15]
	;; [unrolled: 6-line block ×4, first 2 shown]
	s_waitcnt lgkmcnt(0)
	v_mfma_f32_16x16x16_f16 a[12:15], v[10:11], v[12:13], a[4:7]
	v_mfma_f32_16x16x16_f16 a[8:11], v[14:15], v[12:13], a[8:11]
	;; [unrolled: 1-line block ×4, first 2 shown]
	s_andn2_b64 exec, exec, s[16:17]
	s_cbranch_execnz .LBB101_4
; %bb.5:
	s_or_b64 exec, exec, s[16:17]
.LBB101_6:
	s_or_b64 exec, exec, s[24:25]
	v_lshl_add_u32 v1, v86, 2, 0
	v_and_b32_e32 v2, 0x3f0, v85
	v_add3_u32 v1, v1, v88, v2
	v_accvgpr_read_b32 v2, a13
	v_accvgpr_read_b32 v3, a12
	ds_write2_b32 v1, v3, v2 offset1:1
	v_accvgpr_read_b32 v2, a15
	v_accvgpr_read_b32 v3, a14
	ds_write2_b32 v1, v3, v2 offset0:2 offset1:3
	v_accvgpr_read_b32 v2, a9
	v_accvgpr_read_b32 v3, a8
	ds_write2_b32 v1, v3, v2 offset0:16 offset1:17
	;; [unrolled: 3-line block ×6, first 2 shown]
	v_accvgpr_read_b32 v2, a3
	v_accvgpr_read_b32 v3, a2
	s_waitcnt lgkmcnt(0)
	s_mul_hi_i32 s1, s15, s4
	s_mul_i32 s0, s15, s4
	ds_write2_b32 v1, v3, v2 offset0:50 offset1:51
	v_mul_u32_u24_e32 v1, 0x108, v84
	s_lshl_b64 s[0:1], s[0:1], 2
	v_add3_u32 v6, 0, v0, v1
	s_add_u32 s4, s6, s0
	s_mul_i32 s0, s11, s3
	ds_read2_b32 v[0:1], v6 offset1:66
	s_addc_u32 s5, s7, s1
	s_ashr_i32 s1, s0, 31
	s_lshl_b64 s[0:1], s[0:1], 2
	s_add_u32 s0, s4, s0
	v_mul_lo_u32 v2, v84, s18
	s_addc_u32 s1, s5, s1
	v_add3_u32 v2, s2, v85, v2
	v_mov_b32_e32 v3, 0
	s_waitcnt lgkmcnt(0)
	v_add_f32_e32 v0, 0, v0
	v_lshl_add_u64 v[4:5], v[2:3], 2, s[0:1]
	global_store_dword v[4:5], v0, off
	ds_read2_b32 v[4:5], v6 offset0:132 offset1:198
	v_add_u32_e32 v2, s18, v2
	v_add_f32_e32 v7, 0, v1
	v_lshl_add_u64 v[0:1], v[2:3], 2, s[0:1]
	v_add_u32_e32 v2, s18, v2
	global_store_dword v[0:1], v7, off
	s_waitcnt lgkmcnt(0)
	v_add_f32_e32 v4, 0, v4
	v_lshl_add_u64 v[0:1], v[2:3], 2, s[0:1]
	v_add_u32_e32 v7, 0x400, v6
	global_store_dword v[0:1], v4, off
	ds_read2_b32 v[0:1], v7 offset0:8 offset1:74
	v_add_u32_e32 v2, s18, v2
	v_add_f32_e32 v8, 0, v5
	v_lshl_add_u64 v[4:5], v[2:3], 2, s[0:1]
	v_add_u32_e32 v2, s18, v2
	global_store_dword v[4:5], v8, off
	s_waitcnt lgkmcnt(0)
	v_add_f32_e32 v0, 0, v0
	v_lshl_add_u64 v[4:5], v[2:3], 2, s[0:1]
	global_store_dword v[4:5], v0, off
	ds_read2_b32 v[4:5], v7 offset0:140 offset1:206
	v_add_u32_e32 v2, s18, v2
	v_add_f32_e32 v7, 0, v1
	v_lshl_add_u64 v[0:1], v[2:3], 2, s[0:1]
	v_add_u32_e32 v2, s18, v2
	global_store_dword v[0:1], v7, off
	s_waitcnt lgkmcnt(0)
	v_add_f32_e32 v4, 0, v4
	v_lshl_add_u64 v[0:1], v[2:3], 2, s[0:1]
	v_add_u32_e32 v7, 0x800, v6
	global_store_dword v[0:1], v4, off
	ds_read2_b32 v[0:1], v7 offset0:16 offset1:82
	v_add_u32_e32 v2, s18, v2
	v_add_f32_e32 v8, 0, v5
	v_lshl_add_u64 v[4:5], v[2:3], 2, s[0:1]
	v_add_u32_e32 v2, s18, v2
	global_store_dword v[4:5], v8, off
	s_waitcnt lgkmcnt(0)
	v_add_f32_e32 v0, 0, v0
	v_lshl_add_u64 v[4:5], v[2:3], 2, s[0:1]
	global_store_dword v[4:5], v0, off
	ds_read2_b32 v[4:5], v7 offset0:148 offset1:214
	v_add_u32_e32 v2, s18, v2
	v_add_f32_e32 v7, 0, v1
	v_lshl_add_u64 v[0:1], v[2:3], 2, s[0:1]
	v_add_u32_e32 v2, s18, v2
	global_store_dword v[0:1], v7, off
	s_waitcnt lgkmcnt(0)
	v_add_f32_e32 v4, 0, v4
	v_lshl_add_u64 v[0:1], v[2:3], 2, s[0:1]
	global_store_dword v[0:1], v4, off
	ds_read_b32 v4, v6 offset:3168
	v_add_u32_e32 v2, s18, v2
	v_add_f32_e32 v5, 0, v5
	v_lshl_add_u64 v[0:1], v[2:3], 2, s[0:1]
	v_add_u32_e32 v2, s18, v2
	global_store_dword v[0:1], v5, off
	s_waitcnt lgkmcnt(0)
	v_add_f32_e32 v4, 0, v4
	v_lshl_add_u64 v[0:1], v[2:3], 2, s[0:1]
	global_store_dword v[0:1], v4, off
	s_endpgm
	.section	.rodata,"a",@progbits
	.p2align	6, 0x0
	.amdhsa_kernel _ZL9mul_mat_fI7__half2Li64ELi13ELi1ELb0EEvPKT_PKfPKiPfiiiiiiiiiiiiiiii
		.amdhsa_group_segment_fixed_size 0
		.amdhsa_private_segment_fixed_size 0
		.amdhsa_kernarg_size 96
		.amdhsa_user_sgpr_count 2
		.amdhsa_user_sgpr_dispatch_ptr 0
		.amdhsa_user_sgpr_queue_ptr 0
		.amdhsa_user_sgpr_kernarg_segment_ptr 1
		.amdhsa_user_sgpr_dispatch_id 0
		.amdhsa_user_sgpr_kernarg_preload_length 0
		.amdhsa_user_sgpr_kernarg_preload_offset 0
		.amdhsa_user_sgpr_private_segment_size 0
		.amdhsa_uses_dynamic_stack 0
		.amdhsa_enable_private_segment 0
		.amdhsa_system_sgpr_workgroup_id_x 1
		.amdhsa_system_sgpr_workgroup_id_y 1
		.amdhsa_system_sgpr_workgroup_id_z 1
		.amdhsa_system_sgpr_workgroup_info 0
		.amdhsa_system_vgpr_workitem_id 1
		.amdhsa_next_free_vgpr 136
		.amdhsa_next_free_sgpr 97
		.amdhsa_accum_offset 116
		.amdhsa_reserve_vcc 1
		.amdhsa_float_round_mode_32 0
		.amdhsa_float_round_mode_16_64 0
		.amdhsa_float_denorm_mode_32 3
		.amdhsa_float_denorm_mode_16_64 3
		.amdhsa_dx10_clamp 1
		.amdhsa_ieee_mode 1
		.amdhsa_fp16_overflow 0
		.amdhsa_tg_split 0
		.amdhsa_exception_fp_ieee_invalid_op 0
		.amdhsa_exception_fp_denorm_src 0
		.amdhsa_exception_fp_ieee_div_zero 0
		.amdhsa_exception_fp_ieee_overflow 0
		.amdhsa_exception_fp_ieee_underflow 0
		.amdhsa_exception_fp_ieee_inexact 0
		.amdhsa_exception_int_div_zero 0
	.end_amdhsa_kernel
	.section	.text._ZL9mul_mat_fI7__half2Li64ELi13ELi1ELb0EEvPKT_PKfPKiPfiiiiiiiiiiiiiiii,"axG",@progbits,_ZL9mul_mat_fI7__half2Li64ELi13ELi1ELb0EEvPKT_PKfPKiPfiiiiiiiiiiiiiiii,comdat
.Lfunc_end101:
	.size	_ZL9mul_mat_fI7__half2Li64ELi13ELi1ELb0EEvPKT_PKfPKiPfiiiiiiiiiiiiiiii, .Lfunc_end101-_ZL9mul_mat_fI7__half2Li64ELi13ELi1ELb0EEvPKT_PKfPKiPfiiiiiiiiiiiiiiii
                                        ; -- End function
	.set _ZL9mul_mat_fI7__half2Li64ELi13ELi1ELb0EEvPKT_PKfPKiPfiiiiiiiiiiiiiiii.num_vgpr, 113
	.set _ZL9mul_mat_fI7__half2Li64ELi13ELi1ELb0EEvPKT_PKfPKiPfiiiiiiiiiiiiiiii.num_agpr, 20
	.set _ZL9mul_mat_fI7__half2Li64ELi13ELi1ELb0EEvPKT_PKfPKiPfiiiiiiiiiiiiiiii.numbered_sgpr, 97
	.set _ZL9mul_mat_fI7__half2Li64ELi13ELi1ELb0EEvPKT_PKfPKiPfiiiiiiiiiiiiiiii.num_named_barrier, 0
	.set _ZL9mul_mat_fI7__half2Li64ELi13ELi1ELb0EEvPKT_PKfPKiPfiiiiiiiiiiiiiiii.private_seg_size, 0
	.set _ZL9mul_mat_fI7__half2Li64ELi13ELi1ELb0EEvPKT_PKfPKiPfiiiiiiiiiiiiiiii.uses_vcc, 1
	.set _ZL9mul_mat_fI7__half2Li64ELi13ELi1ELb0EEvPKT_PKfPKiPfiiiiiiiiiiiiiiii.uses_flat_scratch, 0
	.set _ZL9mul_mat_fI7__half2Li64ELi13ELi1ELb0EEvPKT_PKfPKiPfiiiiiiiiiiiiiiii.has_dyn_sized_stack, 0
	.set _ZL9mul_mat_fI7__half2Li64ELi13ELi1ELb0EEvPKT_PKfPKiPfiiiiiiiiiiiiiiii.has_recursion, 0
	.set _ZL9mul_mat_fI7__half2Li64ELi13ELi1ELb0EEvPKT_PKfPKiPfiiiiiiiiiiiiiiii.has_indirect_call, 0
	.section	.AMDGPU.csdata,"",@progbits
; Kernel info:
; codeLenInByte = 5384
; TotalNumSgprs: 103
; NumVgprs: 113
; NumAgprs: 20
; TotalNumVgprs: 136
; ScratchSize: 0
; MemoryBound: 0
; FloatMode: 240
; IeeeMode: 1
; LDSByteSize: 0 bytes/workgroup (compile time only)
; SGPRBlocks: 12
; VGPRBlocks: 16
; NumSGPRsForWavesPerEU: 103
; NumVGPRsForWavesPerEU: 136
; AccumOffset: 116
; Occupancy: 3
; WaveLimiterHint : 0
; COMPUTE_PGM_RSRC2:SCRATCH_EN: 0
; COMPUTE_PGM_RSRC2:USER_SGPR: 2
; COMPUTE_PGM_RSRC2:TRAP_HANDLER: 0
; COMPUTE_PGM_RSRC2:TGID_X_EN: 1
; COMPUTE_PGM_RSRC2:TGID_Y_EN: 1
; COMPUTE_PGM_RSRC2:TGID_Z_EN: 1
; COMPUTE_PGM_RSRC2:TIDIG_COMP_CNT: 1
; COMPUTE_PGM_RSRC3_GFX90A:ACCUM_OFFSET: 28
; COMPUTE_PGM_RSRC3_GFX90A:TG_SPLIT: 0
	.section	.text._ZL13mul_mat_f_idsI7__half2Li64ELi13ELi2EEvPKT_PKfPKiS7_S7_Pfiiiiiiiiiiiiii15HIP_vector_typeIjLj3EESA_,"axG",@progbits,_ZL13mul_mat_f_idsI7__half2Li64ELi13ELi2EEvPKT_PKfPKiS7_S7_Pfiiiiiiiiiiiiii15HIP_vector_typeIjLj3EESA_,comdat
	.globl	_ZL13mul_mat_f_idsI7__half2Li64ELi13ELi2EEvPKT_PKfPKiS7_S7_Pfiiiiiiiiiiiiii15HIP_vector_typeIjLj3EESA_ ; -- Begin function _ZL13mul_mat_f_idsI7__half2Li64ELi13ELi2EEvPKT_PKfPKiS7_S7_Pfiiiiiiiiiiiiii15HIP_vector_typeIjLj3EESA_
	.p2align	8
	.type	_ZL13mul_mat_f_idsI7__half2Li64ELi13ELi2EEvPKT_PKfPKiS7_S7_Pfiiiiiiiiiiiiii15HIP_vector_typeIjLj3EESA_,@function
_ZL13mul_mat_f_idsI7__half2Li64ELi13ELi2EEvPKT_PKfPKiS7_S7_Pfiiiiiiiiiiiiii15HIP_vector_typeIjLj3EESA_: ; @_ZL13mul_mat_f_idsI7__half2Li64ELi13ELi2EEvPKT_PKfPKiS7_S7_Pfiiiiiiiiiiiiii15HIP_vector_typeIjLj3EESA_
; %bb.0:
	s_load_dwordx2 s[6:7], s[0:1], 0x20
	s_mov_b32 s34, s3
	s_ashr_i32 s35, s3, 31
	s_lshl_b64 s[8:9], s[34:35], 2
	s_waitcnt lgkmcnt(0)
	s_add_u32 s6, s6, s8
	s_addc_u32 s7, s7, s9
	s_load_dwordx2 s[30:31], s[6:7], 0x0
	s_waitcnt lgkmcnt(0)
	s_sub_i32 s26, s31, s30
	s_add_i32 s3, s26, 12
	s_mul_hi_i32 s3, s3, 0x4ec4ec4f
	s_lshr_b32 s5, s3, 31
	s_ashr_i32 s3, s3, 2
	s_add_i32 s3, s3, s5
	s_cmp_ge_i32 s4, s3
	s_cbranch_scc1 .LBB102_68
; %bb.1:
	v_bfe_u32 v2, v0, 10, 10
	v_lshlrev_b32_e32 v70, 6, v2
	v_and_b32_e32 v3, 0x3ff, v0
	s_load_dwordx4 s[12:15], s[0:1], 0x30
	s_load_dwordx2 s[20:21], s[0:1], 0x40
	s_load_dwordx4 s[8:11], s[0:1], 0x4c
	s_load_dwordx4 s[16:19], s[0:1], 0x68
	s_load_dwordx2 s[24:25], s[0:1], 0x78
	v_add_u32_e32 v72, v70, v3
	s_ashr_i32 s31, s30, 31
	s_waitcnt lgkmcnt(0)
	v_cmp_le_i32_e32 vcc, s12, v72
	v_and_b32_e32 v71, 15, v3
	s_and_saveexec_b64 s[6:7], vcc
	s_xor_b64 s[6:7], exec, s[6:7]
; %bb.2:
	v_and_b32_e32 v71, 15, v3
                                        ; implicit-def: $vgpr72
; %bb.3:
	s_or_saveexec_b64 s[36:37], s[6:7]
	s_load_dwordx2 s[22:23], s[0:1], 0x18
	s_load_dwordx2 s[6:7], s[0:1], 0x28
                                        ; implicit-def: $vgpr102 : SGPR spill to VGPR lane
	s_lshl_b32 s11, s2, 6
	s_mul_i32 s28, s4, 13
	v_mov_b32_e32 v1, 0
	v_accvgpr_write_b32 a4, 0
	s_waitcnt lgkmcnt(0)
	v_writelane_b32 v102, s6, 0
	v_accvgpr_write_b32 a5, 0
	v_accvgpr_write_b32 a6, 0
	;; [unrolled: 1-line block ×15, first 2 shown]
	v_writelane_b32 v102, s7, 1
	s_xor_b64 exec, exec, s[36:37]
	s_cbranch_execz .LBB102_46
; %bb.4:
	s_load_dwordx4 s[4:7], s[0:1], 0x0
	s_load_dwordx2 s[2:3], s[0:1], 0x10
	v_writelane_b32 v102, s36, 2
	s_mul_i32 s0, s8, s34
	s_ashr_i32 s1, s0, 31
	v_writelane_b32 v102, s37, 3
	v_writelane_b32 v102, s22, 4
	s_lshl_b64 s[64:65], s[0:1], 2
	s_waitcnt lgkmcnt(0)
	s_add_u32 s0, s4, s64
	v_writelane_b32 v102, s23, 5
	s_mul_i32 s22, s15, s11
	v_writelane_b32 v102, s24, 6
	s_addc_u32 s1, s5, s65
	s_ashr_i32 s23, s22, 31
	v_writelane_b32 v102, s25, 7
	s_lshl_b64 s[66:67], s[22:23], 2
	v_writelane_b32 v102, s11, 8
	s_add_u32 s0, s0, s66
	s_addc_u32 s1, s1, s67
	v_writelane_b32 v102, s30, 9
	s_lshl_b64 s[22:23], s[30:31], 2
	s_add_u32 s8, s2, s22
	s_addc_u32 s11, s3, s23
	s_movk_i32 s2, 0x1080
	s_cmp_lt_i32 s28, s26
	v_writelane_b32 v102, s31, 10
	v_mad_u32_u24 v0, v2, s2, 0
	s_cselect_b64 s[2:3], -1, 0
	v_writelane_b32 v102, s2, 11
	s_ashr_i32 s29, s28, 31
	s_mov_b32 s22, s15
	v_writelane_b32 v102, s3, 12
	s_lshl_b64 s[2:3], s[28:29], 2
	s_add_u32 s36, s8, s2
	s_addc_u32 s37, s11, s3
	s_add_i32 s2, s28, 1
	s_cmp_lt_i32 s2, s26
	s_cselect_b64 s[2:3], -1, 0
	v_writelane_b32 v102, s2, 13
	v_lshrrev_b32_e32 v6, 1, v3
	v_lshlrev_b32_e32 v4, 2, v3
	v_writelane_b32 v102, s3, 14
	s_add_i32 s2, s28, 2
	s_cmp_lt_i32 s2, s26
	s_cselect_b64 s[2:3], -1, 0
	v_writelane_b32 v102, s2, 15
	v_mul_u32_u24_e32 v5, 0x108, v71
	v_and_b32_e32 v6, 0x1f8, v6
	v_writelane_b32 v102, s3, 16
	s_add_i32 s2, s28, 3
	s_cmp_lt_i32 s2, s26
	s_cselect_b64 s[2:3], -1, 0
	v_writelane_b32 v102, s2, 17
	v_add_u32_e32 v73, v0, v4
	v_add3_u32 v74, v0, v5, v6
	v_writelane_b32 v102, s3, 18
	s_add_i32 s2, s28, 4
	s_cmp_lt_i32 s2, s26
	s_cselect_b64 s[2:3], -1, 0
	v_writelane_b32 v102, s2, 19
	v_lshlrev_b32_e32 v0, 8, v2
	v_mov_b32_e32 v5, v1
	v_writelane_b32 v102, s3, 20
	s_add_i32 s2, s28, 5
	s_cmp_lt_i32 s2, s26
	s_cselect_b64 s[2:3], -1, 0
	v_writelane_b32 v102, s2, 21
	s_mul_i32 s8, s15, 3
	s_mul_i32 s69, s15, 5
	v_writelane_b32 v102, s3, 22
	s_add_i32 s2, s28, 6
	s_cmp_lt_i32 s2, s26
	s_cselect_b64 s[48:49], -1, 0
	s_add_i32 s2, s28, 7
	s_cmp_lt_i32 s2, s26
	s_cselect_b64 s[50:51], -1, 0
	;; [unrolled: 3-line block ×5, first 2 shown]
	s_add_i32 s2, s28, 11
	s_cmp_lt_i32 s2, s26
	s_mov_b32 s2, s28
	v_writelane_b32 v102, s2, 23
	s_cselect_b64 s[58:59], -1, 0
	s_mul_i32 s70, s15, 6
	v_writelane_b32 v102, s3, 24
	s_add_i32 s2, s28, 12
	s_cmp_lt_i32 s2, s26
	s_cselect_b64 s[60:61], -1, 0
	s_ashr_i32 s23, s15, 31
	s_add_i32 s3, s15, s15
	s_lshl_b32 s68, s15, 2
	s_lshl_b32 s72, s15, 3
	s_lshl_b32 s80, s15, 4
	s_lshl_b32 s85, s15, 5
	s_lshl_b64 s[62:63], s[22:23], 2
	s_add_u32 s22, s64, s66
	s_addc_u32 s23, s65, s67
	v_lshl_add_u64 v[6:7], s[22:23], 0, v[0:1]
	v_lshl_add_u64 v[4:5], v[6:7], 0, v[4:5]
	v_writelane_b32 v102, s26, 25
	s_mul_i32 s71, s15, 7
	s_mul_i32 s73, s15, 9
	;; [unrolled: 1-line block ×20, first 2 shown]
	v_accvgpr_write_b32 a15, 0
	v_accvgpr_write_b32 a14, 0
	;; [unrolled: 1-line block ×16, first 2 shown]
	v_lshl_add_u64 v[4:5], s[4:5], 0, v[4:5]
	s_mul_i32 s90, s15, 29
	s_mul_i32 s91, s15, 30
	;; [unrolled: 1-line block ×34, first 2 shown]
	s_mov_b32 s46, 0x5040100
	s_mov_b64 s[4:5], 0
	s_branch .LBB102_6
.LBB102_5:                              ;   in Loop: Header=BB102_6 Depth=1
	v_perm_b32 v0, v0, v75, s46
	v_perm_b32 v75, v77, v78, s46
	ds_write2_b32 v73, v0, v75 offset1:66
	v_perm_b32 v0, v79, v76, s46
	v_perm_b32 v75, v81, v82, s46
	ds_write2_b32 v73, v0, v75 offset0:132 offset1:198
	v_perm_b32 v0, v83, v80, s46
	v_perm_b32 v75, v85, v86, s46
	v_add_u32_e32 v76, 0x400, v73
	ds_write2_b32 v76, v0, v75 offset0:8 offset1:74
	v_perm_b32 v0, v87, v84, s46
	v_perm_b32 v75, v89, v90, s46
	ds_write2_b32 v76, v0, v75 offset0:140 offset1:206
	v_perm_b32 v0, v91, v88, s46
	v_perm_b32 v75, v93, v94, s46
	v_add_u32_e32 v76, 0x800, v73
	ds_write2_b32 v76, v0, v75 offset0:16 offset1:82
	v_perm_b32 v0, v95, v92, s46
	v_perm_b32 v75, v97, v98, s46
	ds_write2_b32 v76, v0, v75 offset0:148 offset1:214
	v_perm_b32 v0, v99, v96, s46
	v_add_u32_e32 v75, 0xc00, v73
	ds_write2_b32 v75, v0, v1 offset0:24 offset1:90
	ds_write2_b32 v75, v1, v1 offset0:156 offset1:222
	ds_read2_b64 v[76:79], v74 offset1:4
	s_waitcnt lgkmcnt(0)
	v_mfma_f32_16x16x16_f16 a[4:7], v[12:13], v[76:77], a[4:7]
	v_add_u32_e32 v72, 0x80, v72
	s_mov_b64 vcc, 0x200
	v_lshl_add_u64 v[4:5], v[4:5], 0, vcc
	v_mfma_f32_16x16x16_f16 a[0:3], v[38:39], v[76:77], a[0:3]
	v_cmp_le_i32_e32 vcc, s12, v72
	s_or_b64 s[4:5], vcc, s[4:5]
	v_mfma_f32_16x16x16_f16 a[8:11], v[52:53], v[76:77], a[8:11]
	v_mfma_f32_16x16x16_f16 a[12:15], v[68:69], v[76:77], a[12:15]
	;; [unrolled: 1-line block ×3, first 2 shown]
	ds_read2_b64 v[10:13], v74 offset0:8 offset1:12
	v_mfma_f32_16x16x16_f16 a[0:3], v[36:37], v[78:79], a[0:3]
	v_mfma_f32_16x16x16_f16 a[8:11], v[50:51], v[78:79], a[8:11]
	v_mfma_f32_16x16x16_f16 a[12:15], v[66:67], v[78:79], a[12:15]
	s_waitcnt lgkmcnt(0)
	v_mfma_f32_16x16x16_f16 a[4:7], v[8:9], v[10:11], a[4:7]
	v_mfma_f32_16x16x16_f16 a[0:3], v[32:33], v[10:11], a[0:3]
	;; [unrolled: 1-line block ×5, first 2 shown]
	ds_read2_b64 v[6:9], v74 offset0:16 offset1:20
	v_mfma_f32_16x16x16_f16 a[0:3], v[30:31], v[12:13], a[0:3]
	v_mfma_f32_16x16x16_f16 a[8:11], v[46:47], v[12:13], a[8:11]
	;; [unrolled: 1-line block ×3, first 2 shown]
	s_waitcnt lgkmcnt(0)
	v_mfma_f32_16x16x16_f16 a[4:7], v[20:21], v[6:7], a[4:7]
	v_mfma_f32_16x16x16_f16 a[0:3], v[28:29], v[6:7], a[0:3]
	;; [unrolled: 1-line block ×8, first 2 shown]
	ds_read2_b64 v[6:9], v74 offset0:24 offset1:28
	s_waitcnt lgkmcnt(0)
	v_mfma_f32_16x16x16_f16 a[4:7], v[16:17], v[6:7], a[4:7]
	v_mfma_f32_16x16x16_f16 a[0:3], v[24:25], v[6:7], a[0:3]
	;; [unrolled: 1-line block ×8, first 2 shown]
	s_andn2_b64 exec, exec, s[4:5]
	s_cbranch_execz .LBB102_45
.LBB102_6:                              ; =>This Inner Loop Header: Depth=1
	v_lshl_add_u64 v[6:7], v[4:5], 0, s[62:63]
	global_load_dword v0, v[4:5], off
	global_load_dword v22, v[6:7], off
	v_add_u32_e32 v6, s3, v72
	v_add_u32_e32 v10, s68, v72
	;; [unrolled: 1-line block ×4, first 2 shown]
	v_ashrrev_i32_e32 v7, 31, v6
	v_add_u32_e32 v8, s8, v72
	v_ashrrev_i32_e32 v11, 31, v10
	v_ashrrev_i32_e32 v13, 31, v12
	v_add_u32_e32 v14, s70, v72
	v_add_u32_e32 v16, s71, v72
	v_ashrrev_i32_e32 v19, 31, v18
	v_add_u32_e32 v20, s73, v72
	v_lshl_add_u64 v[6:7], v[6:7], 2, s[0:1]
	v_ashrrev_i32_e32 v9, 31, v8
	v_lshl_add_u64 v[10:11], v[10:11], 2, s[0:1]
	v_lshl_add_u64 v[12:13], v[12:13], 2, s[0:1]
	v_ashrrev_i32_e32 v15, 31, v14
	v_ashrrev_i32_e32 v17, 31, v16
	v_lshl_add_u64 v[18:19], v[18:19], 2, s[0:1]
	v_ashrrev_i32_e32 v21, 31, v20
	v_lshl_add_u64 v[8:9], v[8:9], 2, s[0:1]
	v_lshl_add_u64 v[14:15], v[14:15], 2, s[0:1]
	;; [unrolled: 1-line block ×4, first 2 shown]
	global_load_dword v23, v[6:7], off
	global_load_dword v24, v[8:9], off
	;; [unrolled: 1-line block ×6, first 2 shown]
	s_nop 0
	global_load_dword v18, v[18:19], off
	s_nop 0
	global_load_dword v19, v[20:21], off
	v_add_u32_e32 v6, s74, v72
	v_add_u32_e32 v10, s76, v72
	;; [unrolled: 1-line block ×3, first 2 shown]
	v_ashrrev_i32_e32 v7, 31, v6
	v_add_u32_e32 v8, s75, v72
	v_ashrrev_i32_e32 v11, 31, v10
	v_ashrrev_i32_e32 v13, 31, v12
	v_add_u32_e32 v14, s78, v72
	v_add_u32_e32 v16, s79, v72
	v_lshl_add_u64 v[6:7], v[6:7], 2, s[0:1]
	v_ashrrev_i32_e32 v9, 31, v8
	v_lshl_add_u64 v[10:11], v[10:11], 2, s[0:1]
	v_lshl_add_u64 v[12:13], v[12:13], 2, s[0:1]
	v_ashrrev_i32_e32 v15, 31, v14
	v_ashrrev_i32_e32 v17, 31, v16
	v_lshl_add_u64 v[8:9], v[8:9], 2, s[0:1]
	v_lshl_add_u64 v[14:15], v[14:15], 2, s[0:1]
	;; [unrolled: 1-line block ×3, first 2 shown]
	global_load_dword v20, v[6:7], off
	global_load_dword v21, v[8:9], off
	s_nop 0
	global_load_dword v10, v[10:11], off
	s_nop 0
	;; [unrolled: 2-line block ×3, first 2 shown]
	global_load_dword v12, v[14:15], off
	global_load_dword v13, v[16:17], off
	v_add_u32_e32 v6, s80, v72
	v_add_u32_e32 v8, s81, v72
	v_ashrrev_i32_e32 v7, 31, v6
	v_ashrrev_i32_e32 v9, 31, v8
	v_lshl_add_u64 v[6:7], v[6:7], 2, s[0:1]
	v_add_u32_e32 v14, s82, v72
	v_lshl_add_u64 v[8:9], v[8:9], 2, s[0:1]
	global_load_dword v30, v[6:7], off
	global_load_dword v31, v[8:9], off
	v_ashrrev_i32_e32 v15, 31, v14
	v_add_u32_e32 v16, s83, v72
	v_lshl_add_u64 v[14:15], v[14:15], 2, s[0:1]
	v_ashrrev_i32_e32 v17, 31, v16
	v_lshl_add_u64 v[16:17], v[16:17], 2, s[0:1]
	v_readlane_b32 vcc_lo, v102, 11
	v_readlane_b32 vcc_hi, v102, 12
	s_andn2_b64 vcc, exec, vcc
	s_waitcnt vmcnt(17)
	ds_write_b32 v73, v0
	s_waitcnt vmcnt(16)
	ds_write_b32 v73, v22 offset:264
	s_waitcnt vmcnt(15)
	ds_write_b32 v73, v23 offset:528
	;; [unrolled: 2-line block ×15, first 2 shown]
	v_add_u32_e32 v18, s84, v72
	v_add_u32_e32 v20, s64, v72
	;; [unrolled: 1-line block ×6, first 2 shown]
	v_ashrrev_i32_e32 v19, 31, v18
	v_ashrrev_i32_e32 v21, 31, v20
	;; [unrolled: 1-line block ×6, first 2 shown]
	ds_read_b64 v[12:13], v74
	ds_read_b64 v[10:11], v74 offset:32
	ds_read_b64 v[8:9], v74 offset:64
	;; [unrolled: 1-line block ×3, first 2 shown]
	v_lshl_add_u64 v[18:19], v[18:19], 2, s[0:1]
	v_lshl_add_u64 v[20:21], v[20:21], 2, s[0:1]
	v_lshl_add_u64 v[22:23], v[22:23], 2, s[0:1]
	v_lshl_add_u64 v[24:25], v[24:25], 2, s[0:1]
	v_lshl_add_u64 v[26:27], v[26:27], 2, s[0:1]
	v_lshl_add_u64 v[28:29], v[28:29], 2, s[0:1]
	global_load_dword v0, v[14:15], off
	global_load_dword v32, v[16:17], off
	global_load_dword v33, v[18:19], off
	global_load_dword v34, v[20:21], off
	global_load_dword v35, v[22:23], off
	global_load_dword v36, v[24:25], off
	global_load_dword v37, v[26:27], off
	global_load_dword v38, v[28:29], off
	v_add_u32_e32 v14, s87, v72
	v_ashrrev_i32_e32 v15, 31, v14
	v_add_u32_e32 v16, s88, v72
	v_add_u32_e32 v18, s89, v72
	v_add_u32_e32 v20, s90, v72
	v_add_u32_e32 v22, s91, v72
	v_add_u32_e32 v24, s92, v72
	v_add_u32_e32 v26, s85, v72
	v_add_u32_e32 v28, s93, v72
	v_lshl_add_u64 v[14:15], v[14:15], 2, s[0:1]
	v_ashrrev_i32_e32 v17, 31, v16
	v_ashrrev_i32_e32 v19, 31, v18
	v_ashrrev_i32_e32 v21, 31, v20
	v_ashrrev_i32_e32 v23, 31, v22
	v_ashrrev_i32_e32 v25, 31, v24
	v_ashrrev_i32_e32 v27, 31, v26
	v_ashrrev_i32_e32 v29, 31, v28
	v_lshl_add_u64 v[16:17], v[16:17], 2, s[0:1]
	v_lshl_add_u64 v[18:19], v[18:19], 2, s[0:1]
	v_lshl_add_u64 v[20:21], v[20:21], 2, s[0:1]
	v_lshl_add_u64 v[22:23], v[22:23], 2, s[0:1]
	v_lshl_add_u64 v[24:25], v[24:25], 2, s[0:1]
	v_lshl_add_u64 v[26:27], v[26:27], 2, s[0:1]
	v_lshl_add_u64 v[28:29], v[28:29], 2, s[0:1]
	global_load_dword v39, v[14:15], off
	global_load_dword v40, v[16:17], off
	global_load_dword v41, v[18:19], off
	global_load_dword v42, v[20:21], off
	global_load_dword v43, v[22:23], off
	global_load_dword v44, v[24:25], off
	global_load_dword v45, v[26:27], off
	global_load_dword v46, v[28:29], off
	v_add_u32_e32 v14, s94, v72
	v_ashrrev_i32_e32 v15, 31, v14
	v_add_u32_e32 v16, s95, v72
	v_add_u32_e32 v18, s96, v72
	v_add_u32_e32 v20, s97, v72
	v_add_u32_e32 v22, s98, v72
	v_add_u32_e32 v24, s99, v72
	v_add_u32_e32 v26, s24, v72
	v_add_u32_e32 v28, s25, v72
	v_lshl_add_u64 v[14:15], v[14:15], 2, s[0:1]
	v_ashrrev_i32_e32 v17, 31, v16
	v_ashrrev_i32_e32 v19, 31, v18
	v_ashrrev_i32_e32 v21, 31, v20
	v_ashrrev_i32_e32 v23, 31, v22
	v_ashrrev_i32_e32 v25, 31, v24
	v_ashrrev_i32_e32 v27, 31, v26
	v_ashrrev_i32_e32 v29, 31, v28
	v_lshl_add_u64 v[16:17], v[16:17], 2, s[0:1]
	;; [unrolled: 32-line block ×4, first 2 shown]
	v_lshl_add_u64 v[18:19], v[18:19], 2, s[0:1]
	v_lshl_add_u64 v[20:21], v[20:21], 2, s[0:1]
	;; [unrolled: 1-line block ×6, first 2 shown]
	global_load_dword v63, v[14:15], off
	global_load_dword v64, v[16:17], off
	;; [unrolled: 1-line block ×8, first 2 shown]
	v_add_u32_e32 v14, s41, v72
	v_ashrrev_i32_e32 v15, 31, v14
	v_add_u32_e32 v16, s42, v72
	v_add_u32_e32 v18, s43, v72
	;; [unrolled: 1-line block ×5, first 2 shown]
	v_lshl_add_u64 v[14:15], v[14:15], 2, s[0:1]
	v_ashrrev_i32_e32 v17, 31, v16
	v_ashrrev_i32_e32 v19, 31, v18
	;; [unrolled: 1-line block ×5, first 2 shown]
	v_lshl_add_u64 v[16:17], v[16:17], 2, s[0:1]
	v_lshl_add_u64 v[18:19], v[18:19], 2, s[0:1]
	;; [unrolled: 1-line block ×5, first 2 shown]
	global_load_dword v76, v[14:15], off
	global_load_dword v77, v[16:17], off
	;; [unrolled: 1-line block ×6, first 2 shown]
	ds_read_b64 v[20:21], v74 offset:128
	ds_read_b64 v[18:19], v74 offset:160
	ds_read_b64 v[16:17], v74 offset:192
	ds_read_b64 v[14:15], v74 offset:224
	s_waitcnt vmcnt(47)
	ds_write_b32 v73, v30
	s_waitcnt vmcnt(46)
	ds_write_b32 v73, v31 offset:264
	s_waitcnt vmcnt(45)
	ds_write_b32 v73, v0 offset:528
	s_waitcnt vmcnt(44)
	ds_write_b32 v73, v32 offset:792
	s_waitcnt vmcnt(43)
	ds_write_b32 v73, v33 offset:1056
	s_waitcnt vmcnt(42)
	ds_write_b32 v73, v34 offset:1320
	s_waitcnt vmcnt(41)
	ds_write_b32 v73, v35 offset:1584
	s_waitcnt vmcnt(40)
	ds_write_b32 v73, v36 offset:1848
	s_waitcnt vmcnt(39)
	ds_write_b32 v73, v37 offset:2112
	s_waitcnt vmcnt(38)
	ds_write_b32 v73, v38 offset:2376
	s_waitcnt vmcnt(37)
	ds_write_b32 v73, v39 offset:2640
	s_waitcnt vmcnt(36)
	ds_write_b32 v73, v40 offset:2904
	s_waitcnt vmcnt(35)
	ds_write_b32 v73, v41 offset:3168
	s_waitcnt vmcnt(34)
	ds_write_b32 v73, v42 offset:3432
	s_waitcnt vmcnt(33)
	ds_write_b32 v73, v43 offset:3696
	s_waitcnt vmcnt(32)
	ds_write_b32 v73, v44 offset:3960
	ds_read_b64 v[38:39], v74
	ds_read_b64 v[36:37], v74 offset:32
	ds_read_b64 v[32:33], v74 offset:64
	ds_read_b64 v[30:31], v74 offset:96
	ds_read_b64 v[28:29], v74 offset:128
	ds_read_b64 v[26:27], v74 offset:160
	ds_read_b64 v[24:25], v74 offset:192
	ds_read_b64 v[22:23], v74 offset:224
	s_waitcnt vmcnt(31)
	ds_write_b32 v73, v45
	s_waitcnt vmcnt(30)
	ds_write_b32 v73, v46 offset:264
	s_waitcnt vmcnt(29)
	ds_write_b32 v73, v47 offset:528
	s_waitcnt vmcnt(28)
	ds_write_b32 v73, v48 offset:792
	s_waitcnt vmcnt(27)
	ds_write_b32 v73, v49 offset:1056
	s_waitcnt vmcnt(26)
	ds_write_b32 v73, v50 offset:1320
	s_waitcnt vmcnt(25)
	ds_write_b32 v73, v51 offset:1584
	s_waitcnt vmcnt(24)
	ds_write_b32 v73, v52 offset:1848
	s_waitcnt vmcnt(23)
	ds_write_b32 v73, v53 offset:2112
	s_waitcnt vmcnt(22)
	ds_write_b32 v73, v54 offset:2376
	s_waitcnt vmcnt(21)
	ds_write_b32 v73, v55 offset:2640
	s_waitcnt vmcnt(20)
	ds_write_b32 v73, v56 offset:2904
	s_waitcnt vmcnt(19)
	ds_write_b32 v73, v57 offset:3168
	s_waitcnt vmcnt(18)
	ds_write_b32 v73, v58 offset:3432
	s_waitcnt vmcnt(17)
	ds_write_b32 v73, v59 offset:3696
	s_waitcnt vmcnt(16)
	ds_write_b32 v73, v60 offset:3960
	ds_read_b64 v[52:53], v74
	ds_read_b64 v[50:51], v74 offset:32
	ds_read_b64 v[48:49], v74 offset:64
	ds_read_b64 v[46:47], v74 offset:96
	;; [unrolled: 40-line block ×3, first 2 shown]
	ds_read_b64 v[64:65], v74 offset:128
	ds_read_b64 v[60:61], v74 offset:160
	;; [unrolled: 1-line block ×4, first 2 shown]
	v_mov_b32_e32 v75, 0
	v_mov_b32_e32 v0, 0
	s_cbranch_vccnz .LBB102_9
; %bb.7:                                ;   in Loop: Header=BB102_6 Depth=1
	s_load_dword s47, s[36:37], 0x0
	v_mov_b32_e32 v0, 0
	v_mov_b32_e32 v75, 0
	s_waitcnt lgkmcnt(0)
	s_mul_hi_u32 vcc_lo, s47, s16
	s_add_i32 vcc_lo, s47, vcc_lo
	s_lshr_b32 vcc_lo, vcc_lo, s17
	s_cmp_ge_i32 vcc_lo, s13
	s_cbranch_scc1 .LBB102_9
; %bb.8:                                ;   in Loop: Header=BB102_6 Depth=1
	s_mul_i32 vcc_hi, vcc_lo, s18
	s_sub_i32 s47, s47, vcc_hi
	s_mul_i32 vcc_lo, vcc_lo, s20
	s_mul_i32 s47, s47, s9
	v_add_u32_e32 v0, vcc_lo, v72
	v_lshl_add_u32 v76, v0, 1, s47
	v_ashrrev_i32_e32 v77, 31, v76
	v_lshl_add_u64 v[76:77], v[76:77], 2, s[6:7]
	global_load_dwordx2 v[76:77], v[76:77], off
	s_waitcnt vmcnt(0)
	v_cvt_f16_f32_e32 v75, v76
	v_cvt_f16_f32_e32 v0, v77
.LBB102_9:                              ;   in Loop: Header=BB102_6 Depth=1
	v_readlane_b32 vcc_lo, v102, 13
	v_readlane_b32 vcc_hi, v102, 14
	v_mov_b32_e32 v76, 0
	s_andn2_b64 vcc, exec, vcc
	v_mov_b32_e32 v78, 0
	v_mov_b32_e32 v77, 0
	s_cbranch_vccnz .LBB102_12
; %bb.10:                               ;   in Loop: Header=BB102_6 Depth=1
	s_load_dword s47, s[36:37], 0x4
	v_mov_b32_e32 v77, 0
	v_mov_b32_e32 v78, 0
	s_waitcnt lgkmcnt(0)
	s_mul_hi_u32 vcc_lo, s47, s16
	s_add_i32 vcc_lo, s47, vcc_lo
	s_lshr_b32 vcc_lo, vcc_lo, s17
	s_cmp_ge_i32 vcc_lo, s13
	s_cbranch_scc1 .LBB102_12
; %bb.11:                               ;   in Loop: Header=BB102_6 Depth=1
	s_mul_i32 vcc_hi, vcc_lo, s18
	s_sub_i32 s47, s47, vcc_hi
	s_mul_i32 vcc_lo, vcc_lo, s20
	s_mul_i32 s47, s47, s9
	v_add_u32_e32 v77, vcc_lo, v72
	v_lshl_add_u32 v78, v77, 1, s47
	v_ashrrev_i32_e32 v79, 31, v78
	v_lshl_add_u64 v[78:79], v[78:79], 2, s[6:7]
	global_load_dwordx2 v[78:79], v[78:79], off
	s_waitcnt vmcnt(0)
	v_cvt_f16_f32_e32 v78, v78
	v_cvt_f16_f32_e32 v77, v79
.LBB102_12:                             ;   in Loop: Header=BB102_6 Depth=1
	v_readlane_b32 vcc_lo, v102, 15
	v_readlane_b32 vcc_hi, v102, 16
	s_andn2_b64 vcc, exec, vcc
	v_mov_b32_e32 v79, 0
	s_cbranch_vccnz .LBB102_15
; %bb.13:                               ;   in Loop: Header=BB102_6 Depth=1
	s_load_dword s47, s[36:37], 0x8
	v_mov_b32_e32 v79, 0
	v_mov_b32_e32 v76, 0
	s_waitcnt lgkmcnt(0)
	s_mul_hi_u32 vcc_lo, s47, s16
	s_add_i32 vcc_lo, s47, vcc_lo
	s_lshr_b32 vcc_lo, vcc_lo, s17
	s_cmp_ge_i32 vcc_lo, s13
	s_cbranch_scc1 .LBB102_15
; %bb.14:                               ;   in Loop: Header=BB102_6 Depth=1
	s_mul_i32 vcc_hi, vcc_lo, s18
	s_sub_i32 s47, s47, vcc_hi
	s_mul_i32 vcc_lo, vcc_lo, s20
	s_mul_i32 s47, s47, s9
	v_add_u32_e32 v76, vcc_lo, v72
	v_lshl_add_u32 v80, v76, 1, s47
	v_ashrrev_i32_e32 v81, 31, v80
	v_lshl_add_u64 v[80:81], v[80:81], 2, s[6:7]
	global_load_dwordx2 v[80:81], v[80:81], off
	s_waitcnt vmcnt(0)
	v_cvt_f16_f32_e32 v76, v80
	v_cvt_f16_f32_e32 v79, v81
.LBB102_15:                             ;   in Loop: Header=BB102_6 Depth=1
	v_readlane_b32 vcc_lo, v102, 17
	v_readlane_b32 vcc_hi, v102, 18
	v_mov_b32_e32 v80, 0
	s_andn2_b64 vcc, exec, vcc
	v_mov_b32_e32 v82, 0
	v_mov_b32_e32 v81, 0
	s_cbranch_vccnz .LBB102_18
; %bb.16:                               ;   in Loop: Header=BB102_6 Depth=1
	s_load_dword s47, s[36:37], 0xc
	v_mov_b32_e32 v81, 0
	v_mov_b32_e32 v82, 0
	s_waitcnt lgkmcnt(0)
	s_mul_hi_u32 vcc_lo, s47, s16
	s_add_i32 vcc_lo, s47, vcc_lo
	s_lshr_b32 vcc_lo, vcc_lo, s17
	s_cmp_ge_i32 vcc_lo, s13
	s_cbranch_scc1 .LBB102_18
; %bb.17:                               ;   in Loop: Header=BB102_6 Depth=1
	s_mul_i32 vcc_hi, vcc_lo, s18
	s_sub_i32 s47, s47, vcc_hi
	s_mul_i32 vcc_lo, vcc_lo, s20
	s_mul_i32 s47, s47, s9
	v_add_u32_e32 v81, vcc_lo, v72
	v_lshl_add_u32 v82, v81, 1, s47
	v_ashrrev_i32_e32 v83, 31, v82
	v_lshl_add_u64 v[82:83], v[82:83], 2, s[6:7]
	global_load_dwordx2 v[82:83], v[82:83], off
	s_waitcnt vmcnt(0)
	v_cvt_f16_f32_e32 v82, v82
	v_cvt_f16_f32_e32 v81, v83
.LBB102_18:                             ;   in Loop: Header=BB102_6 Depth=1
	v_readlane_b32 vcc_lo, v102, 19
	v_readlane_b32 vcc_hi, v102, 20
	s_andn2_b64 vcc, exec, vcc
	v_mov_b32_e32 v83, 0
	s_cbranch_vccnz .LBB102_21
; %bb.19:                               ;   in Loop: Header=BB102_6 Depth=1
	s_load_dword s47, s[36:37], 0x10
	v_mov_b32_e32 v83, 0
	v_mov_b32_e32 v80, 0
	s_waitcnt lgkmcnt(0)
	s_mul_hi_u32 vcc_lo, s47, s16
	s_add_i32 vcc_lo, s47, vcc_lo
	s_lshr_b32 vcc_lo, vcc_lo, s17
	s_cmp_ge_i32 vcc_lo, s13
	s_cbranch_scc1 .LBB102_21
; %bb.20:                               ;   in Loop: Header=BB102_6 Depth=1
	s_mul_i32 vcc_hi, vcc_lo, s18
	s_sub_i32 s47, s47, vcc_hi
	s_mul_i32 vcc_lo, vcc_lo, s20
	s_mul_i32 s47, s47, s9
	v_add_u32_e32 v80, vcc_lo, v72
	v_lshl_add_u32 v84, v80, 1, s47
	v_ashrrev_i32_e32 v85, 31, v84
	v_lshl_add_u64 v[84:85], v[84:85], 2, s[6:7]
	global_load_dwordx2 v[84:85], v[84:85], off
	s_waitcnt vmcnt(0)
	v_cvt_f16_f32_e32 v80, v84
	v_cvt_f16_f32_e32 v83, v85
.LBB102_21:                             ;   in Loop: Header=BB102_6 Depth=1
	v_readlane_b32 vcc_lo, v102, 21
	v_readlane_b32 vcc_hi, v102, 22
	v_mov_b32_e32 v84, 0
	s_andn2_b64 vcc, exec, vcc
	v_mov_b32_e32 v86, 0
	v_mov_b32_e32 v85, 0
	s_cbranch_vccnz .LBB102_24
; %bb.22:                               ;   in Loop: Header=BB102_6 Depth=1
	s_load_dword s47, s[36:37], 0x14
	v_mov_b32_e32 v85, 0
	v_mov_b32_e32 v86, 0
	s_waitcnt lgkmcnt(0)
	s_mul_hi_u32 vcc_lo, s47, s16
	s_add_i32 vcc_lo, s47, vcc_lo
	s_lshr_b32 vcc_lo, vcc_lo, s17
	s_cmp_ge_i32 vcc_lo, s13
	s_cbranch_scc1 .LBB102_24
; %bb.23:                               ;   in Loop: Header=BB102_6 Depth=1
	s_mul_i32 vcc_hi, vcc_lo, s18
	s_sub_i32 s47, s47, vcc_hi
	s_mul_i32 vcc_lo, vcc_lo, s20
	s_mul_i32 s47, s47, s9
	v_add_u32_e32 v85, vcc_lo, v72
	v_lshl_add_u32 v86, v85, 1, s47
	v_ashrrev_i32_e32 v87, 31, v86
	v_lshl_add_u64 v[86:87], v[86:87], 2, s[6:7]
	global_load_dwordx2 v[86:87], v[86:87], off
	s_waitcnt vmcnt(0)
	v_cvt_f16_f32_e32 v86, v86
	v_cvt_f16_f32_e32 v85, v87
.LBB102_24:                             ;   in Loop: Header=BB102_6 Depth=1
	s_andn2_b64 vcc, exec, s[48:49]
	v_mov_b32_e32 v87, 0
	s_cbranch_vccnz .LBB102_27
; %bb.25:                               ;   in Loop: Header=BB102_6 Depth=1
	s_load_dword s47, s[36:37], 0x18
	v_mov_b32_e32 v87, 0
	v_mov_b32_e32 v84, 0
	s_waitcnt lgkmcnt(0)
	s_mul_hi_u32 vcc_lo, s47, s16
	s_add_i32 vcc_lo, s47, vcc_lo
	s_lshr_b32 vcc_lo, vcc_lo, s17
	s_cmp_ge_i32 vcc_lo, s13
	s_cbranch_scc1 .LBB102_27
; %bb.26:                               ;   in Loop: Header=BB102_6 Depth=1
	s_mul_i32 vcc_hi, vcc_lo, s18
	s_sub_i32 s47, s47, vcc_hi
	s_mul_i32 vcc_lo, vcc_lo, s20
	s_mul_i32 s47, s47, s9
	v_add_u32_e32 v84, vcc_lo, v72
	v_lshl_add_u32 v88, v84, 1, s47
	v_ashrrev_i32_e32 v89, 31, v88
	v_lshl_add_u64 v[88:89], v[88:89], 2, s[6:7]
	global_load_dwordx2 v[88:89], v[88:89], off
	s_waitcnt vmcnt(0)
	v_cvt_f16_f32_e32 v84, v88
	v_cvt_f16_f32_e32 v87, v89
.LBB102_27:                             ;   in Loop: Header=BB102_6 Depth=1
	v_mov_b32_e32 v88, 0
	s_andn2_b64 vcc, exec, s[50:51]
	v_mov_b32_e32 v90, 0
	v_mov_b32_e32 v89, 0
	s_cbranch_vccnz .LBB102_30
; %bb.28:                               ;   in Loop: Header=BB102_6 Depth=1
	s_load_dword s47, s[36:37], 0x1c
	v_mov_b32_e32 v89, 0
	v_mov_b32_e32 v90, 0
	s_waitcnt lgkmcnt(0)
	s_mul_hi_u32 vcc_lo, s47, s16
	s_add_i32 vcc_lo, s47, vcc_lo
	s_lshr_b32 vcc_lo, vcc_lo, s17
	s_cmp_ge_i32 vcc_lo, s13
	s_cbranch_scc1 .LBB102_30
; %bb.29:                               ;   in Loop: Header=BB102_6 Depth=1
	s_mul_i32 vcc_hi, vcc_lo, s18
	s_sub_i32 s47, s47, vcc_hi
	s_mul_i32 vcc_lo, vcc_lo, s20
	s_mul_i32 s47, s47, s9
	v_add_u32_e32 v89, vcc_lo, v72
	v_lshl_add_u32 v90, v89, 1, s47
	v_ashrrev_i32_e32 v91, 31, v90
	v_lshl_add_u64 v[90:91], v[90:91], 2, s[6:7]
	global_load_dwordx2 v[90:91], v[90:91], off
	s_waitcnt vmcnt(0)
	v_cvt_f16_f32_e32 v90, v90
	v_cvt_f16_f32_e32 v89, v91
.LBB102_30:                             ;   in Loop: Header=BB102_6 Depth=1
	s_andn2_b64 vcc, exec, s[52:53]
	v_mov_b32_e32 v91, 0
	s_cbranch_vccnz .LBB102_33
; %bb.31:                               ;   in Loop: Header=BB102_6 Depth=1
	s_load_dword s47, s[36:37], 0x20
	v_mov_b32_e32 v91, 0
	v_mov_b32_e32 v88, 0
	s_waitcnt lgkmcnt(0)
	s_mul_hi_u32 vcc_lo, s47, s16
	s_add_i32 vcc_lo, s47, vcc_lo
	s_lshr_b32 vcc_lo, vcc_lo, s17
	s_cmp_ge_i32 vcc_lo, s13
	s_cbranch_scc1 .LBB102_33
; %bb.32:                               ;   in Loop: Header=BB102_6 Depth=1
	s_mul_i32 vcc_hi, vcc_lo, s18
	s_sub_i32 s47, s47, vcc_hi
	s_mul_i32 vcc_lo, vcc_lo, s20
	s_mul_i32 s47, s47, s9
	v_add_u32_e32 v88, vcc_lo, v72
	v_lshl_add_u32 v92, v88, 1, s47
	v_ashrrev_i32_e32 v93, 31, v92
	v_lshl_add_u64 v[92:93], v[92:93], 2, s[6:7]
	global_load_dwordx2 v[92:93], v[92:93], off
	s_waitcnt vmcnt(0)
	v_cvt_f16_f32_e32 v88, v92
	v_cvt_f16_f32_e32 v91, v93
.LBB102_33:                             ;   in Loop: Header=BB102_6 Depth=1
	v_mov_b32_e32 v92, 0
	s_andn2_b64 vcc, exec, s[54:55]
	;; [unrolled: 56-line block ×3, first 2 shown]
	v_mov_b32_e32 v98, 0
	v_mov_b32_e32 v97, 0
	s_cbranch_vccnz .LBB102_42
; %bb.40:                               ;   in Loop: Header=BB102_6 Depth=1
	s_load_dword s47, s[36:37], 0x2c
	v_mov_b32_e32 v97, 0
	v_mov_b32_e32 v98, 0
	s_waitcnt lgkmcnt(0)
	s_mul_hi_u32 vcc_lo, s47, s16
	s_add_i32 vcc_lo, s47, vcc_lo
	s_lshr_b32 vcc_lo, vcc_lo, s17
	s_cmp_ge_i32 vcc_lo, s13
	s_cbranch_scc1 .LBB102_42
; %bb.41:                               ;   in Loop: Header=BB102_6 Depth=1
	s_mul_i32 vcc_hi, vcc_lo, s18
	s_sub_i32 s47, s47, vcc_hi
	s_mul_i32 vcc_lo, vcc_lo, s20
	s_mul_i32 s47, s47, s9
	v_add_u32_e32 v97, vcc_lo, v72
	v_lshl_add_u32 v98, v97, 1, s47
	v_ashrrev_i32_e32 v99, 31, v98
	v_lshl_add_u64 v[98:99], v[98:99], 2, s[6:7]
	global_load_dwordx2 v[98:99], v[98:99], off
	s_waitcnt vmcnt(0)
	v_cvt_f16_f32_e32 v98, v98
	v_cvt_f16_f32_e32 v97, v99
.LBB102_42:                             ;   in Loop: Header=BB102_6 Depth=1
	s_andn2_b64 vcc, exec, s[60:61]
	v_mov_b32_e32 v99, 0
	s_cbranch_vccnz .LBB102_5
; %bb.43:                               ;   in Loop: Header=BB102_6 Depth=1
	s_load_dword s47, s[36:37], 0x30
	v_mov_b32_e32 v99, 0
	v_mov_b32_e32 v96, 0
	s_waitcnt lgkmcnt(0)
	s_mul_hi_u32 vcc_lo, s47, s16
	s_add_i32 vcc_lo, s47, vcc_lo
	s_lshr_b32 vcc_lo, vcc_lo, s17
	s_cmp_ge_i32 vcc_lo, s13
	s_cbranch_scc1 .LBB102_5
; %bb.44:                               ;   in Loop: Header=BB102_6 Depth=1
	s_mul_i32 vcc_hi, vcc_lo, s18
	s_sub_i32 s47, s47, vcc_hi
	s_mul_i32 vcc_lo, vcc_lo, s20
	s_mul_i32 s47, s47, s9
	v_add_u32_e32 v96, vcc_lo, v72
	v_lshl_add_u32 v100, v96, 1, s47
	v_ashrrev_i32_e32 v101, 31, v100
	v_lshl_add_u64 v[100:101], v[100:101], 2, s[6:7]
	global_load_dwordx2 v[100:101], v[100:101], off
	s_waitcnt vmcnt(0)
	v_cvt_f16_f32_e32 v96, v100
	v_cvt_f16_f32_e32 v99, v101
	s_branch .LBB102_5
.LBB102_45:
	s_or_b64 exec, exec, s[4:5]
	v_readlane_b32 s24, v102, 6
	v_readlane_b32 s30, v102, 9
	v_readlane_b32 s22, v102, 4
	v_readlane_b32 s36, v102, 2
	v_readlane_b32 s25, v102, 7
	v_readlane_b32 s26, v102, 25
	v_readlane_b32 s28, v102, 23
	v_readlane_b32 s31, v102, 10
	v_readlane_b32 s11, v102, 8
	v_readlane_b32 s23, v102, 5
	v_readlane_b32 s37, v102, 3
	v_readlane_b32 s29, v102, 24
.LBB102_46:
	s_or_b64 exec, exec, s[36:37]
	v_lshl_add_u32 v0, v70, 2, 0
	v_mul_u32_u24_e32 v1, 0x208, v71
	v_and_b32_e32 v4, 0x3f0, v3
	v_add3_u32 v0, v0, v1, v4
	v_accvgpr_read_b32 v1, a5
	v_accvgpr_read_b32 v4, a4
	s_barrier
	ds_write2_b32 v0, v4, v1 offset1:1
	v_accvgpr_read_b32 v1, a7
	v_accvgpr_read_b32 v4, a6
	ds_write2_b32 v0, v4, v1 offset0:2 offset1:3
	v_accvgpr_read_b32 v1, a1
	v_accvgpr_read_b32 v4, a0
	ds_write2_b32 v0, v4, v1 offset0:16 offset1:17
	;; [unrolled: 3-line block ×3, first 2 shown]
	v_accvgpr_read_b32 v1, a9
	v_accvgpr_read_b32 v4, a8
	s_lshl_b64 s[0:1], s[30:31], 2
	ds_write2_b32 v0, v4, v1 offset0:32 offset1:33
	v_accvgpr_read_b32 v1, a11
	v_accvgpr_read_b32 v4, a10
	s_add_u32 s4, s22, s0
	ds_write2_b32 v0, v4, v1 offset0:34 offset1:35
	v_accvgpr_read_b32 v1, a13
	v_accvgpr_read_b32 v4, a12
	s_addc_u32 s5, s23, s1
	ds_write2_b32 v0, v4, v1 offset0:48 offset1:49
	v_accvgpr_read_b32 v1, a15
	v_accvgpr_read_b32 v4, a14
	ds_write2_b32 v0, v4, v1 offset0:50 offset1:51
	s_cmp_gt_i32 s14, 0
	v_add_u32_e32 v0, s28, v2
	s_cselect_b64 s[6:7], -1, 0
	v_cmp_gt_i32_e64 s[0:1], s26, v0
	v_cmp_gt_u32_e32 vcc, 13, v2
	s_and_b64 s[0:1], s[6:7], s[0:1]
	v_lshl_add_u32 v5, v3, 2, 0
	v_add_u32_e32 v4, s11, v3
	v_mul_u32_u24_e32 v6, 0x208, v2
	s_and_b64 s[2:3], vcc, s[0:1]
	s_waitcnt lgkmcnt(0)
	s_barrier
	s_and_saveexec_b64 s[0:1], s[2:3]
	v_readlane_b32 s8, v102, 0
	v_readlane_b32 s9, v102, 1
	s_cbranch_execz .LBB102_49
; %bb.47:
	v_ashrrev_i32_e32 v1, 31, v0
	v_lshl_add_u64 v[8:9], v[0:1], 2, s[4:5]
	global_load_dword v1, v[8:9], off
	s_waitcnt vmcnt(0)
	v_mul_hi_u32 v3, v1, s19
	v_add_u32_e32 v3, v1, v3
	v_lshrrev_b32_e32 v3, s24, v3
	v_cmp_gt_i32_e32 vcc, s13, v3
	s_and_b64 exec, exec, vcc
	s_cbranch_execz .LBB102_49
; %bb.48:
	v_add_u32_e32 v7, v5, v6
	ds_read2st64_b32 v[8:9], v7 offset1:1
	v_mul_lo_u32 v7, v3, s25
	v_sub_u32_e32 v1, v1, v7
	v_mul_lo_u32 v3, v3, s21
	v_mul_lo_u32 v1, v1, s10
	s_waitcnt lgkmcnt(0)
	v_add_f32_e32 v7, 0, v8
	v_add_f32_e32 v7, v7, v9
	v_add3_u32 v8, v4, v3, v1
	v_mov_b32_e32 v9, 0
	v_lshl_add_u64 v[8:9], v[8:9], 2, s[8:9]
	global_store_dword v[8:9], v7, off
.LBB102_49:
	s_or_b64 exec, exec, s[0:1]
	v_add_u32_e32 v1, 2, v0
	v_cmp_gt_i32_e64 s[0:1], s26, v1
	v_cmp_gt_u32_e32 vcc, 11, v2
	s_and_b64 s[0:1], s[6:7], s[0:1]
	s_and_b64 s[2:3], vcc, s[0:1]
	s_and_saveexec_b64 s[0:1], s[2:3]
	s_cbranch_execz .LBB102_52
; %bb.50:
	s_ashr_i32 s29, s28, 31
	v_mov_b32_e32 v3, 0
	v_lshl_add_u64 v[8:9], v[2:3], 0, s[28:29]
	v_lshl_add_u64 v[8:9], v[8:9], 2, s[4:5]
	global_load_dword v1, v[8:9], off offset:8
	s_waitcnt vmcnt(0)
	v_mul_hi_u32 v7, v1, s19
	v_add_u32_e32 v7, v1, v7
	v_lshrrev_b32_e32 v7, s24, v7
	v_cmp_gt_i32_e32 vcc, s13, v7
	s_and_b64 exec, exec, vcc
	s_cbranch_execz .LBB102_52
; %bb.51:
	v_add_u32_e32 v8, v6, v5
	v_add_u32_e32 v8, 16, v8
	ds_read2st64_b32 v[8:9], v8 offset0:4 offset1:5
	v_mul_lo_u32 v10, v7, s25
	v_sub_u32_e32 v1, v1, v10
	v_mul_lo_u32 v7, v7, s21
	v_mul_lo_u32 v1, v1, s10
	s_waitcnt lgkmcnt(0)
	v_add_f32_e32 v8, 0, v8
	v_add_f32_e32 v10, v8, v9
	v_add3_u32 v8, v4, v7, v1
	v_mov_b32_e32 v9, v3
	v_lshl_add_u64 v[8:9], v[8:9], 2, s[8:9]
	global_store_dword v[8:9], v10, off
.LBB102_52:
	s_or_b64 exec, exec, s[0:1]
	v_add_u32_e32 v1, 4, v0
	v_cmp_gt_i32_e64 s[0:1], s26, v1
	v_cmp_gt_u32_e32 vcc, 9, v2
	s_and_b64 s[0:1], s[6:7], s[0:1]
	s_and_b64 s[2:3], vcc, s[0:1]
	s_and_saveexec_b64 s[0:1], s[2:3]
	s_cbranch_execz .LBB102_55
; %bb.53:
	s_ashr_i32 s29, s28, 31
	v_mov_b32_e32 v3, 0
	v_lshl_add_u64 v[8:9], v[2:3], 0, s[28:29]
	v_lshl_add_u64 v[8:9], v[8:9], 2, s[4:5]
	global_load_dword v1, v[8:9], off offset:16
	s_waitcnt vmcnt(0)
	v_mul_hi_u32 v7, v1, s19
	v_add_u32_e32 v7, v1, v7
	v_lshrrev_b32_e32 v7, s24, v7
	v_cmp_gt_i32_e32 vcc, s13, v7
	s_and_b64 exec, exec, vcc
	s_cbranch_execz .LBB102_55
; %bb.54:
	v_add_u32_e32 v8, v5, v6
	v_add_u32_e32 v8, 32, v8
	ds_read2st64_b32 v[8:9], v8 offset0:8 offset1:9
	v_mul_lo_u32 v10, v7, s25
	v_sub_u32_e32 v1, v1, v10
	v_mul_lo_u32 v7, v7, s21
	v_mul_lo_u32 v1, v1, s10
	s_waitcnt lgkmcnt(0)
	v_add_f32_e32 v8, 0, v8
	v_add_f32_e32 v10, v8, v9
	v_add3_u32 v8, v4, v7, v1
	v_mov_b32_e32 v9, v3
	v_lshl_add_u64 v[8:9], v[8:9], 2, s[8:9]
	global_store_dword v[8:9], v10, off
.LBB102_55:
	;; [unrolled: 37-line block ×4, first 2 shown]
	s_or_b64 exec, exec, s[0:1]
	v_add_u32_e32 v0, 10, v0
	v_cmp_gt_i32_e64 s[0:1], s26, v0
	v_cmp_gt_u32_e32 vcc, 3, v2
	s_and_b64 s[0:1], s[6:7], s[0:1]
	s_and_b64 s[2:3], vcc, s[0:1]
	s_and_saveexec_b64 s[0:1], s[2:3]
	s_cbranch_execz .LBB102_64
; %bb.62:
	s_ashr_i32 s29, s28, 31
	v_mov_b32_e32 v3, 0
	v_lshl_add_u64 v[0:1], v[2:3], 0, s[28:29]
	v_lshl_add_u64 v[0:1], v[0:1], 2, s[4:5]
	global_load_dword v0, v[0:1], off offset:40
	s_waitcnt vmcnt(0)
	v_mul_hi_u32 v1, v0, s19
	v_add_u32_e32 v1, v0, v1
	v_lshrrev_b32_e32 v1, s24, v1
	v_cmp_gt_i32_e32 vcc, s13, v1
	s_and_b64 exec, exec, vcc
	s_cbranch_execz .LBB102_64
; %bb.63:
	v_add_u32_e32 v6, v5, v6
	v_add_u32_e32 v6, 0x50, v6
	ds_read2st64_b32 v[6:7], v6 offset0:20 offset1:21
	v_mul_lo_u32 v8, v1, s25
	v_sub_u32_e32 v0, v0, v8
	v_mul_lo_u32 v1, v1, s21
	v_mul_lo_u32 v0, v0, s10
	s_waitcnt lgkmcnt(0)
	v_add_f32_e32 v6, 0, v6
	v_add3_u32 v0, v4, v1, v0
	v_mov_b32_e32 v1, v3
	v_add_f32_e32 v6, v6, v7
	v_lshl_add_u64 v[0:1], v[0:1], 2, s[8:9]
	global_store_dword v[0:1], v6, off
.LBB102_64:
	s_or_b64 exec, exec, s[0:1]
	v_cmp_eq_u32_e32 vcc, 0, v2
	s_and_saveexec_b64 s[0:1], vcc
	s_cbranch_execz .LBB102_68
; %bb.65:
	s_add_i32 s0, s28, 12
	s_cmp_ge_i32 s0, s26
	s_cselect_b64 s[0:1], -1, 0
	s_xor_b64 s[2:3], s[6:7], -1
	s_or_b64 s[0:1], s[2:3], s[0:1]
	s_and_b64 vcc, exec, s[0:1]
	s_cbranch_vccnz .LBB102_68
; %bb.66:
	s_ashr_i32 s29, s28, 31
	s_lshl_b64 s[0:1], s[28:29], 2
	s_add_u32 s0, s4, s0
	s_addc_u32 s1, s5, s1
	s_load_dword s0, s[0:1], 0x30
	s_waitcnt lgkmcnt(0)
	s_mul_hi_u32 s1, s0, s19
	s_add_i32 s1, s0, s1
	s_lshr_b32 s1, s1, s24
	s_cmp_ge_i32 s1, s13
	s_cbranch_scc1 .LBB102_68
; %bb.67:
	v_add_u32_e32 v0, 0x60, v5
	ds_read2st64_b32 v[0:1], v0 offset0:24 offset1:25
	s_mul_i32 s2, s1, s25
	s_sub_i32 s0, s0, s2
	s_mul_i32 s1, s1, s21
	s_mul_i32 s0, s0, s10
	s_waitcnt lgkmcnt(0)
	v_add_f32_e32 v0, 0, v0
	s_add_i32 s0, s0, s1
	v_add_f32_e32 v2, v0, v1
	v_add_u32_e32 v0, s0, v4
	v_mov_b32_e32 v1, 0
	v_lshl_add_u64 v[0:1], v[0:1], 2, s[8:9]
	global_store_dword v[0:1], v2, off
.LBB102_68:
	s_endpgm
	.section	.rodata,"a",@progbits
	.p2align	6, 0x0
	.amdhsa_kernel _ZL13mul_mat_f_idsI7__half2Li64ELi13ELi2EEvPKT_PKfPKiS7_S7_Pfiiiiiiiiiiiiii15HIP_vector_typeIjLj3EESA_
		.amdhsa_group_segment_fixed_size 0
		.amdhsa_private_segment_fixed_size 0
		.amdhsa_kernarg_size 128
		.amdhsa_user_sgpr_count 2
		.amdhsa_user_sgpr_dispatch_ptr 0
		.amdhsa_user_sgpr_queue_ptr 0
		.amdhsa_user_sgpr_kernarg_segment_ptr 1
		.amdhsa_user_sgpr_dispatch_id 0
		.amdhsa_user_sgpr_kernarg_preload_length 0
		.amdhsa_user_sgpr_kernarg_preload_offset 0
		.amdhsa_user_sgpr_private_segment_size 0
		.amdhsa_uses_dynamic_stack 0
		.amdhsa_enable_private_segment 0
		.amdhsa_system_sgpr_workgroup_id_x 1
		.amdhsa_system_sgpr_workgroup_id_y 1
		.amdhsa_system_sgpr_workgroup_id_z 1
		.amdhsa_system_sgpr_workgroup_info 0
		.amdhsa_system_vgpr_workitem_id 1
		.amdhsa_next_free_vgpr 120
		.amdhsa_next_free_sgpr 100
		.amdhsa_accum_offset 104
		.amdhsa_reserve_vcc 1
		.amdhsa_float_round_mode_32 0
		.amdhsa_float_round_mode_16_64 0
		.amdhsa_float_denorm_mode_32 3
		.amdhsa_float_denorm_mode_16_64 3
		.amdhsa_dx10_clamp 1
		.amdhsa_ieee_mode 1
		.amdhsa_fp16_overflow 0
		.amdhsa_tg_split 0
		.amdhsa_exception_fp_ieee_invalid_op 0
		.amdhsa_exception_fp_denorm_src 0
		.amdhsa_exception_fp_ieee_div_zero 0
		.amdhsa_exception_fp_ieee_overflow 0
		.amdhsa_exception_fp_ieee_underflow 0
		.amdhsa_exception_fp_ieee_inexact 0
		.amdhsa_exception_int_div_zero 0
	.end_amdhsa_kernel
	.section	.text._ZL13mul_mat_f_idsI7__half2Li64ELi13ELi2EEvPKT_PKfPKiS7_S7_Pfiiiiiiiiiiiiii15HIP_vector_typeIjLj3EESA_,"axG",@progbits,_ZL13mul_mat_f_idsI7__half2Li64ELi13ELi2EEvPKT_PKfPKiS7_S7_Pfiiiiiiiiiiiiii15HIP_vector_typeIjLj3EESA_,comdat
.Lfunc_end102:
	.size	_ZL13mul_mat_f_idsI7__half2Li64ELi13ELi2EEvPKT_PKfPKiS7_S7_Pfiiiiiiiiiiiiii15HIP_vector_typeIjLj3EESA_, .Lfunc_end102-_ZL13mul_mat_f_idsI7__half2Li64ELi13ELi2EEvPKT_PKfPKiS7_S7_Pfiiiiiiiiiiiiii15HIP_vector_typeIjLj3EESA_
                                        ; -- End function
	.set _ZL13mul_mat_f_idsI7__half2Li64ELi13ELi2EEvPKT_PKfPKiS7_S7_Pfiiiiiiiiiiiiii15HIP_vector_typeIjLj3EESA_.num_vgpr, 103
	.set _ZL13mul_mat_f_idsI7__half2Li64ELi13ELi2EEvPKT_PKfPKiS7_S7_Pfiiiiiiiiiiiiii15HIP_vector_typeIjLj3EESA_.num_agpr, 16
	.set _ZL13mul_mat_f_idsI7__half2Li64ELi13ELi2EEvPKT_PKfPKiS7_S7_Pfiiiiiiiiiiiiii15HIP_vector_typeIjLj3EESA_.numbered_sgpr, 100
	.set _ZL13mul_mat_f_idsI7__half2Li64ELi13ELi2EEvPKT_PKfPKiS7_S7_Pfiiiiiiiiiiiiii15HIP_vector_typeIjLj3EESA_.num_named_barrier, 0
	.set _ZL13mul_mat_f_idsI7__half2Li64ELi13ELi2EEvPKT_PKfPKiS7_S7_Pfiiiiiiiiiiiiii15HIP_vector_typeIjLj3EESA_.private_seg_size, 0
	.set _ZL13mul_mat_f_idsI7__half2Li64ELi13ELi2EEvPKT_PKfPKiS7_S7_Pfiiiiiiiiiiiiii15HIP_vector_typeIjLj3EESA_.uses_vcc, 1
	.set _ZL13mul_mat_f_idsI7__half2Li64ELi13ELi2EEvPKT_PKfPKiS7_S7_Pfiiiiiiiiiiiiii15HIP_vector_typeIjLj3EESA_.uses_flat_scratch, 0
	.set _ZL13mul_mat_f_idsI7__half2Li64ELi13ELi2EEvPKT_PKfPKiS7_S7_Pfiiiiiiiiiiiiii15HIP_vector_typeIjLj3EESA_.has_dyn_sized_stack, 0
	.set _ZL13mul_mat_f_idsI7__half2Li64ELi13ELi2EEvPKT_PKfPKiS7_S7_Pfiiiiiiiiiiiiii15HIP_vector_typeIjLj3EESA_.has_recursion, 0
	.set _ZL13mul_mat_f_idsI7__half2Li64ELi13ELi2EEvPKT_PKfPKiS7_S7_Pfiiiiiiiiiiiiii15HIP_vector_typeIjLj3EESA_.has_indirect_call, 0
	.section	.AMDGPU.csdata,"",@progbits
; Kernel info:
; codeLenInByte = 7640
; TotalNumSgprs: 106
; NumVgprs: 103
; NumAgprs: 16
; TotalNumVgprs: 120
; ScratchSize: 0
; MemoryBound: 0
; FloatMode: 240
; IeeeMode: 1
; LDSByteSize: 0 bytes/workgroup (compile time only)
; SGPRBlocks: 13
; VGPRBlocks: 14
; NumSGPRsForWavesPerEU: 106
; NumVGPRsForWavesPerEU: 120
; AccumOffset: 104
; Occupancy: 4
; WaveLimiterHint : 1
; COMPUTE_PGM_RSRC2:SCRATCH_EN: 0
; COMPUTE_PGM_RSRC2:USER_SGPR: 2
; COMPUTE_PGM_RSRC2:TRAP_HANDLER: 0
; COMPUTE_PGM_RSRC2:TGID_X_EN: 1
; COMPUTE_PGM_RSRC2:TGID_Y_EN: 1
; COMPUTE_PGM_RSRC2:TGID_Z_EN: 1
; COMPUTE_PGM_RSRC2:TIDIG_COMP_CNT: 1
; COMPUTE_PGM_RSRC3_GFX90A:ACCUM_OFFSET: 25
; COMPUTE_PGM_RSRC3_GFX90A:TG_SPLIT: 0
	.section	.text._ZL9mul_mat_fI7__half2Li64ELi13ELi2ELb1EEvPKT_PKfPKiPfiiiiiiiiiiiiiiii,"axG",@progbits,_ZL9mul_mat_fI7__half2Li64ELi13ELi2ELb1EEvPKT_PKfPKiPfiiiiiiiiiiiiiiii,comdat
	.globl	_ZL9mul_mat_fI7__half2Li64ELi13ELi2ELb1EEvPKT_PKfPKiPfiiiiiiiiiiiiiiii ; -- Begin function _ZL9mul_mat_fI7__half2Li64ELi13ELi2ELb1EEvPKT_PKfPKiPfiiiiiiiiiiiiiiii
	.p2align	8
	.type	_ZL9mul_mat_fI7__half2Li64ELi13ELi2ELb1EEvPKT_PKfPKiPfiiiiiiiiiiiiiiii,@function
_ZL9mul_mat_fI7__half2Li64ELi13ELi2ELb1EEvPKT_PKfPKiPfiiiiiiiiiiiiiiii: ; @_ZL9mul_mat_fI7__half2Li64ELi13ELi2ELb1EEvPKT_PKfPKiPfiiiiiiiiiiiiiiii
; %bb.0:
	s_load_dwordx8 s[48:55], s[0:1], 0x20
	s_mov_b32 s28, s4
	s_load_dwordx2 s[8:9], s[0:1], 0x10
	v_bfe_u32 v80, v0, 10, 10
	s_waitcnt lgkmcnt(0)
	s_add_i32 s4, s49, 12
	s_mul_hi_i32 s4, s4, 0x4ec4ec4f
	s_lshr_b32 s5, s4, 31
	s_ashr_i32 s4, s4, 2
	s_add_i32 s4, s4, s5
	v_cvt_f32_u32_e32 v1, s4
	s_load_dword s5, s[0:1], 0x64
	s_add_u32 s18, s0, 0x60
	s_addc_u32 s19, s1, 0
	v_rcp_iflag_f32_e32 v1, v1
	s_sub_i32 s6, 0, s4
	v_mul_f32_e32 v1, 0x4f7ffffe, v1
	v_cvt_u32_f32_e32 v1, v1
	v_mul_lo_u32 v2, s6, v1
	v_mul_hi_u32 v2, v1, v2
	v_add_u32_e32 v1, v1, v2
	s_waitcnt lgkmcnt(0)
	v_mul_hi_u32 v1, s5, v1
	v_mul_lo_u32 v2, v1, s4
	v_sub_u32_e32 v2, s5, v2
	v_add_u32_e32 v3, 1, v1
	v_subrev_u32_e32 v4, s4, v2
	v_cmp_le_u32_e32 vcc, s4, v2
	s_nop 1
	v_cndmask_b32_e32 v1, v1, v3, vcc
	v_cndmask_b32_e32 v2, v2, v4, vcc
	v_add_u32_e32 v3, 1, v1
	v_cmp_le_u32_e32 vcc, s4, v2
	s_nop 1
	v_cndmask_b32_e32 v1, v1, v3, vcc
	v_cvt_f32_u32_e32 v2, v1
	v_sub_u32_e32 v4, 0, v1
	v_rcp_iflag_f32_e32 v2, v2
	s_nop 0
	v_mul_f32_e32 v2, 0x4f7ffffe, v2
	v_cvt_u32_f32_e32 v3, v2
	v_and_b32_e32 v2, 0x3ff, v0
	v_cmp_eq_u32_e32 vcc, 0, v2
	v_mul_lo_u32 v4, v4, v3
	v_mul_hi_u32 v4, v3, v4
	v_add_u32_e32 v3, v3, v4
	v_mul_hi_u32 v3, s3, v3
	s_and_saveexec_b64 s[6:7], vcc
; %bb.1:
	v_mov_b32_e32 v4, 0x100
	v_lshl_add_u32 v4, v80, 2, v4
	v_mov_b32_e32 v5, -1
	ds_write_b32 v4, v5
; %bb.2:
	s_or_b64 exec, exec, s[6:7]
	v_mul_lo_u32 v4, v3, v1
	v_sub_u32_e32 v4, s3, v4
	v_add_u32_e32 v5, 1, v3
	v_sub_u32_e32 v6, v4, v1
	v_cmp_ge_u32_e64 s[6:7], v4, v1
	v_cmp_gt_i32_e64 s[14:15], s50, v2
	s_nop 0
	v_cndmask_b32_e64 v3, v3, v5, s[6:7]
	v_cndmask_b32_e64 v4, v4, v6, s[6:7]
	v_add_u32_e32 v5, 1, v3
	v_cmp_ge_u32_e64 s[6:7], v4, v1
	s_nop 1
	v_cndmask_b32_e64 v3, v3, v5, s[6:7]
	v_mul_lo_u32 v1, v3, v1
	v_mul_lo_u32 v3, v3, 13
	v_mul_hi_i32 v5, v3, s55
	v_mul_lo_u32 v4, v3, s55
	v_sub_u32_e32 v10, s3, v1
	v_lshlrev_b64 v[4:5], 2, v[4:5]
	v_add_u32_e32 v1, v80, v3
	v_lshl_add_u64 v[4:5], s[8:9], 0, v[4:5]
	v_cmp_gt_i32_e64 s[30:31], s49, v1
	v_mov_b32_e32 v1, 0
	s_and_saveexec_b64 s[10:11], s[30:31]
	s_cbranch_execz .LBB103_10
; %bb.3:
	v_mov_b32_e32 v1, 0
	s_and_saveexec_b64 s[12:13], s[14:15]
	s_cbranch_execz .LBB103_9
; %bb.4:
	v_mul_lo_u32 v6, v80, s55
	v_ashrrev_i32_e32 v7, 31, v6
	v_mov_b32_e32 v1, 0x100
	v_lshl_add_u64 v[6:7], v[6:7], 2, v[4:5]
	v_lshl_add_u32 v11, v80, 2, v1
	v_mul_lo_u32 v8, v2, s54
	s_lshl_b32 s3, s54, 6
	v_mov_b32_e32 v1, 0
	s_mov_b64 s[16:17], 0
	v_mov_b32_e32 v12, v2
	s_branch .LBB103_6
.LBB103_5:                              ;   in Loop: Header=BB103_6 Depth=1
	s_or_b64 exec, exec, s[20:21]
	v_add_u32_e32 v12, 64, v12
	v_cmp_le_i32_e64 s[8:9], s50, v12
	s_xor_b64 s[4:5], s[6:7], -1
	s_or_b64 s[4:5], s[4:5], s[8:9]
	s_and_b64 s[4:5], exec, s[4:5]
	s_or_b64 s[16:17], s[4:5], s[16:17]
	v_add_u32_e32 v8, s3, v8
	s_andn2_b64 exec, exec, s[16:17]
	s_cbranch_execz .LBB103_8
.LBB103_6:                              ; =>This Inner Loop Header: Depth=1
	v_ashrrev_i32_e32 v9, 31, v8
	v_lshl_add_u64 v[14:15], v[8:9], 2, v[6:7]
	global_load_dword v9, v[14:15], off
	s_waitcnt vmcnt(0)
	v_cmp_ne_u32_e64 s[6:7], v9, v10
	v_cmp_eq_u32_e64 s[8:9], v9, v10
	s_and_saveexec_b64 s[20:21], s[8:9]
	s_cbranch_execz .LBB103_5
; %bb.7:                                ;   in Loop: Header=BB103_6 Depth=1
	v_mov_b32_e32 v1, 1
	ds_write_b32 v11, v12
	s_branch .LBB103_5
.LBB103_8:
	s_or_b64 exec, exec, s[16:17]
.LBB103_9:
	s_or_b64 exec, exec, s[12:13]
.LBB103_10:
	s_or_b64 exec, exec, s[10:11]
	s_and_saveexec_b64 s[6:7], vcc
; %bb.11:
	v_mov_b32_e32 v6, 0x100
	v_lshl_add_u32 v6, v80, 2, v6
	v_mov_b32_e32 v7, -1
	ds_write_b32 v6, v7 offset:8
; %bb.12:
	s_or_b64 exec, exec, s[6:7]
	v_add_u32_e32 v81, 2, v80
	v_add_u32_e32 v6, v81, v3
	v_cmp_gt_i32_e64 s[4:5], s49, v6
	s_mov_b64 s[10:11], exec
                                        ; implicit-def: $vgpr94 : SGPR spill to VGPR lane
	s_nop 0
	v_writelane_b32 v94, s4, 0
	s_nop 1
	v_writelane_b32 v94, s5, 1
	s_and_b64 s[4:5], s[10:11], s[4:5]
	s_mov_b64 exec, s[4:5]
	s_cbranch_execz .LBB103_20
; %bb.13:
	s_and_saveexec_b64 s[12:13], s[14:15]
	s_cbranch_execz .LBB103_19
; %bb.14:
	v_mul_lo_u32 v6, v81, s55
	v_ashrrev_i32_e32 v7, 31, v6
	v_mov_b32_e32 v8, 0x100
	v_lshl_add_u64 v[6:7], v[6:7], 2, v[4:5]
	v_lshl_add_u32 v11, v80, 2, v8
	v_mul_lo_u32 v8, v2, s54
	s_lshl_b32 s3, s54, 6
	s_mov_b64 s[16:17], 0
	v_mov_b32_e32 v12, v2
	s_branch .LBB103_16
.LBB103_15:                             ;   in Loop: Header=BB103_16 Depth=1
	s_or_b64 exec, exec, s[20:21]
	v_add_u32_e32 v12, 64, v12
	v_cmp_le_i32_e64 s[8:9], s50, v12
	s_xor_b64 s[4:5], s[6:7], -1
	s_or_b64 s[4:5], s[4:5], s[8:9]
	s_and_b64 s[4:5], exec, s[4:5]
	s_or_b64 s[16:17], s[4:5], s[16:17]
	v_add_u32_e32 v8, s3, v8
	s_andn2_b64 exec, exec, s[16:17]
	s_cbranch_execz .LBB103_18
.LBB103_16:                             ; =>This Inner Loop Header: Depth=1
	v_ashrrev_i32_e32 v9, 31, v8
	v_lshl_add_u64 v[14:15], v[8:9], 2, v[6:7]
	global_load_dword v9, v[14:15], off
	s_waitcnt vmcnt(0)
	v_cmp_ne_u32_e64 s[6:7], v9, v10
	v_cmp_eq_u32_e64 s[8:9], v9, v10
	s_and_saveexec_b64 s[20:21], s[8:9]
	s_cbranch_execz .LBB103_15
; %bb.17:                               ;   in Loop: Header=BB103_16 Depth=1
	v_mov_b32_e32 v1, 1
	ds_write_b32 v11, v12 offset:8
	s_branch .LBB103_15
.LBB103_18:
	s_or_b64 exec, exec, s[16:17]
.LBB103_19:
	s_or_b64 exec, exec, s[12:13]
.LBB103_20:
	s_or_b64 exec, exec, s[10:11]
	s_load_dwordx4 s[56:59], s[0:1], 0x44
	s_and_saveexec_b64 s[6:7], vcc
; %bb.21:
	v_mov_b32_e32 v6, 0x100
	v_lshl_add_u32 v6, v80, 2, v6
	v_mov_b32_e32 v7, -1
	ds_write_b32 v6, v7 offset:16
; %bb.22:
	s_or_b64 exec, exec, s[6:7]
	v_add_u32_e32 v82, 4, v80
	v_add_u32_e32 v6, v82, v3
	v_cmp_gt_i32_e64 s[4:5], s49, v6
	s_mov_b64 s[10:11], exec
	s_nop 0
	v_writelane_b32 v94, s4, 2
	s_nop 1
	v_writelane_b32 v94, s5, 3
	s_and_b64 s[4:5], s[10:11], s[4:5]
	s_mov_b64 exec, s[4:5]
	s_cbranch_execz .LBB103_30
; %bb.23:
	s_and_saveexec_b64 s[12:13], s[14:15]
	s_cbranch_execz .LBB103_29
; %bb.24:
	v_mul_lo_u32 v6, v82, s55
	v_ashrrev_i32_e32 v7, 31, v6
	v_mov_b32_e32 v8, 0x100
	v_lshl_add_u64 v[6:7], v[6:7], 2, v[4:5]
	v_lshl_add_u32 v11, v80, 2, v8
	v_mul_lo_u32 v8, v2, s54
	s_lshl_b32 s3, s54, 6
	s_mov_b64 s[16:17], 0
	v_mov_b32_e32 v12, v2
	s_branch .LBB103_26
.LBB103_25:                             ;   in Loop: Header=BB103_26 Depth=1
	s_or_b64 exec, exec, s[20:21]
	v_add_u32_e32 v12, 64, v12
	v_cmp_le_i32_e64 s[8:9], s50, v12
	s_xor_b64 s[4:5], s[6:7], -1
	s_or_b64 s[4:5], s[4:5], s[8:9]
	s_and_b64 s[4:5], exec, s[4:5]
	s_or_b64 s[16:17], s[4:5], s[16:17]
	v_add_u32_e32 v8, s3, v8
	s_andn2_b64 exec, exec, s[16:17]
	s_cbranch_execz .LBB103_28
.LBB103_26:                             ; =>This Inner Loop Header: Depth=1
	v_ashrrev_i32_e32 v9, 31, v8
	v_lshl_add_u64 v[14:15], v[8:9], 2, v[6:7]
	global_load_dword v9, v[14:15], off
	s_waitcnt vmcnt(0)
	v_cmp_ne_u32_e64 s[6:7], v9, v10
	v_cmp_eq_u32_e64 s[8:9], v9, v10
	s_and_saveexec_b64 s[20:21], s[8:9]
	s_cbranch_execz .LBB103_25
; %bb.27:                               ;   in Loop: Header=BB103_26 Depth=1
	v_mov_b32_e32 v1, 1
	ds_write_b32 v11, v12 offset:16
	s_branch .LBB103_25
.LBB103_28:
	s_or_b64 exec, exec, s[16:17]
.LBB103_29:
	s_or_b64 exec, exec, s[12:13]
.LBB103_30:
	s_or_b64 exec, exec, s[10:11]
	s_waitcnt lgkmcnt(0)
	s_abs_i32 s3, s59
	s_and_saveexec_b64 s[6:7], vcc
; %bb.31:
	v_mov_b32_e32 v6, 0x100
	v_lshl_add_u32 v6, v80, 2, v6
	v_mov_b32_e32 v7, -1
	ds_write_b32 v6, v7 offset:24
; %bb.32:
	s_or_b64 exec, exec, s[6:7]
	v_cvt_f32_u32_e32 v11, s3
	v_add_u32_e32 v83, 6, v80
	v_add_u32_e32 v6, v83, v3
	v_cmp_gt_i32_e64 s[4:5], s49, v6
	s_mov_b64 s[12:13], exec
	s_nop 0
	v_writelane_b32 v94, s4, 4
	s_nop 1
	v_writelane_b32 v94, s5, 5
	s_and_b64 s[4:5], s[12:13], s[4:5]
	s_mov_b64 exec, s[4:5]
	s_cbranch_execz .LBB103_40
; %bb.33:
	s_and_saveexec_b64 s[16:17], s[14:15]
	s_cbranch_execz .LBB103_39
; %bb.34:
	v_mul_lo_u32 v6, v83, s55
	v_ashrrev_i32_e32 v7, 31, v6
	v_mov_b32_e32 v8, 0x100
	v_lshl_add_u64 v[6:7], v[6:7], 2, v[4:5]
	v_lshl_add_u32 v12, v80, 2, v8
	v_mul_lo_u32 v8, v2, s54
	s_lshl_b32 s4, s54, 6
	s_mov_b64 s[20:21], 0
	v_mov_b32_e32 v13, v2
	s_branch .LBB103_36
.LBB103_35:                             ;   in Loop: Header=BB103_36 Depth=1
	s_or_b64 exec, exec, s[22:23]
	v_add_u32_e32 v13, 64, v13
	v_cmp_le_i32_e64 s[10:11], s50, v13
	s_xor_b64 s[6:7], s[8:9], -1
	s_or_b64 s[6:7], s[6:7], s[10:11]
	s_and_b64 s[6:7], exec, s[6:7]
	s_or_b64 s[20:21], s[6:7], s[20:21]
	v_add_u32_e32 v8, s4, v8
	s_andn2_b64 exec, exec, s[20:21]
	s_cbranch_execz .LBB103_38
.LBB103_36:                             ; =>This Inner Loop Header: Depth=1
	v_ashrrev_i32_e32 v9, 31, v8
	v_lshl_add_u64 v[14:15], v[8:9], 2, v[6:7]
	global_load_dword v9, v[14:15], off
	s_waitcnt vmcnt(0)
	v_cmp_ne_u32_e64 s[8:9], v9, v10
	v_cmp_eq_u32_e64 s[10:11], v9, v10
	s_and_saveexec_b64 s[22:23], s[10:11]
	s_cbranch_execz .LBB103_35
; %bb.37:                               ;   in Loop: Header=BB103_36 Depth=1
	v_mov_b32_e32 v1, 1
	ds_write_b32 v12, v13 offset:24
	s_branch .LBB103_35
.LBB103_38:
	s_or_b64 exec, exec, s[20:21]
.LBB103_39:
	s_or_b64 exec, exec, s[16:17]
.LBB103_40:
	s_or_b64 exec, exec, s[12:13]
	v_rcp_iflag_f32_e32 v6, v11
	s_and_saveexec_b64 s[8:9], vcc
; %bb.41:
	v_mov_b32_e32 v7, 0x100
	v_lshl_add_u32 v7, v80, 2, v7
	v_mov_b32_e32 v8, -1
	ds_write_b32 v7, v8 offset:32
; %bb.42:
	s_or_b64 exec, exec, s[8:9]
	v_add_u32_e32 v84, 8, v80
	v_mul_f32_e32 v11, 0x4f7ffffe, v6
	v_add_u32_e32 v6, v84, v3
	v_cmp_gt_i32_e64 s[4:5], s49, v6
	s_mov_b64 s[16:17], exec
	s_nop 0
	v_writelane_b32 v94, s4, 6
	s_nop 1
	v_writelane_b32 v94, s5, 7
	s_and_b64 s[4:5], s[16:17], s[4:5]
	s_mov_b64 exec, s[4:5]
	s_cbranch_execz .LBB103_50
; %bb.43:
	s_and_saveexec_b64 s[20:21], s[14:15]
	s_cbranch_execz .LBB103_49
; %bb.44:
	v_mul_lo_u32 v6, v84, s55
	v_ashrrev_i32_e32 v7, 31, v6
	v_mov_b32_e32 v8, 0x100
	v_lshl_add_u64 v[6:7], v[6:7], 2, v[4:5]
	v_lshl_add_u32 v12, v80, 2, v8
	v_mul_lo_u32 v8, v2, s54
	s_lshl_b32 s4, s54, 6
	s_mov_b64 s[22:23], 0
	v_mov_b32_e32 v13, v2
	s_branch .LBB103_46
.LBB103_45:                             ;   in Loop: Header=BB103_46 Depth=1
	s_or_b64 exec, exec, s[24:25]
	v_add_u32_e32 v13, 64, v13
	v_cmp_le_i32_e64 s[12:13], s50, v13
	s_xor_b64 s[6:7], s[10:11], -1
	s_or_b64 s[6:7], s[6:7], s[12:13]
	s_and_b64 s[6:7], exec, s[6:7]
	s_or_b64 s[22:23], s[6:7], s[22:23]
	v_add_u32_e32 v8, s4, v8
	s_andn2_b64 exec, exec, s[22:23]
	s_cbranch_execz .LBB103_48
.LBB103_46:                             ; =>This Inner Loop Header: Depth=1
	v_ashrrev_i32_e32 v9, 31, v8
	v_lshl_add_u64 v[14:15], v[8:9], 2, v[6:7]
	global_load_dword v9, v[14:15], off
	s_waitcnt vmcnt(0)
	v_cmp_ne_u32_e64 s[10:11], v9, v10
	v_cmp_eq_u32_e64 s[12:13], v9, v10
	s_and_saveexec_b64 s[24:25], s[12:13]
	s_cbranch_execz .LBB103_45
; %bb.47:                               ;   in Loop: Header=BB103_46 Depth=1
	v_mov_b32_e32 v1, 1
	ds_write_b32 v12, v13 offset:32
	s_branch .LBB103_45
.LBB103_48:
	s_or_b64 exec, exec, s[22:23]
.LBB103_49:
	s_or_b64 exec, exec, s[20:21]
.LBB103_50:
	s_or_b64 exec, exec, s[16:17]
	v_cvt_u32_f32_e32 v11, v11
	s_sub_i32 s4, 0, s3
	s_and_saveexec_b64 s[10:11], vcc
; %bb.51:
	v_mov_b32_e32 v6, 0x100
	v_lshl_add_u32 v6, v80, 2, v6
	v_mov_b32_e32 v7, -1
	ds_write_b32 v6, v7 offset:40
; %bb.52:
	s_or_b64 exec, exec, s[10:11]
	v_add_u32_e32 v85, 10, v80
	v_mul_lo_u32 v12, s4, v11
	v_add_u32_e32 v6, v85, v3
	v_cmp_gt_i32_e64 s[4:5], s49, v6
	s_mov_b64 s[20:21], exec
	s_nop 0
	v_writelane_b32 v94, s4, 8
	s_nop 1
	v_writelane_b32 v94, s5, 9
	s_and_b64 s[4:5], s[20:21], s[4:5]
	s_mov_b64 exec, s[4:5]
	s_cbranch_execz .LBB103_60
; %bb.53:
	s_and_saveexec_b64 s[22:23], s[14:15]
	s_cbranch_execz .LBB103_59
; %bb.54:
	v_mul_lo_u32 v6, v85, s55
	v_ashrrev_i32_e32 v7, 31, v6
	v_mov_b32_e32 v8, 0x100
	v_lshl_add_u64 v[6:7], v[6:7], 2, v[4:5]
	v_lshl_add_u32 v13, v80, 2, v8
	v_mul_lo_u32 v8, v2, s54
	s_lshl_b32 s4, s54, 6
	s_mov_b64 s[24:25], 0
	v_mov_b32_e32 v14, v2
	s_branch .LBB103_56
.LBB103_55:                             ;   in Loop: Header=BB103_56 Depth=1
	s_or_b64 exec, exec, s[26:27]
	v_add_u32_e32 v14, 64, v14
	v_cmp_le_i32_e64 s[16:17], s50, v14
	s_xor_b64 s[6:7], s[12:13], -1
	s_or_b64 s[6:7], s[6:7], s[16:17]
	s_and_b64 s[6:7], exec, s[6:7]
	s_or_b64 s[24:25], s[6:7], s[24:25]
	v_add_u32_e32 v8, s4, v8
	s_andn2_b64 exec, exec, s[24:25]
	s_cbranch_execz .LBB103_58
.LBB103_56:                             ; =>This Inner Loop Header: Depth=1
	v_ashrrev_i32_e32 v9, 31, v8
	v_lshl_add_u64 v[16:17], v[8:9], 2, v[6:7]
	global_load_dword v9, v[16:17], off
	s_waitcnt vmcnt(0)
	v_cmp_ne_u32_e64 s[12:13], v9, v10
	v_cmp_eq_u32_e64 s[16:17], v9, v10
	s_and_saveexec_b64 s[26:27], s[16:17]
	s_cbranch_execz .LBB103_55
; %bb.57:                               ;   in Loop: Header=BB103_56 Depth=1
	v_mov_b32_e32 v1, 1
	ds_write_b32 v13, v14 offset:40
	s_branch .LBB103_55
.LBB103_58:
	s_or_b64 exec, exec, s[24:25]
.LBB103_59:
	s_or_b64 exec, exec, s[22:23]
.LBB103_60:
	s_or_b64 exec, exec, s[20:21]
	v_mul_hi_u32 v6, v11, v12
	s_and_saveexec_b64 s[12:13], vcc
; %bb.61:
	v_mov_b32_e32 v7, 0x100
	v_lshl_add_u32 v7, v80, 2, v7
	v_mov_b32_e32 v8, -1
	ds_write_b32 v7, v8 offset:48
; %bb.62:
	s_or_b64 exec, exec, s[12:13]
	s_load_dwordx4 s[36:39], s[0:1], 0x54
	v_add_u32_e32 v8, v11, v6
	v_add_u32_e32 v6, 12, v80
	s_abs_i32 s4, s28
	v_add_u32_e32 v7, v6, v3
	v_cmp_gt_i32_e64 s[6:7], s49, v7
	s_mov_b64 s[16:17], exec
	s_nop 0
	v_writelane_b32 v94, s6, 10
	s_nop 1
	v_writelane_b32 v94, s7, 11
	s_and_b64 s[6:7], s[16:17], s[6:7]
	s_mov_b64 exec, s[6:7]
	s_cbranch_execz .LBB103_70
; %bb.63:
	s_and_saveexec_b64 s[20:21], s[14:15]
	s_cbranch_execz .LBB103_69
; %bb.64:
	v_mul_lo_u32 v6, v6, s55
	v_ashrrev_i32_e32 v7, 31, v6
	v_lshl_add_u64 v[4:5], v[6:7], 2, v[4:5]
	v_mov_b32_e32 v6, 0x100
	v_lshl_add_u32 v9, v80, 2, v6
	v_mul_lo_u32 v6, v2, s54
	s_lshl_b32 s5, s54, 6
	s_mov_b64 s[22:23], 0
	v_mov_b32_e32 v11, v2
	s_branch .LBB103_66
.LBB103_65:                             ;   in Loop: Header=BB103_66 Depth=1
	s_or_b64 exec, exec, s[24:25]
	v_add_u32_e32 v11, 64, v11
	v_cmp_le_i32_e64 s[14:15], s50, v11
	s_xor_b64 s[6:7], vcc, -1
	s_or_b64 s[6:7], s[6:7], s[14:15]
	s_and_b64 s[6:7], exec, s[6:7]
	s_or_b64 s[22:23], s[6:7], s[22:23]
	v_add_u32_e32 v6, s5, v6
	s_andn2_b64 exec, exec, s[22:23]
	s_cbranch_execz .LBB103_68
.LBB103_66:                             ; =>This Inner Loop Header: Depth=1
	v_ashrrev_i32_e32 v7, 31, v6
	v_lshl_add_u64 v[12:13], v[6:7], 2, v[4:5]
	global_load_dword v7, v[12:13], off
	s_waitcnt vmcnt(0)
	v_cmp_ne_u32_e32 vcc, v7, v10
	v_cmp_eq_u32_e64 s[14:15], v7, v10
	s_and_saveexec_b64 s[24:25], s[14:15]
	s_cbranch_execz .LBB103_65
; %bb.67:                               ;   in Loop: Header=BB103_66 Depth=1
	v_mov_b32_e32 v1, 1
	ds_write_b32 v9, v11 offset:48
	s_branch .LBB103_65
.LBB103_68:
	s_or_b64 exec, exec, s[22:23]
.LBB103_69:
	s_or_b64 exec, exec, s[20:21]
.LBB103_70:
	s_or_b64 exec, exec, s[16:17]
	s_load_dwordx2 s[6:7], s[18:19], 0xc
	s_load_dwordx2 s[16:17], s[0:1], 0x8
	;; [unrolled: 1-line block ×3, first 2 shown]
	v_or_b32_dpp v1, v1, v1 row_shl:1 row_mask:0xf bank_mask:0xf bound_ctrl:1
	v_mul_hi_u32 v4, s4, v8
	s_waitcnt lgkmcnt(0)
	s_and_b32 s5, s7, 0xffff
	s_lshr_b32 s7, s6, 16
	v_writelane_b32 v94, s8, 12
	s_and_b32 s6, s6, 0xffff
	v_or_b32_dpp v1, v1, v1 row_shl:2 row_mask:0xf bank_mask:0xf bound_ctrl:1
	v_writelane_b32 v94, s9, 13
	s_mul_i32 s8, s7, s6
	v_or_b32_dpp v1, v1, v1 row_shl:4 row_mask:0xf bank_mask:0xf bound_ctrl:1
	s_bfe_i32 s8, s8, 0x180000
	s_mul_i32 s5, s8, s5
	v_or_b32_dpp v1, v1, v1 row_shl:8 row_mask:0xf bank_mask:0xf bound_ctrl:1
	s_add_i32 s8, s5, 63
	s_bitcmp1_b32 exec_hi, 0
	v_mov_b32_dpp v5, v1 wave_shl:1 row_mask:0xf bank_mask:0xf bound_ctrl:1
                                        ; kill: killed $sgpr18 killed $sgpr19
	s_nop 1
	v_or_b32_dpp v1, v5, v1 row_mirror row_mask:0xf bank_mask:0xf bound_ctrl:1
	s_nop 0
	v_readlane_b32 s5, v1, 32
	s_cselect_b32 s5, s5, 0
	v_readlane_b32 s9, v1, 0
	s_or_b32 s5, s5, s9
	s_andn2_b32 s8, s8, 63
	s_cmp_lg_u32 s8, 64
	v_mov_b32_e32 v1, s5
	s_cbranch_scc0 .LBB103_77
; %bb.71:
	v_bfe_u32 v0, v0, 20, 10
	v_mbcnt_lo_u32_b32 v1, -1, 0
	v_mad_u32_u24 v0, v0, s7, v80
	v_mbcnt_hi_u32_b32 v5, -1, v1
	v_mad_u64_u32 v[0:1], s[6:7], v0, s6, v[2:3]
	v_lshrrev_b32_e32 v1, 6, v0
	v_or_b32_e32 v1, v5, v1
	v_cmp_eq_u32_e32 vcc, 0, v1
	s_and_saveexec_b64 s[14:15], vcc
; %bb.72:
	v_mov_b32_e32 v1, 0
	v_mov_b32_e32 v6, s5
	ds_write_b32 v1, v6
; %bb.73:
	s_or_b64 exec, exec, s[14:15]
	v_cmp_eq_u32_e32 vcc, 0, v5
	v_cmp_lt_u32_e64 s[14:15], 63, v0
	s_and_b64 s[6:7], s[14:15], vcc
	s_waitcnt lgkmcnt(0)
	s_barrier
	s_and_saveexec_b64 s[14:15], s[6:7]
	s_cbranch_execz .LBB103_76
; %bb.74:
	v_mbcnt_lo_u32_b32 v0, exec_lo, 0
	v_mbcnt_hi_u32_b32 v0, exec_hi, v0
	v_cmp_eq_u32_e32 vcc, 0, v0
	s_and_b64 exec, exec, vcc
; %bb.75:
	v_mov_b32_e32 v0, 0
	v_mov_b32_e32 v1, s5
	ds_or_b32 v0, v1
.LBB103_76:
	s_or_b64 exec, exec, s[14:15]
	v_mov_b32_e32 v0, 0
	s_waitcnt lgkmcnt(0)
	s_barrier
	ds_read_b32 v1, v0
	s_waitcnt lgkmcnt(0)
	s_barrier
.LBB103_77:
	s_load_dwordx2 s[14:15], s[0:1], 0x0
	v_cmp_ne_u32_e32 vcc, 0, v1
	s_ashr_i32 s5, s28, 31
	s_ashr_i32 s6, s59, 31
	s_cbranch_vccz .LBB103_163
; %bb.78:
	v_lshlrev_b32_e32 v86, 6, v80
	v_add_u32_e32 v88, v86, v2
	v_cmp_le_i32_e32 vcc, s48, v88
	v_and_b32_e32 v87, 15, v2
	s_and_saveexec_b64 s[0:1], vcc
	s_xor_b64 s[0:1], exec, s[0:1]
; %bb.79:
	v_and_b32_e32 v87, 15, v2
                                        ; implicit-def: $vgpr88
                                        ; implicit-def: $vgpr4
                                        ; implicit-def: $vgpr10
; %bb.80:
	s_or_saveexec_b64 s[0:1], s[0:1]
	s_lshl_b32 s7, s2, 6
	v_mov_b32_e32 v1, 0
	v_accvgpr_write_b32 a0, 0
	v_accvgpr_write_b32 a1, 0
	;; [unrolled: 1-line block ×16, first 2 shown]
	v_writelane_b32 v94, s0, 14
	s_nop 1
	v_writelane_b32 v94, s1, 15
	s_xor_b64 exec, exec, s[0:1]
	s_cbranch_execz .LBB103_136
; %bb.81:
	v_mul_lo_u32 v0, v4, s3
	v_sub_u32_e32 v0, s4, v0
	v_add_u32_e32 v5, 1, v4
	v_subrev_u32_e32 v6, s3, v0
	v_cmp_le_u32_e32 vcc, s3, v0
	s_xor_b32 s0, s5, s6
	v_writelane_b32 v94, s30, 16
	v_cndmask_b32_e32 v4, v4, v5, vcc
	v_cndmask_b32_e32 v0, v0, v6, vcc
	v_add_u32_e32 v5, 1, v4
	v_cmp_le_u32_e32 vcc, s3, v0
	v_writelane_b32 v94, s31, 17
	v_writelane_b32 v94, s7, 18
	v_cndmask_b32_e32 v0, v4, v5, vcc
	v_xor_b32_e32 v0, s0, v0
	v_subrev_u32_e32 v0, s0, v0
	s_mul_i32 s0, s51, s7
	s_ashr_i32 s1, s0, 31
	s_lshl_b64 s[2:3], s[0:1], 2
	s_movk_i32 s0, 0x1080
	v_mov_b32_e32 v89, 0x100
	v_writelane_b32 v94, s28, 19
	v_mul_hi_i32 v5, v0, s36
	v_mul_lo_u32 v4, v0, s36
	v_mul_lo_u32 v6, v10, s56
	v_mad_u32_u24 v0, v80, s0, v89
	s_mul_hi_i32 s1, s37, s28
	v_writelane_b32 v94, s36, 20
	s_mul_i32 s0, s37, s28
	v_ashrrev_i32_e32 v7, 31, v6
	s_lshl_b64 s[0:1], s[0:1], 2
	v_lshlrev_b64 v[10:11], 2, v[6:7]
	v_writelane_b32 v94, s37, 21
	v_mul_hi_i32 v7, s52, v3
	v_mul_lo_u32 v6, s52, v3
	s_add_u32 s0, s16, s0
	v_writelane_b32 v94, s38, 22
	v_lshlrev_b64 v[6:7], 3, v[6:7]
	s_addc_u32 s1, s17, s1
	v_writelane_b32 v94, s39, 23
	v_lshl_add_u64 v[6:7], s[0:1], 0, v[6:7]
	s_lshl_b32 s0, s52, 3
	v_writelane_b32 v94, s0, 24
	s_mul_i32 s0, s52, 6
	v_lshlrev_b64 v[8:9], 2, v[4:5]
	v_writelane_b32 v94, s0, 25
	s_lshl_b32 s0, s52, 4
	s_waitcnt lgkmcnt(0)
	v_lshl_add_u64 v[4:5], s[14:15], 0, v[8:9]
	v_writelane_b32 v94, s0, 26
	s_mul_i32 s0, s52, 10
	v_lshl_add_u64 v[4:5], v[4:5], 0, v[10:11]
	v_writelane_b32 v94, s0, 27
	s_mul_i32 s0, s52, 12
	s_ashr_i32 s17, s51, 31
	s_mov_b32 s16, s51
	v_lshl_add_u64 v[4:5], v[4:5], 0, s[2:3]
	v_lshrrev_b32_e32 v13, 1, v2
	v_writelane_b32 v94, s0, 28
	v_lshl_add_u64 v[8:9], v[8:9], 0, s[2:3]
	s_lshl_b64 s[2:3], s[16:17], 2
	s_mul_i32 s16, s52, 24
	v_mul_u32_u24_e32 v12, 0x108, v87
	v_and_b32_e32 v13, 0x1f8, v13
	v_writelane_b32 v94, s16, 29
	s_mul_i32 s16, s52, 22
	v_lshl_add_u32 v90, v2, 2, v0
	v_add3_u32 v91, v0, v12, v13
	v_lshl_add_u64 v[8:9], v[8:9], 0, v[10:11]
	v_lshlrev_b32_e32 v0, 1, v2
	v_writelane_b32 v94, s16, 30
	s_mul_i32 s16, s52, 20
	v_add_u32_e32 v12, 1, v3
	v_add_u32_e32 v13, 2, v3
	s_lshl_b32 s50, s52, 2
	v_add_u32_e32 v14, 3, v3
	v_add_u32_e32 v15, 4, v3
	;; [unrolled: 1-line block ×10, first 2 shown]
	v_lshl_add_u64 v[8:9], s[14:15], 0, v[8:9]
	v_lshl_add_u32 v92, v80, 7, v0
	v_lshlrev_b32_e32 v0, 2, v88
	v_writelane_b32 v94, s16, 31
	s_mul_i32 s16, s52, 18
	s_add_i32 s64, s51, s51
	s_mul_i32 s65, s51, 3
	s_lshl_b32 s66, s51, 2
	s_mul_i32 s67, s51, 5
	s_mul_i32 s68, s51, 6
	;; [unrolled: 1-line block ×3, first 2 shown]
	s_lshl_b32 s70, s51, 3
	s_mul_i32 s71, s51, 9
	s_mul_i32 s72, s51, 10
	;; [unrolled: 1-line block ×7, first 2 shown]
	s_lshl_b32 s78, s51, 4
	s_mul_i32 s79, s51, 17
	s_mul_i32 s80, s51, 18
	;; [unrolled: 1-line block ×15, first 2 shown]
	s_lshl_b32 s94, s51, 5
	s_mul_i32 s95, s51, 33
	s_mul_i32 s96, s51, 34
	;; [unrolled: 1-line block ×17, first 2 shown]
	v_cmp_gt_i32_e64 s[14:15], s49, v3
	s_mul_i32 s9, s51, 50
	s_mul_i32 s0, s51, 51
	v_accvgpr_write_b32 a15, 0
	v_accvgpr_write_b32 a14, 0
	;; [unrolled: 1-line block ×16, first 2 shown]
	v_lshl_add_u64 v[8:9], v[8:9], 0, v[0:1]
	s_mul_i32 s1, s51, 52
	s_mul_i32 s10, s51, 53
	;; [unrolled: 1-line block ×12, first 2 shown]
	v_writelane_b32 v94, s16, 32
	s_mul_i32 s63, s52, 14
	s_lshl_b32 s52, s52, 1
	v_cmp_gt_i32_e64 s[16:17], s49, v12
	v_cmp_gt_i32_e64 s[18:19], s49, v13
	;; [unrolled: 1-line block ×12, first 2 shown]
	s_mov_b32 s49, s50
	s_mov_b64 s[50:51], 0
	s_branch .LBB103_84
.LBB103_82:                             ;   in Loop: Header=BB103_84 Depth=1
	v_mul_lo_u32 v0, v0, s57
	v_readlane_b32 vcc_lo, v94, 29
	s_nop 1
	v_add_u32_e32 v0, vcc_lo, v0
	v_add_u32_e32 v74, v0, v92
	v_ashrrev_i32_e32 v75, 31, v74
	v_lshl_add_u64 v[74:75], v[74:75], 2, v[6:7]
	global_load_dwordx2 v[74:75], v[74:75], off
.LBB103_83:                             ;   in Loop: Header=BB103_84 Depth=1
	s_waitcnt vmcnt(0)
	v_cvt_pk_f16_f32 v0, v74, v75
	v_add_u32_e32 v74, 0xc00, v90
	ds_write2_b32 v74, v0, v1 offset0:40 offset1:106
	ds_write2_b32 v74, v1, v1 offset0:172 offset1:238
	ds_read2_b64 v[74:77], v91 offset0:8 offset1:12
	v_add_u32_e32 v88, 0x80, v88
	s_mov_b64 vcc, 0x200
	v_lshl_add_u64 v[8:9], v[8:9], 0, vcc
	s_waitcnt lgkmcnt(0)
	v_mfma_f32_16x16x16_f16 a[12:15], v[16:17], v[74:75], a[12:15]
	v_cmp_le_i32_e32 vcc, s48, v88
	v_add_u32_e32 v92, 0x100, v92
	s_or_b64 s[50:51], vcc, s[50:51]
	v_mfma_f32_16x16x16_f16 a[8:11], v[42:43], v[74:75], a[8:11]
	v_mfma_f32_16x16x16_f16 a[4:7], v[56:57], v[74:75], a[4:7]
	v_mfma_f32_16x16x16_f16 a[0:3], v[72:73], v[74:75], a[0:3]
	v_mfma_f32_16x16x16_f16 a[12:15], v[14:15], v[76:77], a[12:15]
	ds_read2_b64 v[14:17], v91 offset0:16 offset1:20
	v_mfma_f32_16x16x16_f16 a[8:11], v[40:41], v[76:77], a[8:11]
	v_mfma_f32_16x16x16_f16 a[4:7], v[54:55], v[76:77], a[4:7]
	v_mfma_f32_16x16x16_f16 a[0:3], v[70:71], v[76:77], a[0:3]
	s_waitcnt lgkmcnt(0)
	v_mfma_f32_16x16x16_f16 a[12:15], v[12:13], v[14:15], a[12:15]
	v_mfma_f32_16x16x16_f16 a[8:11], v[36:37], v[14:15], a[8:11]
	;; [unrolled: 1-line block ×5, first 2 shown]
	ds_read2_b64 v[10:13], v91 offset0:24 offset1:28
	v_mfma_f32_16x16x16_f16 a[8:11], v[34:35], v[16:17], a[8:11]
	v_mfma_f32_16x16x16_f16 a[4:7], v[50:51], v[16:17], a[4:7]
	;; [unrolled: 1-line block ×3, first 2 shown]
	s_waitcnt lgkmcnt(0)
	v_mfma_f32_16x16x16_f16 a[12:15], v[24:25], v[10:11], a[12:15]
	v_mfma_f32_16x16x16_f16 a[8:11], v[32:33], v[10:11], a[8:11]
	;; [unrolled: 1-line block ×8, first 2 shown]
	ds_read2_b64 v[10:13], v91 offset0:32 offset1:36
	s_waitcnt lgkmcnt(0)
	v_mfma_f32_16x16x16_f16 a[12:15], v[20:21], v[10:11], a[12:15]
	v_mfma_f32_16x16x16_f16 a[8:11], v[28:29], v[10:11], a[8:11]
	;; [unrolled: 1-line block ×8, first 2 shown]
	s_andn2_b64 exec, exec, s[50:51]
	s_cbranch_execz .LBB103_135
.LBB103_84:                             ; =>This Inner Loop Header: Depth=1
	v_lshl_add_u64 v[10:11], v[8:9], 0, s[2:3]
	global_load_dword v0, v[8:9], off
	global_load_dword v26, v[10:11], off
	v_add_u32_e32 v10, s64, v88
	v_add_u32_e32 v14, s66, v88
	v_add_u32_e32 v16, s67, v88
	v_add_u32_e32 v22, s70, v88
	v_ashrrev_i32_e32 v11, 31, v10
	v_add_u32_e32 v12, s65, v88
	v_ashrrev_i32_e32 v15, 31, v14
	v_ashrrev_i32_e32 v17, 31, v16
	v_add_u32_e32 v18, s68, v88
	v_add_u32_e32 v20, s69, v88
	v_ashrrev_i32_e32 v23, 31, v22
	v_add_u32_e32 v24, s71, v88
	v_lshl_add_u64 v[10:11], v[10:11], 2, v[4:5]
	v_ashrrev_i32_e32 v13, 31, v12
	v_lshl_add_u64 v[14:15], v[14:15], 2, v[4:5]
	v_lshl_add_u64 v[16:17], v[16:17], 2, v[4:5]
	v_ashrrev_i32_e32 v19, 31, v18
	v_ashrrev_i32_e32 v21, 31, v20
	v_lshl_add_u64 v[22:23], v[22:23], 2, v[4:5]
	v_ashrrev_i32_e32 v25, 31, v24
	v_lshl_add_u64 v[12:13], v[12:13], 2, v[4:5]
	v_lshl_add_u64 v[18:19], v[18:19], 2, v[4:5]
	;; [unrolled: 1-line block ×4, first 2 shown]
	global_load_dword v27, v[10:11], off
	global_load_dword v28, v[12:13], off
	global_load_dword v29, v[14:15], off
	global_load_dword v30, v[16:17], off
	global_load_dword v31, v[18:19], off
	global_load_dword v32, v[20:21], off
	s_nop 0
	global_load_dword v22, v[22:23], off
	s_nop 0
	global_load_dword v23, v[24:25], off
	v_add_u32_e32 v10, s72, v88
	v_add_u32_e32 v14, s74, v88
	;; [unrolled: 1-line block ×3, first 2 shown]
	v_ashrrev_i32_e32 v11, 31, v10
	v_add_u32_e32 v12, s73, v88
	v_ashrrev_i32_e32 v15, 31, v14
	v_ashrrev_i32_e32 v17, 31, v16
	v_add_u32_e32 v18, s76, v88
	v_add_u32_e32 v20, s77, v88
	v_lshl_add_u64 v[10:11], v[10:11], 2, v[4:5]
	v_ashrrev_i32_e32 v13, 31, v12
	v_lshl_add_u64 v[14:15], v[14:15], 2, v[4:5]
	v_lshl_add_u64 v[16:17], v[16:17], 2, v[4:5]
	v_ashrrev_i32_e32 v19, 31, v18
	v_ashrrev_i32_e32 v21, 31, v20
	v_lshl_add_u64 v[12:13], v[12:13], 2, v[4:5]
	v_lshl_add_u64 v[18:19], v[18:19], 2, v[4:5]
	;; [unrolled: 1-line block ×3, first 2 shown]
	global_load_dword v24, v[10:11], off
	global_load_dword v25, v[12:13], off
	s_nop 0
	global_load_dword v14, v[14:15], off
	s_nop 0
	global_load_dword v15, v[16:17], off
	s_nop 0
	global_load_dword v16, v[18:19], off
	global_load_dword v17, v[20:21], off
	v_add_u32_e32 v10, s78, v88
	v_add_u32_e32 v12, s79, v88
	v_ashrrev_i32_e32 v11, 31, v10
	v_ashrrev_i32_e32 v13, 31, v12
	v_lshl_add_u64 v[10:11], v[10:11], 2, v[4:5]
	v_add_u32_e32 v18, s80, v88
	v_lshl_add_u64 v[12:13], v[12:13], 2, v[4:5]
	global_load_dword v34, v[10:11], off
	global_load_dword v35, v[12:13], off
	v_ashrrev_i32_e32 v19, 31, v18
	v_add_u32_e32 v20, s81, v88
	v_lshl_add_u64 v[18:19], v[18:19], 2, v[4:5]
	v_ashrrev_i32_e32 v21, 31, v20
	v_lshl_add_u64 v[20:21], v[20:21], 2, v[4:5]
	s_andn2_b64 vcc, exec, s[14:15]
	s_waitcnt vmcnt(17)
	ds_write_b32 v90, v0 offset:64
	s_waitcnt vmcnt(16)
	ds_write_b32 v90, v26 offset:328
	;; [unrolled: 2-line block ×16, first 2 shown]
	v_add_u32_e32 v22, s82, v88
	v_add_u32_e32 v24, s83, v88
	;; [unrolled: 1-line block ×6, first 2 shown]
	v_ashrrev_i32_e32 v23, 31, v22
	v_ashrrev_i32_e32 v25, 31, v24
	;; [unrolled: 1-line block ×6, first 2 shown]
	ds_read_b64 v[16:17], v91 offset:64
	ds_read_b64 v[14:15], v91 offset:96
	;; [unrolled: 1-line block ×4, first 2 shown]
	v_lshl_add_u64 v[22:23], v[22:23], 2, v[4:5]
	v_lshl_add_u64 v[24:25], v[24:25], 2, v[4:5]
	v_lshl_add_u64 v[26:27], v[26:27], 2, v[4:5]
	v_lshl_add_u64 v[28:29], v[28:29], 2, v[4:5]
	v_lshl_add_u64 v[30:31], v[30:31], 2, v[4:5]
	v_lshl_add_u64 v[32:33], v[32:33], 2, v[4:5]
	global_load_dword v0, v[18:19], off
	global_load_dword v36, v[20:21], off
	global_load_dword v37, v[22:23], off
	global_load_dword v38, v[24:25], off
	global_load_dword v39, v[26:27], off
	global_load_dword v40, v[28:29], off
	global_load_dword v41, v[30:31], off
	global_load_dword v42, v[32:33], off
	v_add_u32_e32 v18, s88, v88
	v_ashrrev_i32_e32 v19, 31, v18
	v_add_u32_e32 v20, s89, v88
	v_add_u32_e32 v22, s90, v88
	v_add_u32_e32 v24, s91, v88
	v_add_u32_e32 v26, s92, v88
	v_add_u32_e32 v28, s93, v88
	v_add_u32_e32 v30, s94, v88
	v_add_u32_e32 v32, s95, v88
	v_lshl_add_u64 v[18:19], v[18:19], 2, v[4:5]
	v_ashrrev_i32_e32 v21, 31, v20
	v_ashrrev_i32_e32 v23, 31, v22
	v_ashrrev_i32_e32 v25, 31, v24
	v_ashrrev_i32_e32 v27, 31, v26
	v_ashrrev_i32_e32 v29, 31, v28
	v_ashrrev_i32_e32 v31, 31, v30
	v_ashrrev_i32_e32 v33, 31, v32
	v_lshl_add_u64 v[20:21], v[20:21], 2, v[4:5]
	v_lshl_add_u64 v[22:23], v[22:23], 2, v[4:5]
	v_lshl_add_u64 v[24:25], v[24:25], 2, v[4:5]
	v_lshl_add_u64 v[26:27], v[26:27], 2, v[4:5]
	v_lshl_add_u64 v[28:29], v[28:29], 2, v[4:5]
	v_lshl_add_u64 v[30:31], v[30:31], 2, v[4:5]
	v_lshl_add_u64 v[32:33], v[32:33], 2, v[4:5]
	global_load_dword v43, v[18:19], off
	global_load_dword v44, v[20:21], off
	global_load_dword v45, v[22:23], off
	global_load_dword v46, v[24:25], off
	global_load_dword v47, v[26:27], off
	global_load_dword v48, v[28:29], off
	global_load_dword v49, v[30:31], off
	global_load_dword v50, v[32:33], off
	v_add_u32_e32 v18, s96, v88
	v_ashrrev_i32_e32 v19, 31, v18
	v_add_u32_e32 v20, s97, v88
	v_add_u32_e32 v22, s98, v88
	v_add_u32_e32 v24, s99, v88
	v_add_u32_e32 v26, s5, v88
	v_add_u32_e32 v28, s42, v88
	v_add_u32_e32 v30, s43, v88
	v_add_u32_e32 v32, s46, v88
	v_lshl_add_u64 v[18:19], v[18:19], 2, v[4:5]
	v_ashrrev_i32_e32 v21, 31, v20
	v_ashrrev_i32_e32 v23, 31, v22
	v_ashrrev_i32_e32 v25, 31, v24
	v_ashrrev_i32_e32 v27, 31, v26
	v_ashrrev_i32_e32 v29, 31, v28
	v_ashrrev_i32_e32 v31, 31, v30
	v_ashrrev_i32_e32 v33, 31, v32
	v_lshl_add_u64 v[20:21], v[20:21], 2, v[4:5]
	v_lshl_add_u64 v[22:23], v[22:23], 2, v[4:5]
	v_lshl_add_u64 v[24:25], v[24:25], 2, v[4:5]
	v_lshl_add_u64 v[26:27], v[26:27], 2, v[4:5]
	v_lshl_add_u64 v[28:29], v[28:29], 2, v[4:5]
	v_lshl_add_u64 v[30:31], v[30:31], 2, v[4:5]
	v_lshl_add_u64 v[32:33], v[32:33], 2, v[4:5]
	global_load_dword v51, v[18:19], off
	global_load_dword v52, v[20:21], off
	global_load_dword v53, v[22:23], off
	global_load_dword v54, v[24:25], off
	global_load_dword v55, v[26:27], off
	global_load_dword v56, v[28:29], off
	global_load_dword v57, v[30:31], off
	global_load_dword v58, v[32:33], off
	v_add_u32_e32 v18, s47, v88
	v_ashrrev_i32_e32 v19, 31, v18
	v_add_u32_e32 v20, s12, v88
	v_add_u32_e32 v22, s13, v88
	v_add_u32_e32 v24, s44, v88
	v_add_u32_e32 v26, s45, v88
	v_add_u32_e32 v28, s6, v88
	v_add_u32_e32 v30, s7, v88
	v_add_u32_e32 v32, s8, v88
	v_lshl_add_u64 v[18:19], v[18:19], 2, v[4:5]
	v_ashrrev_i32_e32 v21, 31, v20
	v_ashrrev_i32_e32 v23, 31, v22
	v_ashrrev_i32_e32 v25, 31, v24
	v_ashrrev_i32_e32 v27, 31, v26
	v_ashrrev_i32_e32 v29, 31, v28
	v_ashrrev_i32_e32 v31, 31, v30
	v_ashrrev_i32_e32 v33, 31, v32
	v_lshl_add_u64 v[20:21], v[20:21], 2, v[4:5]
	v_lshl_add_u64 v[22:23], v[22:23], 2, v[4:5]
	v_lshl_add_u64 v[24:25], v[24:25], 2, v[4:5]
	v_lshl_add_u64 v[26:27], v[26:27], 2, v[4:5]
	v_lshl_add_u64 v[28:29], v[28:29], 2, v[4:5]
	v_lshl_add_u64 v[30:31], v[30:31], 2, v[4:5]
	v_lshl_add_u64 v[32:33], v[32:33], 2, v[4:5]
	global_load_dword v59, v[18:19], off
	global_load_dword v60, v[20:21], off
	global_load_dword v61, v[22:23], off
	global_load_dword v62, v[24:25], off
	global_load_dword v63, v[26:27], off
	global_load_dword v64, v[28:29], off
	global_load_dword v65, v[30:31], off
	global_load_dword v66, v[32:33], off
	v_add_u32_e32 v18, s9, v88
	v_ashrrev_i32_e32 v19, 31, v18
	v_add_u32_e32 v20, s0, v88
	v_add_u32_e32 v22, s1, v88
	v_add_u32_e32 v24, s10, v88
	v_add_u32_e32 v26, s11, v88
	v_add_u32_e32 v28, s54, v88
	v_add_u32_e32 v30, s55, v88
	v_add_u32_e32 v32, s62, v88
	v_lshl_add_u64 v[18:19], v[18:19], 2, v[4:5]
	v_ashrrev_i32_e32 v21, 31, v20
	v_ashrrev_i32_e32 v23, 31, v22
	v_ashrrev_i32_e32 v25, 31, v24
	v_ashrrev_i32_e32 v27, 31, v26
	v_ashrrev_i32_e32 v29, 31, v28
	v_ashrrev_i32_e32 v31, 31, v30
	v_ashrrev_i32_e32 v33, 31, v32
	v_lshl_add_u64 v[20:21], v[20:21], 2, v[4:5]
	v_lshl_add_u64 v[22:23], v[22:23], 2, v[4:5]
	v_lshl_add_u64 v[24:25], v[24:25], 2, v[4:5]
	;; [unrolled: 1-line block ×6, first 2 shown]
	global_load_dword v67, v[18:19], off
	global_load_dword v68, v[20:21], off
	;; [unrolled: 1-line block ×8, first 2 shown]
	v_add_u32_e32 v18, s33, v88
	v_ashrrev_i32_e32 v19, 31, v18
	v_add_u32_e32 v20, s4, v88
	v_add_u32_e32 v22, s56, v88
	;; [unrolled: 1-line block ×5, first 2 shown]
	v_lshl_add_u64 v[18:19], v[18:19], 2, v[4:5]
	v_ashrrev_i32_e32 v21, 31, v20
	v_ashrrev_i32_e32 v23, 31, v22
	;; [unrolled: 1-line block ×5, first 2 shown]
	v_lshl_add_u64 v[20:21], v[20:21], 2, v[4:5]
	v_lshl_add_u64 v[22:23], v[22:23], 2, v[4:5]
	;; [unrolled: 1-line block ×5, first 2 shown]
	global_load_dword v75, v[18:19], off
	global_load_dword v76, v[20:21], off
	;; [unrolled: 1-line block ×6, first 2 shown]
	ds_read_b64 v[24:25], v91 offset:192
	ds_read_b64 v[22:23], v91 offset:224
	ds_read_b64 v[20:21], v91 offset:256
	ds_read_b64 v[18:19], v91 offset:288
	s_waitcnt vmcnt(47)
	ds_write_b32 v90, v34 offset:64
	s_waitcnt vmcnt(46)
	ds_write_b32 v90, v35 offset:328
	s_waitcnt vmcnt(45)
	ds_write_b32 v90, v0 offset:592
	s_waitcnt vmcnt(44)
	ds_write_b32 v90, v36 offset:856
	s_waitcnt vmcnt(43)
	ds_write_b32 v90, v37 offset:1120
	s_waitcnt vmcnt(42)
	ds_write_b32 v90, v38 offset:1384
	s_waitcnt vmcnt(41)
	ds_write_b32 v90, v39 offset:1648
	s_waitcnt vmcnt(40)
	ds_write_b32 v90, v40 offset:1912
	s_waitcnt vmcnt(39)
	ds_write_b32 v90, v41 offset:2176
	s_waitcnt vmcnt(38)
	ds_write_b32 v90, v42 offset:2440
	s_waitcnt vmcnt(37)
	ds_write_b32 v90, v43 offset:2704
	s_waitcnt vmcnt(36)
	ds_write_b32 v90, v44 offset:2968
	s_waitcnt vmcnt(35)
	ds_write_b32 v90, v45 offset:3232
	s_waitcnt vmcnt(34)
	ds_write_b32 v90, v46 offset:3496
	s_waitcnt vmcnt(33)
	ds_write_b32 v90, v47 offset:3760
	s_waitcnt vmcnt(32)
	ds_write_b32 v90, v48 offset:4024
	ds_read_b64 v[42:43], v91 offset:64
	ds_read_b64 v[40:41], v91 offset:96
	ds_read_b64 v[36:37], v91 offset:128
	ds_read_b64 v[34:35], v91 offset:160
	ds_read_b64 v[32:33], v91 offset:192
	ds_read_b64 v[30:31], v91 offset:224
	ds_read_b64 v[28:29], v91 offset:256
	ds_read_b64 v[26:27], v91 offset:288
	s_waitcnt vmcnt(31)
	ds_write_b32 v90, v49 offset:64
	s_waitcnt vmcnt(30)
	ds_write_b32 v90, v50 offset:328
	s_waitcnt vmcnt(29)
	ds_write_b32 v90, v51 offset:592
	s_waitcnt vmcnt(28)
	ds_write_b32 v90, v52 offset:856
	s_waitcnt vmcnt(27)
	ds_write_b32 v90, v53 offset:1120
	s_waitcnt vmcnt(26)
	ds_write_b32 v90, v54 offset:1384
	s_waitcnt vmcnt(25)
	ds_write_b32 v90, v55 offset:1648
	s_waitcnt vmcnt(24)
	ds_write_b32 v90, v56 offset:1912
	s_waitcnt vmcnt(23)
	ds_write_b32 v90, v57 offset:2176
	s_waitcnt vmcnt(22)
	ds_write_b32 v90, v58 offset:2440
	s_waitcnt vmcnt(21)
	ds_write_b32 v90, v59 offset:2704
	s_waitcnt vmcnt(20)
	ds_write_b32 v90, v60 offset:2968
	s_waitcnt vmcnt(19)
	ds_write_b32 v90, v61 offset:3232
	s_waitcnt vmcnt(18)
	ds_write_b32 v90, v62 offset:3496
	s_waitcnt vmcnt(17)
	ds_write_b32 v90, v63 offset:3760
	s_waitcnt vmcnt(16)
	ds_write_b32 v90, v64 offset:4024
	ds_read_b64 v[56:57], v91 offset:64
	ds_read_b64 v[54:55], v91 offset:96
	ds_read_b64 v[52:53], v91 offset:128
	ds_read_b64 v[50:51], v91 offset:160
	;; [unrolled: 40-line block ×3, first 2 shown]
	ds_read_b64 v[68:69], v91 offset:192
	ds_read_b64 v[64:65], v91 offset:224
	;; [unrolled: 1-line block ×4, first 2 shown]
	v_mov_b32_e32 v76, 0
	v_mov_b32_e32 v77, 0
	;; [unrolled: 1-line block ×3, first 2 shown]
	s_cbranch_vccnz .LBB103_88
; %bb.85:                               ;   in Loop: Header=BB103_84 Depth=1
	ds_read_b32 v0, v89
	s_waitcnt lgkmcnt(0)
	v_cmp_gt_i32_e32 vcc, 0, v0
	s_cbranch_vccnz .LBB103_87
; %bb.86:                               ;   in Loop: Header=BB103_84 Depth=1
	v_mul_lo_u32 v0, v0, s57
	v_add_u32_e32 v76, v92, v0
	v_ashrrev_i32_e32 v77, 31, v76
	v_lshl_add_u64 v[76:77], v[76:77], 2, v[6:7]
	global_load_dwordx2 v[76:77], v[76:77], off
	s_branch .LBB103_88
.LBB103_87:                             ;   in Loop: Header=BB103_84 Depth=1
	v_mov_b32_e32 v76, 0
	v_mov_b32_e32 v77, 0
.LBB103_88:                             ;   in Loop: Header=BB103_84 Depth=1
	s_waitcnt vmcnt(0)
	v_cvt_pk_f16_f32 v0, v76, v77
	s_andn2_b64 vcc, exec, s[16:17]
	v_mov_b32_e32 v76, 0
	v_mov_b32_e32 v77, 0
	ds_write_b32 v90, v0 offset:64
	s_cbranch_vccnz .LBB103_92
; %bb.89:                               ;   in Loop: Header=BB103_84 Depth=1
	ds_read_b32 v0, v89 offset:4
	s_waitcnt lgkmcnt(0)
	v_cmp_gt_i32_e32 vcc, 0, v0
	s_cbranch_vccnz .LBB103_91
; %bb.90:                               ;   in Loop: Header=BB103_84 Depth=1
	v_mul_lo_u32 v0, v0, s57
	v_add_u32_e32 v0, s52, v0
	v_add_u32_e32 v76, v0, v92
	v_ashrrev_i32_e32 v77, 31, v76
	v_lshl_add_u64 v[76:77], v[76:77], 2, v[6:7]
	global_load_dwordx2 v[76:77], v[76:77], off
	s_branch .LBB103_92
.LBB103_91:                             ;   in Loop: Header=BB103_84 Depth=1
	v_mov_b32_e32 v76, 0
	v_mov_b32_e32 v77, 0
.LBB103_92:                             ;   in Loop: Header=BB103_84 Depth=1
	s_waitcnt vmcnt(0)
	v_cvt_pk_f16_f32 v0, v76, v77
	v_mov_b32_e32 v76, 0
	s_andn2_b64 vcc, exec, s[18:19]
	v_mov_b32_e32 v75, 0
	ds_write_b32 v90, v0 offset:328
	s_cbranch_vccnz .LBB103_96
; %bb.93:                               ;   in Loop: Header=BB103_84 Depth=1
	ds_read_b32 v0, v89 offset:8
	s_waitcnt lgkmcnt(0)
	v_cmp_gt_i32_e32 vcc, 0, v0
	s_cbranch_vccnz .LBB103_95
; %bb.94:                               ;   in Loop: Header=BB103_84 Depth=1
	v_mul_lo_u32 v0, v0, s57
	v_add_u32_e32 v0, s49, v0
	v_add_u32_e32 v74, v0, v92
	v_ashrrev_i32_e32 v75, 31, v74
	v_lshl_add_u64 v[74:75], v[74:75], 2, v[6:7]
	global_load_dwordx2 v[74:75], v[74:75], off
	s_branch .LBB103_96
.LBB103_95:                             ;   in Loop: Header=BB103_84 Depth=1
	v_mov_b32_e32 v74, 0
	v_mov_b32_e32 v75, 0
.LBB103_96:                             ;   in Loop: Header=BB103_84 Depth=1
	s_waitcnt vmcnt(0)
	v_cvt_pk_f16_f32 v0, v74, v75
	s_andn2_b64 vcc, exec, s[20:21]
	v_mov_b32_e32 v74, 0
	v_mov_b32_e32 v75, 0
	ds_write_b32 v90, v0 offset:592
	s_cbranch_vccnz .LBB103_100
; %bb.97:                               ;   in Loop: Header=BB103_84 Depth=1
	ds_read_b32 v0, v89 offset:12
	s_waitcnt lgkmcnt(0)
	v_cmp_gt_i32_e32 vcc, 0, v0
	s_cbranch_vccnz .LBB103_99
; %bb.98:                               ;   in Loop: Header=BB103_84 Depth=1
	v_mul_lo_u32 v0, v0, s57
	v_readlane_b32 vcc_lo, v94, 25
	s_nop 1
	v_add_u32_e32 v0, vcc_lo, v0
	v_add_u32_e32 v74, v0, v92
	v_ashrrev_i32_e32 v75, 31, v74
	v_lshl_add_u64 v[74:75], v[74:75], 2, v[6:7]
	global_load_dwordx2 v[74:75], v[74:75], off
	s_branch .LBB103_100
.LBB103_99:                             ;   in Loop: Header=BB103_84 Depth=1
	v_mov_b32_e32 v74, 0
	v_mov_b32_e32 v75, 0
.LBB103_100:                            ;   in Loop: Header=BB103_84 Depth=1
	s_waitcnt vmcnt(0)
	v_cvt_pk_f16_f32 v0, v74, v75
	v_mov_b32_e32 v74, 0
	s_andn2_b64 vcc, exec, s[22:23]
	v_mov_b32_e32 v77, 0
	ds_write_b32 v90, v0 offset:856
	s_cbranch_vccnz .LBB103_104
; %bb.101:                              ;   in Loop: Header=BB103_84 Depth=1
	ds_read_b32 v0, v89 offset:16
	s_waitcnt lgkmcnt(0)
	v_cmp_gt_i32_e32 vcc, 0, v0
	s_cbranch_vccnz .LBB103_103
; %bb.102:                              ;   in Loop: Header=BB103_84 Depth=1
	v_mul_lo_u32 v0, v0, s57
	v_readlane_b32 vcc_lo, v94, 24
	s_nop 1
	v_add_u32_e32 v0, vcc_lo, v0
	v_add_u32_e32 v76, v0, v92
	v_ashrrev_i32_e32 v77, 31, v76
	v_lshl_add_u64 v[76:77], v[76:77], 2, v[6:7]
	global_load_dwordx2 v[76:77], v[76:77], off
	s_branch .LBB103_104
.LBB103_103:                            ;   in Loop: Header=BB103_84 Depth=1
	v_mov_b32_e32 v76, 0
	v_mov_b32_e32 v77, 0
.LBB103_104:                            ;   in Loop: Header=BB103_84 Depth=1
	s_waitcnt vmcnt(0)
	v_cvt_pk_f16_f32 v0, v76, v77
	s_andn2_b64 vcc, exec, s[24:25]
	v_mov_b32_e32 v76, 0
	v_mov_b32_e32 v77, 0
	ds_write_b32 v90, v0 offset:1120
	s_cbranch_vccnz .LBB103_108
; %bb.105:                              ;   in Loop: Header=BB103_84 Depth=1
	ds_read_b32 v0, v89 offset:20
	s_waitcnt lgkmcnt(0)
	v_cmp_gt_i32_e32 vcc, 0, v0
	s_cbranch_vccnz .LBB103_107
; %bb.106:                              ;   in Loop: Header=BB103_84 Depth=1
	v_mul_lo_u32 v0, v0, s57
	v_readlane_b32 vcc_lo, v94, 27
	s_nop 1
	v_add_u32_e32 v0, vcc_lo, v0
	v_add_u32_e32 v76, v0, v92
	v_ashrrev_i32_e32 v77, 31, v76
	v_lshl_add_u64 v[76:77], v[76:77], 2, v[6:7]
	global_load_dwordx2 v[76:77], v[76:77], off
	s_branch .LBB103_108
.LBB103_107:                            ;   in Loop: Header=BB103_84 Depth=1
	v_mov_b32_e32 v76, 0
	v_mov_b32_e32 v77, 0
.LBB103_108:                            ;   in Loop: Header=BB103_84 Depth=1
	s_waitcnt vmcnt(0)
	v_cvt_pk_f16_f32 v0, v76, v77
	v_mov_b32_e32 v78, 0
	s_andn2_b64 vcc, exec, s[26:27]
	v_mov_b32_e32 v75, 0
	ds_write_b32 v90, v0 offset:1384
	s_cbranch_vccnz .LBB103_112
; %bb.109:                              ;   in Loop: Header=BB103_84 Depth=1
	ds_read_b32 v0, v89 offset:24
	s_waitcnt lgkmcnt(0)
	v_cmp_gt_i32_e32 vcc, 0, v0
	s_cbranch_vccnz .LBB103_111
; %bb.110:                              ;   in Loop: Header=BB103_84 Depth=1
	v_mul_lo_u32 v0, v0, s57
	v_readlane_b32 vcc_lo, v94, 28
	s_nop 1
	v_add_u32_e32 v0, vcc_lo, v0
	v_add_u32_e32 v74, v0, v92
	v_ashrrev_i32_e32 v75, 31, v74
	v_lshl_add_u64 v[74:75], v[74:75], 2, v[6:7]
	global_load_dwordx2 v[74:75], v[74:75], off
	s_branch .LBB103_112
.LBB103_111:                            ;   in Loop: Header=BB103_84 Depth=1
	v_mov_b32_e32 v74, 0
	v_mov_b32_e32 v75, 0
.LBB103_112:                            ;   in Loop: Header=BB103_84 Depth=1
	s_waitcnt vmcnt(0)
	v_cvt_pk_f16_f32 v0, v74, v75
	s_andn2_b64 vcc, exec, s[28:29]
	v_mov_b32_e32 v74, 0
	v_mov_b32_e32 v75, 0
	ds_write_b32 v90, v0 offset:1648
	s_cbranch_vccnz .LBB103_116
; %bb.113:                              ;   in Loop: Header=BB103_84 Depth=1
	ds_read_b32 v0, v89 offset:28
	s_waitcnt lgkmcnt(0)
	v_cmp_gt_i32_e32 vcc, 0, v0
	s_cbranch_vccnz .LBB103_115
; %bb.114:                              ;   in Loop: Header=BB103_84 Depth=1
	v_mul_lo_u32 v0, v0, s57
	v_add_u32_e32 v0, s63, v0
	v_add_u32_e32 v74, v0, v92
	v_ashrrev_i32_e32 v75, 31, v74
	v_lshl_add_u64 v[74:75], v[74:75], 2, v[6:7]
	global_load_dwordx2 v[74:75], v[74:75], off
	s_branch .LBB103_116
.LBB103_115:                            ;   in Loop: Header=BB103_84 Depth=1
	v_mov_b32_e32 v74, 0
	v_mov_b32_e32 v75, 0
.LBB103_116:                            ;   in Loop: Header=BB103_84 Depth=1
	s_waitcnt vmcnt(0)
	v_cvt_pk_f16_f32 v0, v74, v75
	v_mov_b32_e32 v76, 0
	s_andn2_b64 vcc, exec, s[30:31]
	v_mov_b32_e32 v79, 0
	ds_write_b32 v90, v0 offset:1912
	s_cbranch_vccnz .LBB103_120
; %bb.117:                              ;   in Loop: Header=BB103_84 Depth=1
	ds_read_b32 v0, v89 offset:32
	s_waitcnt lgkmcnt(0)
	v_cmp_gt_i32_e32 vcc, 0, v0
	s_cbranch_vccnz .LBB103_119
; %bb.118:                              ;   in Loop: Header=BB103_84 Depth=1
	v_mul_lo_u32 v0, v0, s57
	v_readlane_b32 vcc_lo, v94, 26
	s_nop 1
	v_add_u32_e32 v0, vcc_lo, v0
	v_add_u32_e32 v74, v0, v92
	v_ashrrev_i32_e32 v75, 31, v74
	v_lshl_add_u64 v[74:75], v[74:75], 2, v[6:7]
	global_load_dwordx2 v[78:79], v[74:75], off
	s_branch .LBB103_120
.LBB103_119:                            ;   in Loop: Header=BB103_84 Depth=1
	v_mov_b32_e32 v78, 0
	v_mov_b32_e32 v79, 0
.LBB103_120:                            ;   in Loop: Header=BB103_84 Depth=1
	s_waitcnt vmcnt(0)
	v_cvt_pk_f16_f32 v0, v78, v79
	s_andn2_b64 vcc, exec, s[34:35]
	v_mov_b32_e32 v74, 0
	v_mov_b32_e32 v75, 0
	ds_write_b32 v90, v0 offset:2176
	s_cbranch_vccnz .LBB103_124
; %bb.121:                              ;   in Loop: Header=BB103_84 Depth=1
	ds_read_b32 v0, v89 offset:36
	s_waitcnt lgkmcnt(0)
	v_cmp_gt_i32_e32 vcc, 0, v0
	s_cbranch_vccnz .LBB103_123
; %bb.122:                              ;   in Loop: Header=BB103_84 Depth=1
	v_mul_lo_u32 v0, v0, s57
	v_readlane_b32 vcc_lo, v94, 32
	s_nop 1
	v_add_u32_e32 v0, vcc_lo, v0
	v_add_u32_e32 v74, v0, v92
	v_ashrrev_i32_e32 v75, 31, v74
	v_lshl_add_u64 v[74:75], v[74:75], 2, v[6:7]
	global_load_dwordx2 v[74:75], v[74:75], off
	s_branch .LBB103_124
.LBB103_123:                            ;   in Loop: Header=BB103_84 Depth=1
	v_mov_b32_e32 v74, 0
	v_mov_b32_e32 v75, 0
.LBB103_124:                            ;   in Loop: Header=BB103_84 Depth=1
	s_waitcnt vmcnt(0)
	v_cvt_pk_f16_f32 v0, v74, v75
	v_mov_b32_e32 v74, 0
	s_andn2_b64 vcc, exec, s[36:37]
	v_mov_b32_e32 v77, 0
	ds_write_b32 v90, v0 offset:2440
	s_cbranch_vccnz .LBB103_128
; %bb.125:                              ;   in Loop: Header=BB103_84 Depth=1
	ds_read_b32 v0, v89 offset:40
	s_waitcnt lgkmcnt(0)
	v_cmp_gt_i32_e32 vcc, 0, v0
	s_cbranch_vccnz .LBB103_127
; %bb.126:                              ;   in Loop: Header=BB103_84 Depth=1
	v_mul_lo_u32 v0, v0, s57
	v_readlane_b32 vcc_lo, v94, 31
	s_nop 1
	v_add_u32_e32 v0, vcc_lo, v0
	v_add_u32_e32 v76, v0, v92
	v_ashrrev_i32_e32 v77, 31, v76
	v_lshl_add_u64 v[76:77], v[76:77], 2, v[6:7]
	global_load_dwordx2 v[76:77], v[76:77], off
	s_branch .LBB103_128
.LBB103_127:                            ;   in Loop: Header=BB103_84 Depth=1
	v_mov_b32_e32 v76, 0
	v_mov_b32_e32 v77, 0
.LBB103_128:                            ;   in Loop: Header=BB103_84 Depth=1
	s_waitcnt vmcnt(0)
	v_cvt_pk_f16_f32 v0, v76, v77
	s_andn2_b64 vcc, exec, s[38:39]
	v_mov_b32_e32 v76, 0
	v_mov_b32_e32 v77, 0
	ds_write_b32 v90, v0 offset:2704
	s_cbranch_vccnz .LBB103_132
; %bb.129:                              ;   in Loop: Header=BB103_84 Depth=1
	ds_read_b32 v0, v89 offset:44
	s_waitcnt lgkmcnt(0)
	v_cmp_gt_i32_e32 vcc, 0, v0
	s_cbranch_vccnz .LBB103_131
; %bb.130:                              ;   in Loop: Header=BB103_84 Depth=1
	v_mul_lo_u32 v0, v0, s57
	v_readlane_b32 vcc_lo, v94, 30
	s_nop 1
	v_add_u32_e32 v0, vcc_lo, v0
	v_add_u32_e32 v76, v0, v92
	v_ashrrev_i32_e32 v77, 31, v76
	v_lshl_add_u64 v[76:77], v[76:77], 2, v[6:7]
	global_load_dwordx2 v[76:77], v[76:77], off
	s_branch .LBB103_132
.LBB103_131:                            ;   in Loop: Header=BB103_84 Depth=1
	v_mov_b32_e32 v76, 0
	v_mov_b32_e32 v77, 0
.LBB103_132:                            ;   in Loop: Header=BB103_84 Depth=1
	s_waitcnt vmcnt(0)
	v_cvt_pk_f16_f32 v0, v76, v77
	s_andn2_b64 vcc, exec, s[40:41]
	v_mov_b32_e32 v75, 0
	ds_write_b32 v90, v0 offset:2968
	s_cbranch_vccnz .LBB103_83
; %bb.133:                              ;   in Loop: Header=BB103_84 Depth=1
	ds_read_b32 v0, v89 offset:48
	s_waitcnt lgkmcnt(0)
	v_cmp_gt_i32_e32 vcc, 0, v0
	s_cbranch_vccz .LBB103_82
; %bb.134:                              ;   in Loop: Header=BB103_84 Depth=1
	v_mov_b32_e32 v74, 0
	v_mov_b32_e32 v75, 0
	s_branch .LBB103_83
.LBB103_135:
	s_or_b64 exec, exec, s[50:51]
	v_readlane_b32 s30, v94, 16
	v_readlane_b32 s36, v94, 20
	;; [unrolled: 1-line block ×8, first 2 shown]
.LBB103_136:
	v_readlane_b32 s0, v94, 14
	v_readlane_b32 s1, v94, 15
	s_or_b64 exec, exec, s[0:1]
	v_mov_b32_e32 v0, 0x100
	v_lshl_add_u32 v8, v86, 2, v0
	v_mul_u32_u24_e32 v1, 0x208, v87
	v_and_b32_e32 v4, 0x3f0, v2
	v_add3_u32 v1, v8, v1, v4
	v_accvgpr_read_b32 v4, a13
	v_accvgpr_read_b32 v5, a12
	s_waitcnt lgkmcnt(0)
	s_barrier
	ds_write2_b32 v1, v5, v4 offset0:16 offset1:17
	v_accvgpr_read_b32 v4, a15
	v_accvgpr_read_b32 v5, a14
	ds_write2_b32 v1, v5, v4 offset0:18 offset1:19
	v_accvgpr_read_b32 v4, a9
	v_accvgpr_read_b32 v5, a8
	;; [unrolled: 3-line block ×5, first 2 shown]
	s_movk_i32 s0, 0x208
	ds_write2_b32 v1, v5, v4 offset0:50 offset1:51
	v_accvgpr_read_b32 v4, a1
	v_accvgpr_read_b32 v5, a0
	v_lshl_add_u32 v6, v2, 2, v0
	ds_write2_b32 v1, v5, v4 offset0:64 offset1:65
	v_accvgpr_read_b32 v4, a3
	v_accvgpr_read_b32 v5, a2
	v_mad_u32_u24 v0, v80, s0, v6
	ds_write2_b32 v1, v5, v4 offset0:66 offset1:67
	s_waitcnt lgkmcnt(0)
	s_barrier
	ds_read2_b32 v[4:5], v0 offset0:16 offset1:80
	v_cmp_gt_u32_e32 vcc, 13, v80
	v_mov_b32_e32 v9, -1
	s_and_saveexec_b64 s[0:1], vcc
; %bb.137:
	s_movk_i32 s2, 0xff04
	v_mad_i32_i24 v0, v80, s2, v8
	ds_read_b32 v9, v0
; %bb.138:
	s_or_b64 exec, exec, s[0:1]
	s_mul_hi_i32 s1, s38, s28
	s_mul_i32 s0, s38, s28
	s_lshl_b64 s[0:1], s[0:1], 2
	v_readlane_b32 s2, v94, 12
	v_mul_hi_i32 v1, v3, s53
	v_mul_lo_u32 v0, v3, s53
	v_readlane_b32 s3, v94, 13
	s_add_u32 s0, s2, s0
	s_addc_u32 s1, s3, s1
	v_lshlrev_b64 v[0:1], 2, v[0:1]
	s_waitcnt lgkmcnt(0)
	v_cmp_lt_i32_e32 vcc, -1, v9
	v_mul_u32_u24_e32 v10, 0x208, v80
	v_add_u32_e32 v7, s7, v2
	v_lshl_add_u64 v[0:1], s[0:1], 0, v[0:1]
	s_and_b64 s[2:3], vcc, s[30:31]
	s_and_saveexec_b64 s[0:1], s[2:3]
	s_cbranch_execz .LBB103_140
; %bb.139:
	v_add_f32_e32 v2, 0, v4
	v_add_f32_e32 v4, v2, v5
	v_mul_lo_u32 v2, v9, s58
	v_mul_lo_u32 v3, v80, s53
	v_add3_u32 v2, v7, v3, v2
	v_mov_b32_e32 v3, 0
	v_lshl_add_u64 v[2:3], v[2:3], 2, v[0:1]
	global_store_dword v[2:3], v4, off
.LBB103_140:
	s_or_b64 exec, exec, s[0:1]
	v_add_u32_e32 v4, v10, v6
	v_add_u32_e32 v2, 0x50, v4
	ds_read2st64_b32 v[2:3], v2 offset0:4 offset1:5
	v_cmp_gt_u32_e32 vcc, 11, v80
	v_mov_b32_e32 v5, -1
	s_and_saveexec_b64 s[0:1], vcc
; %bb.141:
	s_movk_i32 s2, 0xff04
	v_mad_i32_i24 v5, v80, s2, v8
	ds_read_b32 v5, v5 offset:8
; %bb.142:
	s_or_b64 exec, exec, s[0:1]
	v_readlane_b32 s0, v94, 0
	s_waitcnt lgkmcnt(0)
	v_cmp_lt_i32_e32 vcc, -1, v5
	v_readlane_b32 s1, v94, 1
	s_and_b64 s[2:3], vcc, s[0:1]
	s_and_saveexec_b64 s[0:1], s[2:3]
	s_cbranch_execz .LBB103_144
; %bb.143:
	v_add_f32_e32 v2, 0, v2
	v_add_f32_e32 v8, v2, v3
	v_mul_lo_u32 v2, v5, s58
	v_mul_lo_u32 v3, v81, s53
	v_add3_u32 v2, v7, v3, v2
	v_mov_b32_e32 v3, 0
	v_lshl_add_u64 v[2:3], v[2:3], 2, v[0:1]
	global_store_dword v[2:3], v8, off
.LBB103_144:
	s_or_b64 exec, exec, s[0:1]
	v_add_u32_e32 v2, 0x60, v4
	ds_read2st64_b32 v[2:3], v2 offset0:8 offset1:9
	v_cmp_gt_u32_e32 vcc, 9, v80
	v_mov_b32_e32 v5, -1
	s_and_saveexec_b64 s[0:1], vcc
; %bb.145:
	v_mov_b32_e32 v5, 0x100
	v_lshl_add_u32 v5, v80, 2, v5
	ds_read_b32 v5, v5 offset:16
; %bb.146:
	s_or_b64 exec, exec, s[0:1]
	v_readlane_b32 s0, v94, 2
	s_waitcnt lgkmcnt(0)
	v_cmp_lt_i32_e32 vcc, -1, v5
	v_readlane_b32 s1, v94, 3
	s_and_b64 s[2:3], vcc, s[0:1]
	s_and_saveexec_b64 s[0:1], s[2:3]
	s_cbranch_execz .LBB103_148
; %bb.147:
	v_add_f32_e32 v2, 0, v2
	v_add_f32_e32 v8, v2, v3
	v_mul_lo_u32 v2, v5, s58
	v_mul_lo_u32 v3, v82, s53
	v_add3_u32 v2, v7, v3, v2
	v_mov_b32_e32 v3, 0
	v_lshl_add_u64 v[2:3], v[2:3], 2, v[0:1]
	global_store_dword v[2:3], v8, off
.LBB103_148:
	s_or_b64 exec, exec, s[0:1]
	v_add_u32_e32 v2, 0x70, v4
	ds_read2st64_b32 v[2:3], v2 offset0:12 offset1:13
	v_cmp_gt_u32_e32 vcc, 7, v80
	v_mov_b32_e32 v5, -1
	s_and_saveexec_b64 s[0:1], vcc
; %bb.149:
	v_mov_b32_e32 v5, 0x100
	v_lshl_add_u32 v5, v80, 2, v5
	;; [unrolled: 29-line block ×4, first 2 shown]
	ds_read_b32 v4, v4 offset:40
; %bb.158:
	s_or_b64 exec, exec, s[0:1]
	v_readlane_b32 s0, v94, 8
	s_waitcnt lgkmcnt(0)
	v_cmp_lt_i32_e32 vcc, -1, v4
	v_readlane_b32 s1, v94, 9
	s_and_b64 s[2:3], vcc, s[0:1]
	s_and_saveexec_b64 s[0:1], s[2:3]
	s_cbranch_execz .LBB103_160
; %bb.159:
	v_add_f32_e32 v2, 0, v2
	v_add_f32_e32 v5, v2, v3
	v_mul_lo_u32 v2, v4, s58
	v_mul_lo_u32 v3, v85, s53
	v_add3_u32 v2, v7, v3, v2
	v_mov_b32_e32 v3, 0
	v_lshl_add_u64 v[2:3], v[2:3], 2, v[0:1]
	global_store_dword v[2:3], v5, off
.LBB103_160:
	s_or_b64 exec, exec, s[0:1]
	v_cmp_eq_u32_e32 vcc, 0, v80
	s_and_saveexec_b64 s[0:1], vcc
	s_cbranch_execz .LBB103_163
; %bb.161:
	v_mov_b32_e32 v2, 0x100
	ds_read_b32 v2, v2 offset:48
	v_readlane_b32 s2, v94, 10
	v_readlane_b32 s3, v94, 11
	s_waitcnt lgkmcnt(0)
	v_readfirstlane_b32 s0, v2
	s_cmp_gt_i32 s0, -1
	s_cselect_b64 s[0:1], -1, 0
	s_and_b64 s[0:1], s[0:1], s[2:3]
	s_and_b64 exec, exec, s[0:1]
	s_cbranch_execz .LBB103_163
; %bb.162:
	v_add_u32_e32 v3, 0xa0, v6
	ds_read2st64_b32 v[4:5], v3 offset0:24 offset1:25
	v_mul_lo_u32 v2, v2, s58
	s_mul_i32 s0, s53, 12
	v_add_u32_e32 v2, s0, v2
	v_add_u32_e32 v2, v2, v7
	s_waitcnt lgkmcnt(0)
	v_add_f32_e32 v3, 0, v4
	v_add_f32_e32 v4, v3, v5
	v_mov_b32_e32 v3, 0
	v_lshl_add_u64 v[0:1], v[2:3], 2, v[0:1]
	global_store_dword v[0:1], v4, off
.LBB103_163:
	s_endpgm
	.section	.rodata,"a",@progbits
	.p2align	6, 0x0
	.amdhsa_kernel _ZL9mul_mat_fI7__half2Li64ELi13ELi2ELb1EEvPKT_PKfPKiPfiiiiiiiiiiiiiiii
		.amdhsa_group_segment_fixed_size 256
		.amdhsa_private_segment_fixed_size 0
		.amdhsa_kernarg_size 352
		.amdhsa_user_sgpr_count 2
		.amdhsa_user_sgpr_dispatch_ptr 0
		.amdhsa_user_sgpr_queue_ptr 0
		.amdhsa_user_sgpr_kernarg_segment_ptr 1
		.amdhsa_user_sgpr_dispatch_id 0
		.amdhsa_user_sgpr_kernarg_preload_length 0
		.amdhsa_user_sgpr_kernarg_preload_offset 0
		.amdhsa_user_sgpr_private_segment_size 0
		.amdhsa_uses_dynamic_stack 0
		.amdhsa_enable_private_segment 0
		.amdhsa_system_sgpr_workgroup_id_x 1
		.amdhsa_system_sgpr_workgroup_id_y 1
		.amdhsa_system_sgpr_workgroup_id_z 1
		.amdhsa_system_sgpr_workgroup_info 0
		.amdhsa_system_vgpr_workitem_id 2
		.amdhsa_next_free_vgpr 112
		.amdhsa_next_free_sgpr 100
		.amdhsa_accum_offset 96
		.amdhsa_reserve_vcc 1
		.amdhsa_float_round_mode_32 0
		.amdhsa_float_round_mode_16_64 0
		.amdhsa_float_denorm_mode_32 3
		.amdhsa_float_denorm_mode_16_64 3
		.amdhsa_dx10_clamp 1
		.amdhsa_ieee_mode 1
		.amdhsa_fp16_overflow 0
		.amdhsa_tg_split 0
		.amdhsa_exception_fp_ieee_invalid_op 0
		.amdhsa_exception_fp_denorm_src 0
		.amdhsa_exception_fp_ieee_div_zero 0
		.amdhsa_exception_fp_ieee_overflow 0
		.amdhsa_exception_fp_ieee_underflow 0
		.amdhsa_exception_fp_ieee_inexact 0
		.amdhsa_exception_int_div_zero 0
	.end_amdhsa_kernel
	.section	.text._ZL9mul_mat_fI7__half2Li64ELi13ELi2ELb1EEvPKT_PKfPKiPfiiiiiiiiiiiiiiii,"axG",@progbits,_ZL9mul_mat_fI7__half2Li64ELi13ELi2ELb1EEvPKT_PKfPKiPfiiiiiiiiiiiiiiii,comdat
.Lfunc_end103:
	.size	_ZL9mul_mat_fI7__half2Li64ELi13ELi2ELb1EEvPKT_PKfPKiPfiiiiiiiiiiiiiiii, .Lfunc_end103-_ZL9mul_mat_fI7__half2Li64ELi13ELi2ELb1EEvPKT_PKfPKiPfiiiiiiiiiiiiiiii
                                        ; -- End function
	.set _ZL9mul_mat_fI7__half2Li64ELi13ELi2ELb1EEvPKT_PKfPKiPfiiiiiiiiiiiiiiii.num_vgpr, 95
	.set _ZL9mul_mat_fI7__half2Li64ELi13ELi2ELb1EEvPKT_PKfPKiPfiiiiiiiiiiiiiiii.num_agpr, 16
	.set _ZL9mul_mat_fI7__half2Li64ELi13ELi2ELb1EEvPKT_PKfPKiPfiiiiiiiiiiiiiiii.numbered_sgpr, 100
	.set _ZL9mul_mat_fI7__half2Li64ELi13ELi2ELb1EEvPKT_PKfPKiPfiiiiiiiiiiiiiiii.num_named_barrier, 0
	.set _ZL9mul_mat_fI7__half2Li64ELi13ELi2ELb1EEvPKT_PKfPKiPfiiiiiiiiiiiiiiii.private_seg_size, 0
	.set _ZL9mul_mat_fI7__half2Li64ELi13ELi2ELb1EEvPKT_PKfPKiPfiiiiiiiiiiiiiiii.uses_vcc, 1
	.set _ZL9mul_mat_fI7__half2Li64ELi13ELi2ELb1EEvPKT_PKfPKiPfiiiiiiiiiiiiiiii.uses_flat_scratch, 0
	.set _ZL9mul_mat_fI7__half2Li64ELi13ELi2ELb1EEvPKT_PKfPKiPfiiiiiiiiiiiiiiii.has_dyn_sized_stack, 0
	.set _ZL9mul_mat_fI7__half2Li64ELi13ELi2ELb1EEvPKT_PKfPKiPfiiiiiiiiiiiiiiii.has_recursion, 0
	.set _ZL9mul_mat_fI7__half2Li64ELi13ELi2ELb1EEvPKT_PKfPKiPfiiiiiiiiiiiiiiii.has_indirect_call, 0
	.section	.AMDGPU.csdata,"",@progbits
; Kernel info:
; codeLenInByte = 9832
; TotalNumSgprs: 106
; NumVgprs: 95
; NumAgprs: 16
; TotalNumVgprs: 112
; ScratchSize: 0
; MemoryBound: 0
; FloatMode: 240
; IeeeMode: 1
; LDSByteSize: 256 bytes/workgroup (compile time only)
; SGPRBlocks: 13
; VGPRBlocks: 13
; NumSGPRsForWavesPerEU: 106
; NumVGPRsForWavesPerEU: 112
; AccumOffset: 96
; Occupancy: 4
; WaveLimiterHint : 0
; COMPUTE_PGM_RSRC2:SCRATCH_EN: 0
; COMPUTE_PGM_RSRC2:USER_SGPR: 2
; COMPUTE_PGM_RSRC2:TRAP_HANDLER: 0
; COMPUTE_PGM_RSRC2:TGID_X_EN: 1
; COMPUTE_PGM_RSRC2:TGID_Y_EN: 1
; COMPUTE_PGM_RSRC2:TGID_Z_EN: 1
; COMPUTE_PGM_RSRC2:TIDIG_COMP_CNT: 2
; COMPUTE_PGM_RSRC3_GFX90A:ACCUM_OFFSET: 23
; COMPUTE_PGM_RSRC3_GFX90A:TG_SPLIT: 0
	.section	.text._ZL9mul_mat_fI7__half2Li64ELi13ELi2ELb0EEvPKT_PKfPKiPfiiiiiiiiiiiiiiii,"axG",@progbits,_ZL9mul_mat_fI7__half2Li64ELi13ELi2ELb0EEvPKT_PKfPKiPfiiiiiiiiiiiiiiii,comdat
	.globl	_ZL9mul_mat_fI7__half2Li64ELi13ELi2ELb0EEvPKT_PKfPKiPfiiiiiiiiiiiiiiii ; -- Begin function _ZL9mul_mat_fI7__half2Li64ELi13ELi2ELb0EEvPKT_PKfPKiPfiiiiiiiiiiiiiiii
	.p2align	8
	.type	_ZL9mul_mat_fI7__half2Li64ELi13ELi2ELb0EEvPKT_PKfPKiPfiiiiiiiiiiiiiiii,@function
_ZL9mul_mat_fI7__half2Li64ELi13ELi2ELb0EEvPKT_PKfPKiPfiiiiiiiiiiiiiiii: ; @_ZL9mul_mat_fI7__half2Li64ELi13ELi2ELb0EEvPKT_PKfPKiPfiiiiiiiiiiiiiiii
; %bb.0:
	s_load_dword s5, s[0:1], 0x20
	s_load_dwordx4 s[16:19], s[0:1], 0x2c
	v_bfe_u32 v82, v0, 10, 10
	v_lshlrev_b32_e32 v84, 6, v82
	v_and_b32_e32 v83, 0x3ff, v0
	v_add_u32_e32 v86, v84, v83
	s_waitcnt lgkmcnt(0)
	s_ashr_i32 s19, s4, 31
	v_cmp_le_i32_e32 vcc, s5, v86
	v_and_b32_e32 v85, 15, v83
	s_and_saveexec_b64 s[6:7], vcc
	s_xor_b64 s[6:7], exec, s[6:7]
; %bb.1:
	v_and_b32_e32 v85, 15, v83
                                        ; implicit-def: $vgpr86
; %bb.2:
	s_or_saveexec_b64 s[24:25], s[6:7]
	s_load_dwordx8 s[8:15], s[0:1], 0x40
	s_load_dwordx2 s[6:7], s[0:1], 0x18
	s_lshl_b32 s2, s2, 6
	v_mov_b32_e32 v1, 0
	v_accvgpr_write_b32 a0, 0
	v_accvgpr_write_b32 a1, 0
	;; [unrolled: 1-line block ×16, first 2 shown]
	s_xor_b64 exec, exec, s[24:25]
	s_cbranch_execz .LBB104_6
; %bb.3:
	s_waitcnt lgkmcnt(0)
	s_abs_i32 s26, s8
	v_cvt_f32_u32_e32 v0, s26
	s_abs_i32 s27, s12
	v_cvt_f32_u32_e32 v2, s27
	s_sub_i32 s20, 0, s26
	v_rcp_iflag_f32_e32 v0, v0
	s_abs_i32 s28, s3
	v_rcp_iflag_f32_e32 v2, v2
	s_sub_i32 s21, 0, s27
	v_mul_f32_e32 v0, 0x4f7ffffe, v0
	v_cvt_u32_f32_e32 v0, v0
	v_mul_f32_e32 v2, 0x4f7ffffe, v2
	v_cvt_u32_f32_e32 v2, v2
	s_abs_i32 s29, s4
	v_mul_lo_u32 v3, s20, v0
	v_mul_hi_u32 v3, v0, v3
	v_add_u32_e32 v0, v0, v3
	v_mul_hi_u32 v0, s28, v0
	v_mul_lo_u32 v4, s21, v2
	v_mul_lo_u32 v3, v0, s26
	v_mul_hi_u32 v4, v2, v4
	v_sub_u32_e32 v3, s28, v3
	v_add_u32_e32 v2, v2, v4
	v_subrev_u32_e32 v5, s26, v3
	v_cmp_le_u32_e32 vcc, s26, v3
	v_mul_hi_u32 v2, s29, v2
	v_add_u32_e32 v4, 1, v0
	v_cndmask_b32_e32 v3, v3, v5, vcc
	v_cndmask_b32_e32 v0, v0, v4, vcc
	v_cmp_le_u32_e32 vcc, s26, v3
	v_mul_lo_u32 v3, v2, s27
	s_load_dwordx4 s[20:23], s[0:1], 0x0
	s_ashr_i32 s0, s3, 31
	s_ashr_i32 s1, s8, 31
	v_add_u32_e32 v4, 1, v0
	v_sub_u32_e32 v3, s29, v3
	s_xor_b32 s0, s0, s1
	v_cndmask_b32_e32 v0, v0, v4, vcc
	v_add_u32_e32 v4, 1, v2
	v_subrev_u32_e32 v5, s27, v3
	v_cmp_le_u32_e32 vcc, s27, v3
	v_xor_b32_e32 v0, s0, v0
	s_ashr_i32 s8, s12, 31
	v_cndmask_b32_e32 v2, v2, v4, vcc
	v_cndmask_b32_e32 v3, v3, v5, vcc
	v_subrev_u32_e32 v0, s0, v0
	v_add_u32_e32 v4, 1, v2
	v_cmp_le_u32_e32 vcc, s27, v3
	s_xor_b32 s0, s19, s8
	s_mul_i32 s8, s14, s4
	v_cndmask_b32_e32 v2, v2, v4, vcc
	v_mul_lo_u32 v4, v0, s9
	s_mul_hi_i32 s9, s14, s4
	v_xor_b32_e32 v2, s0, v2
	s_lshl_b64 s[26:27], s[8:9], 2
	v_subrev_u32_e32 v2, s0, v2
	s_mul_i32 s0, s16, s2
	s_mul_i32 s28, s10, s3
	s_waitcnt lgkmcnt(0)
	s_add_u32 s8, s22, s26
	v_mul_hi_i32 v3, v2, s13
	v_mul_lo_u32 v2, v2, s13
	s_addc_u32 s9, s23, s27
	s_ashr_i32 s1, s0, 31
	s_ashr_i32 s29, s28, 31
	v_ashrrev_i32_e32 v5, 31, v4
	v_lshlrev_b64 v[6:7], 2, v[2:3]
	s_lshl_b64 s[12:13], s[0:1], 2
	s_lshl_b64 s[28:29], s[28:29], 2
	v_lshl_add_u64 v[2:3], s[20:21], 0, v[6:7]
	v_lshlrev_b64 v[4:5], 2, v[4:5]
	s_add_u32 s0, s8, s28
	s_movk_i32 s8, 0x1080
	v_lshrrev_b32_e32 v10, 1, v83
	v_lshl_add_u64 v[2:3], v[2:3], 0, v[4:5]
	v_mad_u32_u24 v0, v82, s8, 0
	v_lshlrev_b32_e32 v8, 2, v83
	v_mul_u32_u24_e32 v9, 0x108, v85
	v_and_b32_e32 v10, 0x1f8, v10
	v_lshl_add_u64 v[4:5], v[4:5], 0, s[12:13]
	s_addc_u32 s1, s9, s29
	v_add_u32_e32 v87, v0, v8
	v_add3_u32 v88, v0, v9, v10
	s_ashr_i32 s9, s16, 31
	s_mov_b32 s8, s16
	s_ashr_i32 s31, s17, 31
	s_mov_b32 s30, s17
	v_lshlrev_b32_e32 v0, 8, v82
	v_lshl_add_u64 v[4:5], v[4:5], 0, v[6:7]
	v_lshl_add_u64 v[2:3], v[2:3], 0, s[12:13]
	s_add_i32 s10, s16, s16
	s_add_i32 s14, s17, s17
	s_lshl_b32 s33, s17, 2
	s_lshl_b32 s37, s17, 3
	;; [unrolled: 1-line block ×6, first 2 shown]
	s_lshl_b64 s[8:9], s[8:9], 2
	s_lshl_b64 s[12:13], s[30:31], 3
	v_lshl_add_u64 v[4:5], v[4:5], 0, v[0:1]
	v_lshlrev_b32_e32 v0, 9, v82
	s_add_u32 s22, s22, s28
	v_mov_b32_e32 v9, v1
	v_lshl_add_u64 v[6:7], s[26:27], 0, v[0:1]
	v_lshlrev_b32_e32 v0, 3, v83
	s_addc_u32 s23, s23, s29
	v_lshl_add_u64 v[4:5], v[4:5], 0, v[8:9]
	v_lshl_add_u64 v[6:7], v[6:7], 0, v[0:1]
	s_mul_i32 s19, s17, 3
	s_mul_i32 s34, s17, 5
	;; [unrolled: 1-line block ×39, first 2 shown]
	v_lshl_add_u64 v[4:5], s[20:21], 0, v[4:5]
	s_mul_i32 s30, s16, 38
	s_mul_i32 s31, s16, 39
	s_mul_i32 s75, s16, 40
	s_mul_i32 s76, s16, 41
	s_mul_i32 s26, s16, 42
	s_mul_i32 s27, s16, 43
	v_lshl_add_u64 v[6:7], s[22:23], 0, v[6:7]
	s_mul_i32 s77, s16, 44
	s_mul_i32 s78, s16, 45
	v_accvgpr_write_b32 a15, 0
	v_accvgpr_write_b32 a14, 0
	;; [unrolled: 1-line block ×16, first 2 shown]
	s_mul_i32 s79, s16, 46
	s_mul_i32 s80, s16, 47
	;; [unrolled: 1-line block ×18, first 2 shown]
	s_mov_b64 s[16:17], 0
	s_mov_b64 s[20:21], 0x200
	;; [unrolled: 1-line block ×3, first 2 shown]
.LBB104_4:                              ; =>This Inner Loop Header: Depth=1
	v_add_u32_e32 v80, s10, v86
	v_add_u32_e32 v10, s42, v86
	;; [unrolled: 1-line block ×3, first 2 shown]
	v_lshl_add_u64 v[8:9], v[4:5], 0, s[8:9]
	v_add_u32_e32 v12, s44, v86
	v_add_u32_e32 v76, s45, v86
	v_ashrrev_i32_e32 v81, 31, v80
	v_ashrrev_i32_e32 v11, 31, v10
	;; [unrolled: 1-line block ×3, first 2 shown]
	v_add_u32_e32 v14, s46, v86
	v_add_u32_e32 v74, s47, v86
	global_load_dword v89, v[8:9], off
	v_lshl_add_u64 v[8:9], v[80:81], 2, v[2:3]
	v_lshl_add_u64 v[10:11], v[10:11], 2, v[2:3]
	;; [unrolled: 1-line block ×3, first 2 shown]
	v_ashrrev_i32_e32 v13, 31, v12
	v_ashrrev_i32_e32 v77, 31, v76
	v_add_u32_e32 v18, s48, v86
	v_add_u32_e32 v72, s49, v86
	global_load_dword v80, v[8:9], off
	global_load_dword v79, v[10:11], off
	;; [unrolled: 1-line block ×3, first 2 shown]
	v_lshl_add_u64 v[12:13], v[12:13], 2, v[2:3]
	v_lshl_add_u64 v[90:91], v[76:77], 2, v[2:3]
	v_ashrrev_i32_e32 v15, 31, v14
	v_ashrrev_i32_e32 v75, 31, v74
	v_add_u32_e32 v40, s50, v86
	v_add_u32_e32 v70, s51, v86
	global_load_dword v77, v[12:13], off
	global_load_dword v76, v[90:91], off
	v_lshl_add_u64 v[14:15], v[14:15], 2, v[2:3]
	v_lshl_add_u64 v[90:91], v[74:75], 2, v[2:3]
	v_ashrrev_i32_e32 v19, 31, v18
	v_ashrrev_i32_e32 v73, 31, v72
	v_add_u32_e32 v44, s52, v86
	v_add_u32_e32 v68, s53, v86
	global_load_dword v75, v[14:15], off
	global_load_dword v74, v[90:91], off
	;; [unrolled: 8-line block ×10, first 2 shown]
	v_lshl_add_u64 v[42:43], v[42:43], 2, v[2:3]
	v_lshl_add_u64 v[90:91], v[46:47], 2, v[2:3]
	v_ashrrev_i32_e32 v31, 31, v30
	v_ashrrev_i32_e32 v39, 31, v38
	v_add_u32_e32 v16, s70, v86
	v_add_u32_e32 v32, s71, v86
	;; [unrolled: 1-line block ×8, first 2 shown]
	global_load_dword v46, v[42:43], off
	global_load_dword v47, v[90:91], off
	v_lshl_add_u64 v[30:31], v[30:31], 2, v[2:3]
	v_lshl_add_u64 v[90:91], v[38:39], 2, v[2:3]
	v_ashrrev_i32_e32 v21, 31, v20
	v_ashrrev_i32_e32 v29, 31, v28
	v_add_u32_e32 v36, s28, v86
	v_add_u32_e32 v12, s75, v86
	v_add_u32_e32 v14, s76, v86
	global_load_dword v38, v[30:31], off
	global_load_dword v39, v[90:91], off
	v_lshl_add_u64 v[20:21], v[20:21], 2, v[2:3]
	v_lshl_add_u64 v[90:91], v[28:29], 2, v[2:3]
	v_ashrrev_i32_e32 v17, 31, v16
	v_ashrrev_i32_e32 v33, 31, v32
	;; [unrolled: 1-line block ×8, first 2 shown]
	v_add_u32_e32 v18, s26, v86
	v_add_u32_e32 v40, s27, v86
	global_load_dword v28, v[20:21], off
	global_load_dword v29, v[90:91], off
	v_lshl_add_u64 v[16:17], v[16:17], 2, v[2:3]
	v_lshl_add_u64 v[90:91], v[32:33], 2, v[2:3]
	;; [unrolled: 1-line block ×4, first 2 shown]
	v_ashrrev_i32_e32 v37, 31, v36
	v_lshl_add_u64 v[24:25], v[24:25], 2, v[2:3]
	v_lshl_add_u64 v[26:27], v[26:27], 2, v[2:3]
	v_lshl_add_u64 v[8:9], v[8:9], 2, v[2:3]
	v_lshl_add_u64 v[10:11], v[10:11], 2, v[2:3]
	v_ashrrev_i32_e32 v13, 31, v12
	v_ashrrev_i32_e32 v15, 31, v14
	v_add_u32_e32 v44, s77, v86
	v_add_u32_e32 v52, s78, v86
	global_load_dword v32, v[16:17], off
	global_load_dword v69, v[90:91], off
	;; [unrolled: 1-line block ×3, first 2 shown]
	s_nop 0
	global_load_dword v90, v[34:35], off
	v_lshl_add_u64 v[34:35], v[36:37], 2, v[2:3]
	global_load_dword v91, v[24:25], off
	global_load_dword v92, v[34:35], off
	s_nop 0
	global_load_dword v26, v[26:27], off
	s_nop 0
	global_load_dword v33, v[4:5], off
	global_load_dword v27, v[8:9], off
	;; [unrolled: 1-line block ×3, first 2 shown]
	s_nop 0
	global_load_dwordx2 v[8:9], v[6:7], off
	v_lshl_add_u64 v[10:11], v[12:13], 2, v[2:3]
	v_lshl_add_u64 v[12:13], v[14:15], 2, v[2:3]
	v_ashrrev_i32_e32 v19, 31, v18
	v_ashrrev_i32_e32 v41, 31, v40
	v_add_u32_e32 v56, s79, v86
	v_add_u32_e32 v60, s80, v86
	global_load_dword v94, v[10:11], off
	global_load_dword v95, v[12:13], off
	v_lshl_add_u64 v[12:13], v[18:19], 2, v[2:3]
	v_lshl_add_u64 v[14:15], v[40:41], 2, v[2:3]
	v_ashrrev_i32_e32 v45, 31, v44
	v_ashrrev_i32_e32 v53, 31, v52
	v_add_u32_e32 v54, s81, v86
	v_add_u32_e32 v48, s82, v86
	global_load_dword v96, v[12:13], off
	global_load_dword v97, v[14:15], off
	v_lshl_add_u64 v[14:15], v[44:45], 2, v[2:3]
	v_lshl_add_u64 v[18:19], v[52:53], 2, v[2:3]
	v_ashrrev_i32_e32 v57, 31, v56
	v_ashrrev_i32_e32 v61, 31, v60
	v_add_u32_e32 v42, s83, v86
	v_add_u32_e32 v30, s84, v86
	;; [unrolled: 1-line block ×4, first 2 shown]
	global_load_dword v44, v[14:15], off
	global_load_dword v45, v[18:19], off
	v_lshl_add_u64 v[18:19], v[56:57], 2, v[2:3]
	v_lshl_add_u64 v[34:35], v[60:61], 2, v[2:3]
	v_ashrrev_i32_e32 v55, 31, v54
	v_ashrrev_i32_e32 v49, 31, v48
	v_add_u32_e32 v22, s87, v86
	v_add_u32_e32 v10, s89, v86
	;; [unrolled: 1-line block ×3, first 2 shown]
	global_load_dword v52, v[18:19], off
	global_load_dword v53, v[34:35], off
	v_lshl_add_u64 v[34:35], v[54:55], 2, v[2:3]
	v_lshl_add_u64 v[36:37], v[48:49], 2, v[2:3]
	v_ashrrev_i32_e32 v43, 31, v42
	v_ashrrev_i32_e32 v31, 31, v30
	v_ashrrev_i32_e32 v21, 31, v20
	v_ashrrev_i32_e32 v17, 31, v16
	v_add_u32_e32 v24, s88, v86
	v_add_u32_e32 v14, s91, v86
	;; [unrolled: 1-line block ×3, first 2 shown]
	global_load_dword v56, v[34:35], off
	global_load_dword v57, v[36:37], off
	v_lshl_add_u64 v[36:37], v[42:43], 2, v[2:3]
	v_lshl_add_u64 v[30:31], v[30:31], 2, v[2:3]
	;; [unrolled: 1-line block ×4, first 2 shown]
	v_ashrrev_i32_e32 v23, 31, v22
	v_ashrrev_i32_e32 v11, 31, v10
	;; [unrolled: 1-line block ×3, first 2 shown]
	v_add_u32_e32 v34, s93, v86
	global_load_dword v42, v[36:37], off
	global_load_dword v43, v[30:31], off
	v_add_u32_e32 v30, s94, v86
	global_load_dword v98, v[20:21], off
	global_load_dword v99, v[16:17], off
	v_add_u32_e32 v16, s95, v86
	v_ashrrev_i32_e32 v25, 31, v24
	v_lshl_add_u64 v[20:21], v[22:23], 2, v[2:3]
	v_lshl_add_u64 v[10:11], v[10:11], 2, v[2:3]
	;; [unrolled: 1-line block ×3, first 2 shown]
	v_ashrrev_i32_e32 v15, 31, v14
	v_ashrrev_i32_e32 v19, 31, v18
	v_lshl_add_u64 v[22:23], v[24:25], 2, v[2:3]
	global_load_dword v100, v[20:21], off
	global_load_dword v101, v[22:23], off
	v_add_u32_e32 v20, s96, v86
	global_load_dword v102, v[10:11], off
	global_load_dword v103, v[12:13], off
	v_lshl_add_u64 v[12:13], v[14:15], 2, v[2:3]
	v_lshl_add_u64 v[14:15], v[18:19], 2, v[2:3]
	v_ashrrev_i32_e32 v35, 31, v34
	v_ashrrev_i32_e32 v31, 31, v30
	;; [unrolled: 1-line block ×3, first 2 shown]
	v_lshl_add_u64 v[10:11], v[6:7], 0, s[12:13]
	global_load_dword v104, v[12:13], off
	global_load_dword v105, v[14:15], off
	v_lshl_add_u64 v[14:15], v[34:35], 2, v[2:3]
	v_lshl_add_u64 v[18:19], v[30:31], 2, v[2:3]
	v_ashrrev_i32_e32 v21, 31, v20
	v_lshl_add_u64 v[16:17], v[16:17], 2, v[2:3]
	global_load_dword v106, v[14:15], off
	global_load_dword v107, v[18:19], off
	v_lshl_add_u64 v[18:19], v[20:21], 2, v[2:3]
	global_load_dword v108, v[16:17], off
	global_load_dword v109, v[18:19], off
	v_add_u32_e32 v12, s14, v86
	global_load_dwordx2 v[10:11], v[10:11], off
	v_add_u32_e32 v14, s19, v86
	v_add_u32_e32 v16, s33, v86
	s_waitcnt vmcnt(25)
	v_cvt_pk_f16_f32 v110, v8, v9
	v_add_u32_e32 v8, s34, v86
	ds_write_b32 v87, v89 offset:264
	v_add_u32_e32 v18, s36, v86
	v_add_u32_e32 v20, s37, v86
	;; [unrolled: 1-line block ×6, first 2 shown]
	v_ashrrev_i32_e32 v13, 31, v12
	v_ashrrev_i32_e32 v15, 31, v14
	;; [unrolled: 1-line block ×10, first 2 shown]
	ds_write_b32 v87, v33
	ds_write_b32 v87, v80 offset:528
	ds_write_b32 v87, v79 offset:792
	ds_write_b32 v87, v78 offset:1056
	ds_write_b32 v87, v77 offset:1320
	ds_write_b32 v87, v76 offset:1584
	ds_write_b32 v87, v75 offset:1848
	ds_write_b32 v87, v74 offset:2112
	ds_write_b32 v87, v73 offset:2376
	ds_write_b32 v87, v72 offset:2640
	ds_write_b32 v87, v71 offset:2904
	ds_write_b32 v87, v70 offset:3168
	ds_write_b32 v87, v68 offset:3432
	v_lshl_add_u64 v[12:13], v[12:13], 3, s[0:1]
	v_lshl_add_u64 v[14:15], v[14:15], 3, s[0:1]
	;; [unrolled: 1-line block ×10, first 2 shown]
	v_accvgpr_mov_b32 a17, a3
	v_accvgpr_mov_b32 a16, a2
	v_lshl_add_u64 v[4:5], v[4:5], 0, s[20:21]
	v_lshl_add_u64 v[6:7], v[6:7], 0, s[22:23]
	s_waitcnt vmcnt(0)
	v_cvt_pk_f16_f32 v89, v10, v11
	v_add_u32_e32 v10, s35, v86
	v_ashrrev_i32_e32 v11, 31, v10
	v_lshl_add_u64 v[10:11], v[10:11], 3, s[0:1]
	global_load_dwordx2 v[12:13], v[12:13], off
	s_nop 0
	global_load_dwordx2 v[14:15], v[14:15], off
	s_nop 0
	;; [unrolled: 2-line block ×10, first 2 shown]
	global_load_dwordx2 v[34:35], v[34:35], off
	ds_write_b32 v87, v0 offset:3696
	ds_write_b32 v87, v67 offset:3960
	v_add_u32_e32 v86, 0x80, v86
	v_cmp_le_i32_e32 vcc, s5, v86
	s_or_b64 s[16:17], vcc, s[16:17]
	s_waitcnt vmcnt(10)
	v_cvt_pk_f16_f32 v0, v12, v13
	s_waitcnt vmcnt(9)
	v_cvt_pk_f16_f32 v72, v14, v15
	;; [unrolled: 2-line block ×9, first 2 shown]
	ds_read_b64 v[54:55], v88
	ds_read_b64 v[40:41], v88 offset:32
	ds_read_b64 v[36:37], v88 offset:64
	;; [unrolled: 1-line block ×7, first 2 shown]
	ds_write_b32 v87, v66
	ds_write_b32 v87, v64 offset:264
	ds_write_b32 v87, v65 offset:528
	;; [unrolled: 1-line block ×15, first 2 shown]
	s_waitcnt vmcnt(0)
	v_cvt_pk_f16_f32 v111, v34, v35
	ds_read_b64 v[62:63], v88
	ds_read_b64 v[50:51], v88 offset:32
	ds_read_b64 v[48:49], v88 offset:64
	;; [unrolled: 1-line block ×7, first 2 shown]
	ds_write_b32 v87, v69
	ds_write_b32 v87, v81 offset:264
	ds_write_b32 v87, v90 offset:528
	;; [unrolled: 1-line block ×15, first 2 shown]
	v_cvt_pk_f16_f32 v80, v30, v31
	ds_read_b64 v[68:69], v88
	ds_read_b64 v[60:61], v88 offset:32
	ds_read_b64 v[58:59], v88 offset:64
	;; [unrolled: 1-line block ×7, first 2 shown]
	ds_write_b32 v87, v56
	ds_write_b32 v87, v57 offset:264
	ds_write_b32 v87, v42 offset:528
	;; [unrolled: 1-line block ×15, first 2 shown]
	ds_read_b64 v[70:71], v88
	ds_read_b64 v[66:67], v88 offset:32
	ds_read_b64 v[64:65], v88 offset:64
	;; [unrolled: 1-line block ×7, first 2 shown]
	ds_write_b32 v87, v110
	ds_write_b32 v87, v89 offset:264
	ds_write_b32 v87, v0 offset:528
	;; [unrolled: 1-line block ×15, first 2 shown]
	ds_read_b64 v[72:73], v88
	v_accvgpr_read_b32 v91, a9
	v_accvgpr_read_b32 v90, a8
	;; [unrolled: 1-line block ×4, first 2 shown]
	v_accvgpr_mov_b32 a6, a12
	v_accvgpr_mov_b32 a7, a13
	;; [unrolled: 1-line block ×4, first 2 shown]
	v_accvgpr_read_b32 v94, a4
	v_accvgpr_read_b32 v95, a5
	s_waitcnt lgkmcnt(0)
	v_mfma_f32_16x16x16_f16 a[6:9], v[54:55], v[72:73], a[6:9]
	ds_read_b64 v[54:55], v88 offset:32
	v_accvgpr_write_b32 a2, v94
	v_accvgpr_read_b32 v93, a11
	v_accvgpr_read_b32 v92, a10
	v_accvgpr_write_b32 a10, v90
	v_accvgpr_write_b32 a3, v95
	;; [unrolled: 1-line block ×4, first 2 shown]
	s_waitcnt lgkmcnt(0)
	v_mfma_f32_16x16x16_f16 a[6:9], v[40:41], v[54:55], a[6:9]
	ds_read_b64 v[40:41], v88 offset:64
	v_accvgpr_write_b32 a11, v91
	v_accvgpr_write_b32 a12, v92
	;; [unrolled: 1-line block ×3, first 2 shown]
	v_mfma_f32_16x16x16_f16 a[2:5], v[68:69], v[72:73], a[2:5]
	v_accvgpr_mov_b32 a15, a1
	v_accvgpr_mov_b32 a14, a0
	v_mfma_f32_16x16x16_f16 a[10:13], v[62:63], v[72:73], a[10:13]
	s_nop 0
	v_mfma_f32_16x16x16_f16 a[14:17], v[70:71], v[72:73], a[14:17]
	v_mfma_f32_16x16x16_f16 a[0:3], v[60:61], v[54:55], a[2:5]
	s_waitcnt lgkmcnt(0)
	v_mfma_f32_16x16x16_f16 a[4:7], v[36:37], v[40:41], a[6:9]
	ds_read_b64 v[36:37], v88 offset:96
	v_mfma_f32_16x16x16_f16 a[10:13], v[50:51], v[54:55], a[10:13]
	v_mfma_f32_16x16x16_f16 a[14:17], v[66:67], v[54:55], a[14:17]
	v_mfma_f32_16x16x16_f16 a[8:11], v[48:49], v[40:41], a[10:13]
	v_mfma_f32_16x16x16_f16 a[0:3], v[58:59], v[40:41], a[0:3]
	v_mfma_f32_16x16x16_f16 a[12:15], v[64:65], v[40:41], a[14:17]
	s_waitcnt lgkmcnt(0)
	v_mfma_f32_16x16x16_f16 a[4:7], v[24:25], v[36:37], a[4:7]
	ds_read_b64 v[24:25], v88 offset:128
	v_mfma_f32_16x16x16_f16 a[8:11], v[34:35], v[36:37], a[8:11]
	v_mfma_f32_16x16x16_f16 a[0:3], v[46:47], v[36:37], a[0:3]
	v_mfma_f32_16x16x16_f16 a[12:15], v[56:57], v[36:37], a[12:15]
	s_waitcnt lgkmcnt(0)
	v_mfma_f32_16x16x16_f16 a[4:7], v[22:23], v[24:25], a[4:7]
	ds_read_b64 v[22:23], v88 offset:160
	v_mfma_f32_16x16x16_f16 a[8:11], v[32:33], v[24:25], a[8:11]
	v_mfma_f32_16x16x16_f16 a[0:3], v[44:45], v[24:25], a[0:3]
	v_mfma_f32_16x16x16_f16 a[12:15], v[52:53], v[24:25], a[12:15]
	;; [unrolled: 6-line block ×4, first 2 shown]
	s_waitcnt lgkmcnt(0)
	v_mfma_f32_16x16x16_f16 a[12:15], v[8:9], v[10:11], a[4:7]
	v_mfma_f32_16x16x16_f16 a[8:11], v[12:13], v[10:11], a[8:11]
	;; [unrolled: 1-line block ×4, first 2 shown]
	s_andn2_b64 exec, exec, s[16:17]
	s_cbranch_execnz .LBB104_4
; %bb.5:
	s_or_b64 exec, exec, s[16:17]
.LBB104_6:
	s_or_b64 exec, exec, s[24:25]
	v_lshl_add_u32 v0, v84, 2, 0
	v_mul_u32_u24_e32 v1, 0x208, v85
	v_and_b32_e32 v2, 0x3f0, v83
	v_add3_u32 v0, v0, v1, v2
	v_accvgpr_read_b32 v1, a13
	v_accvgpr_read_b32 v2, a12
	s_waitcnt lgkmcnt(0)
	s_barrier
	ds_write2_b32 v0, v2, v1 offset1:1
	v_accvgpr_read_b32 v1, a15
	v_accvgpr_read_b32 v2, a14
	ds_write2_b32 v0, v2, v1 offset0:2 offset1:3
	v_accvgpr_read_b32 v1, a9
	v_accvgpr_read_b32 v2, a8
	ds_write2_b32 v0, v2, v1 offset0:16 offset1:17
	;; [unrolled: 3-line block ×4, first 2 shown]
	v_accvgpr_read_b32 v1, a7
	v_accvgpr_read_b32 v2, a6
	s_mul_hi_i32 s1, s15, s4
	s_mul_i32 s0, s15, s4
	ds_write2_b32 v0, v2, v1 offset0:34 offset1:35
	v_accvgpr_read_b32 v1, a1
	v_accvgpr_read_b32 v2, a0
	s_lshl_b64 s[0:1], s[0:1], 2
	ds_write2_b32 v0, v2, v1 offset0:48 offset1:49
	v_accvgpr_read_b32 v1, a3
	v_accvgpr_read_b32 v2, a2
	s_mul_i32 s4, s11, s3
	s_add_u32 s3, s6, s0
	s_movk_i32 s0, 0x208
	ds_write2_b32 v0, v2, v1 offset0:50 offset1:51
	v_lshl_add_u32 v1, v83, 2, 0
	v_mad_u32_u24 v8, v82, s0, v1
	s_waitcnt lgkmcnt(0)
	s_barrier
	ds_read2st64_b32 v[2:3], v8 offset1:1
	s_addc_u32 s6, s7, s1
	s_ashr_i32 s5, s4, 31
	s_lshl_b64 s[0:1], s[4:5], 2
	v_add_u32_e32 v0, s2, v83
	s_waitcnt lgkmcnt(0)
	v_add_f32_e32 v2, 0, v2
	v_add_f32_e32 v9, v2, v3
	v_add_u32_e32 v2, 16, v8
	ds_read2st64_b32 v[4:5], v2 offset0:4 offset1:5
	s_add_u32 s0, s3, s0
	v_mad_u64_u32 v[2:3], s[2:3], v82, s18, v[0:1]
	s_addc_u32 s1, s6, s1
	v_mov_b32_e32 v3, 0
	v_lshl_add_u64 v[6:7], v[2:3], 2, s[0:1]
	s_waitcnt lgkmcnt(0)
	v_add_f32_e32 v4, 0, v4
	s_lshl_b32 s2, s18, 1
	global_store_dword v[6:7], v9, off
	v_add_f32_e32 v9, v4, v5
	v_add_u32_e32 v4, 32, v8
	v_add_u32_e32 v2, s2, v2
	ds_read2st64_b32 v[4:5], v4 offset0:8 offset1:9
	v_lshl_add_u64 v[6:7], v[2:3], 2, s[0:1]
	global_store_dword v[6:7], v9, off
	v_add_u32_e32 v6, 48, v8
	ds_read2st64_b32 v[6:7], v6 offset0:12 offset1:13
	s_waitcnt lgkmcnt(1)
	v_add_f32_e32 v4, 0, v4
	v_add_u32_e32 v2, s2, v2
	v_add_f32_e32 v9, v4, v5
	v_lshl_add_u64 v[4:5], v[2:3], 2, s[0:1]
	global_store_dword v[4:5], v9, off
	s_waitcnt lgkmcnt(0)
	v_add_f32_e32 v6, 0, v6
	v_add_u32_e32 v4, 64, v8
	v_add_u32_e32 v2, s2, v2
	ds_read2st64_b32 v[4:5], v4 offset0:16 offset1:17
	v_add_f32_e32 v9, v6, v7
	v_lshl_add_u64 v[6:7], v[2:3], 2, s[0:1]
	global_store_dword v[6:7], v9, off
	v_add_u32_e32 v6, 0x50, v8
	ds_read2st64_b32 v[6:7], v6 offset0:20 offset1:21
	s_waitcnt lgkmcnt(1)
	v_add_f32_e32 v4, 0, v4
	v_add_u32_e32 v2, s2, v2
	v_add_f32_e32 v8, v4, v5
	v_lshl_add_u64 v[4:5], v[2:3], 2, s[0:1]
	global_store_dword v[4:5], v8, off
	s_waitcnt lgkmcnt(0)
	v_add_f32_e32 v4, 0, v6
	v_add_u32_e32 v2, s2, v2
	v_add_f32_e32 v6, v4, v7
	v_lshl_add_u64 v[4:5], v[2:3], 2, s[0:1]
	v_cmp_eq_u32_e32 vcc, 0, v82
	global_store_dword v[4:5], v6, off
	s_and_saveexec_b64 s[2:3], vcc
	s_cbranch_execz .LBB104_8
; %bb.7:
	v_add_u32_e32 v1, 0x60, v1
	ds_read2st64_b32 v[4:5], v1 offset0:24 offset1:25
	v_mad_u64_u32 v[0:1], s[2:3], s18, 12, v[0:1]
	v_mov_b32_e32 v1, v3
	v_lshl_add_u64 v[0:1], v[0:1], 2, s[0:1]
	s_waitcnt lgkmcnt(0)
	v_add_f32_e32 v2, 0, v4
	v_add_f32_e32 v2, v2, v5
	global_store_dword v[0:1], v2, off
.LBB104_8:
	s_endpgm
	.section	.rodata,"a",@progbits
	.p2align	6, 0x0
	.amdhsa_kernel _ZL9mul_mat_fI7__half2Li64ELi13ELi2ELb0EEvPKT_PKfPKiPfiiiiiiiiiiiiiiii
		.amdhsa_group_segment_fixed_size 0
		.amdhsa_private_segment_fixed_size 0
		.amdhsa_kernarg_size 96
		.amdhsa_user_sgpr_count 2
		.amdhsa_user_sgpr_dispatch_ptr 0
		.amdhsa_user_sgpr_queue_ptr 0
		.amdhsa_user_sgpr_kernarg_segment_ptr 1
		.amdhsa_user_sgpr_dispatch_id 0
		.amdhsa_user_sgpr_kernarg_preload_length 0
		.amdhsa_user_sgpr_kernarg_preload_offset 0
		.amdhsa_user_sgpr_private_segment_size 0
		.amdhsa_uses_dynamic_stack 0
		.amdhsa_enable_private_segment 0
		.amdhsa_system_sgpr_workgroup_id_x 1
		.amdhsa_system_sgpr_workgroup_id_y 1
		.amdhsa_system_sgpr_workgroup_id_z 1
		.amdhsa_system_sgpr_workgroup_info 0
		.amdhsa_system_vgpr_workitem_id 1
		.amdhsa_next_free_vgpr 132
		.amdhsa_next_free_sgpr 97
		.amdhsa_accum_offset 112
		.amdhsa_reserve_vcc 1
		.amdhsa_float_round_mode_32 0
		.amdhsa_float_round_mode_16_64 0
		.amdhsa_float_denorm_mode_32 3
		.amdhsa_float_denorm_mode_16_64 3
		.amdhsa_dx10_clamp 1
		.amdhsa_ieee_mode 1
		.amdhsa_fp16_overflow 0
		.amdhsa_tg_split 0
		.amdhsa_exception_fp_ieee_invalid_op 0
		.amdhsa_exception_fp_denorm_src 0
		.amdhsa_exception_fp_ieee_div_zero 0
		.amdhsa_exception_fp_ieee_overflow 0
		.amdhsa_exception_fp_ieee_underflow 0
		.amdhsa_exception_fp_ieee_inexact 0
		.amdhsa_exception_int_div_zero 0
	.end_amdhsa_kernel
	.section	.text._ZL9mul_mat_fI7__half2Li64ELi13ELi2ELb0EEvPKT_PKfPKiPfiiiiiiiiiiiiiiii,"axG",@progbits,_ZL9mul_mat_fI7__half2Li64ELi13ELi2ELb0EEvPKT_PKfPKiPfiiiiiiiiiiiiiiii,comdat
.Lfunc_end104:
	.size	_ZL9mul_mat_fI7__half2Li64ELi13ELi2ELb0EEvPKT_PKfPKiPfiiiiiiiiiiiiiiii, .Lfunc_end104-_ZL9mul_mat_fI7__half2Li64ELi13ELi2ELb0EEvPKT_PKfPKiPfiiiiiiiiiiiiiiii
                                        ; -- End function
	.set _ZL9mul_mat_fI7__half2Li64ELi13ELi2ELb0EEvPKT_PKfPKiPfiiiiiiiiiiiiiiii.num_vgpr, 112
	.set _ZL9mul_mat_fI7__half2Li64ELi13ELi2ELb0EEvPKT_PKfPKiPfiiiiiiiiiiiiiiii.num_agpr, 20
	.set _ZL9mul_mat_fI7__half2Li64ELi13ELi2ELb0EEvPKT_PKfPKiPfiiiiiiiiiiiiiiii.numbered_sgpr, 97
	.set _ZL9mul_mat_fI7__half2Li64ELi13ELi2ELb0EEvPKT_PKfPKiPfiiiiiiiiiiiiiiii.num_named_barrier, 0
	.set _ZL9mul_mat_fI7__half2Li64ELi13ELi2ELb0EEvPKT_PKfPKiPfiiiiiiiiiiiiiiii.private_seg_size, 0
	.set _ZL9mul_mat_fI7__half2Li64ELi13ELi2ELb0EEvPKT_PKfPKiPfiiiiiiiiiiiiiiii.uses_vcc, 1
	.set _ZL9mul_mat_fI7__half2Li64ELi13ELi2ELb0EEvPKT_PKfPKiPfiiiiiiiiiiiiiiii.uses_flat_scratch, 0
	.set _ZL9mul_mat_fI7__half2Li64ELi13ELi2ELb0EEvPKT_PKfPKiPfiiiiiiiiiiiiiiii.has_dyn_sized_stack, 0
	.set _ZL9mul_mat_fI7__half2Li64ELi13ELi2ELb0EEvPKT_PKfPKiPfiiiiiiiiiiiiiiii.has_recursion, 0
	.set _ZL9mul_mat_fI7__half2Li64ELi13ELi2ELb0EEvPKT_PKfPKiPfiiiiiiiiiiiiiiii.has_indirect_call, 0
	.section	.AMDGPU.csdata,"",@progbits
; Kernel info:
; codeLenInByte = 5332
; TotalNumSgprs: 103
; NumVgprs: 112
; NumAgprs: 20
; TotalNumVgprs: 132
; ScratchSize: 0
; MemoryBound: 0
; FloatMode: 240
; IeeeMode: 1
; LDSByteSize: 0 bytes/workgroup (compile time only)
; SGPRBlocks: 12
; VGPRBlocks: 16
; NumSGPRsForWavesPerEU: 103
; NumVGPRsForWavesPerEU: 132
; AccumOffset: 112
; Occupancy: 3
; WaveLimiterHint : 0
; COMPUTE_PGM_RSRC2:SCRATCH_EN: 0
; COMPUTE_PGM_RSRC2:USER_SGPR: 2
; COMPUTE_PGM_RSRC2:TRAP_HANDLER: 0
; COMPUTE_PGM_RSRC2:TGID_X_EN: 1
; COMPUTE_PGM_RSRC2:TGID_Y_EN: 1
; COMPUTE_PGM_RSRC2:TGID_Z_EN: 1
; COMPUTE_PGM_RSRC2:TIDIG_COMP_CNT: 1
; COMPUTE_PGM_RSRC3_GFX90A:ACCUM_OFFSET: 27
; COMPUTE_PGM_RSRC3_GFX90A:TG_SPLIT: 0
	.section	.text._ZL13mul_mat_f_idsI7__half2Li64ELi13ELi3EEvPKT_PKfPKiS7_S7_Pfiiiiiiiiiiiiii15HIP_vector_typeIjLj3EESA_,"axG",@progbits,_ZL13mul_mat_f_idsI7__half2Li64ELi13ELi3EEvPKT_PKfPKiS7_S7_Pfiiiiiiiiiiiiii15HIP_vector_typeIjLj3EESA_,comdat
	.globl	_ZL13mul_mat_f_idsI7__half2Li64ELi13ELi3EEvPKT_PKfPKiS7_S7_Pfiiiiiiiiiiiiii15HIP_vector_typeIjLj3EESA_ ; -- Begin function _ZL13mul_mat_f_idsI7__half2Li64ELi13ELi3EEvPKT_PKfPKiS7_S7_Pfiiiiiiiiiiiiii15HIP_vector_typeIjLj3EESA_
	.p2align	8
	.type	_ZL13mul_mat_f_idsI7__half2Li64ELi13ELi3EEvPKT_PKfPKiS7_S7_Pfiiiiiiiiiiiiii15HIP_vector_typeIjLj3EESA_,@function
_ZL13mul_mat_f_idsI7__half2Li64ELi13ELi3EEvPKT_PKfPKiS7_S7_Pfiiiiiiiiiiiiii15HIP_vector_typeIjLj3EESA_: ; @_ZL13mul_mat_f_idsI7__half2Li64ELi13ELi3EEvPKT_PKfPKiS7_S7_Pfiiiiiiiiiiiiii15HIP_vector_typeIjLj3EESA_
; %bb.0:
	s_load_dwordx2 s[6:7], s[0:1], 0x20
	s_mov_b32 s34, s3
	s_ashr_i32 s35, s3, 31
	s_lshl_b64 s[8:9], s[34:35], 2
	s_waitcnt lgkmcnt(0)
	s_add_u32 s6, s6, s8
	s_addc_u32 s7, s7, s9
	s_load_dwordx2 s[30:31], s[6:7], 0x0
	s_waitcnt lgkmcnt(0)
	s_sub_i32 s26, s31, s30
	s_add_i32 s3, s26, 12
	s_mul_hi_i32 s3, s3, 0x4ec4ec4f
	s_lshr_b32 s5, s3, 31
	s_ashr_i32 s3, s3, 2
	s_add_i32 s3, s3, s5
	s_cmp_ge_i32 s4, s3
	s_cbranch_scc1 .LBB105_62
; %bb.1:
	v_bfe_u32 v2, v0, 10, 10
	v_lshlrev_b32_e32 v70, 6, v2
	v_and_b32_e32 v3, 0x3ff, v0
	s_load_dwordx4 s[12:15], s[0:1], 0x30
	s_load_dwordx2 s[20:21], s[0:1], 0x40
	s_load_dwordx4 s[8:11], s[0:1], 0x4c
	s_load_dwordx4 s[16:19], s[0:1], 0x68
	s_load_dwordx2 s[24:25], s[0:1], 0x78
	v_add_u32_e32 v72, v70, v3
	s_ashr_i32 s31, s30, 31
	s_waitcnt lgkmcnt(0)
	v_cmp_le_i32_e32 vcc, s12, v72
	v_and_b32_e32 v71, 15, v3
	s_and_saveexec_b64 s[6:7], vcc
	s_xor_b64 s[6:7], exec, s[6:7]
; %bb.2:
	v_and_b32_e32 v71, 15, v3
                                        ; implicit-def: $vgpr72
; %bb.3:
	s_or_saveexec_b64 s[36:37], s[6:7]
	s_load_dwordx2 s[22:23], s[0:1], 0x18
	s_load_dwordx2 s[6:7], s[0:1], 0x28
                                        ; implicit-def: $vgpr102 : SGPR spill to VGPR lane
	s_lshl_b32 s11, s2, 6
	s_mul_i32 s28, s4, 13
	v_mov_b32_e32 v1, 0
	v_accvgpr_write_b32 a4, 0
	s_waitcnt lgkmcnt(0)
	v_writelane_b32 v102, s6, 0
	v_accvgpr_write_b32 a5, 0
	v_accvgpr_write_b32 a6, 0
	;; [unrolled: 1-line block ×15, first 2 shown]
	v_writelane_b32 v102, s7, 1
	s_xor_b64 exec, exec, s[36:37]
	s_cbranch_execz .LBB105_46
; %bb.4:
	s_load_dwordx4 s[4:7], s[0:1], 0x0
	s_load_dwordx2 s[2:3], s[0:1], 0x10
	v_writelane_b32 v102, s36, 2
	s_mul_i32 s0, s8, s34
	s_ashr_i32 s1, s0, 31
	v_writelane_b32 v102, s37, 3
	v_writelane_b32 v102, s22, 4
	s_lshl_b64 s[64:65], s[0:1], 2
	s_waitcnt lgkmcnt(0)
	s_add_u32 s0, s4, s64
	v_writelane_b32 v102, s23, 5
	s_mul_i32 s22, s15, s11
	v_writelane_b32 v102, s24, 6
	s_addc_u32 s1, s5, s65
	s_ashr_i32 s23, s22, 31
	v_writelane_b32 v102, s25, 7
	s_lshl_b64 s[66:67], s[22:23], 2
	v_writelane_b32 v102, s11, 8
	s_add_u32 s0, s0, s66
	s_addc_u32 s1, s1, s67
	v_writelane_b32 v102, s30, 9
	s_lshl_b64 s[22:23], s[30:31], 2
	s_add_u32 s8, s2, s22
	s_addc_u32 s11, s3, s23
	s_movk_i32 s2, 0x1080
	s_cmp_lt_i32 s28, s26
	v_writelane_b32 v102, s31, 10
	v_mad_u32_u24 v0, v2, s2, 0
	s_cselect_b64 s[2:3], -1, 0
	v_writelane_b32 v102, s2, 11
	s_ashr_i32 s29, s28, 31
	s_mov_b32 s22, s15
	v_writelane_b32 v102, s3, 12
	s_lshl_b64 s[2:3], s[28:29], 2
	s_add_u32 s36, s8, s2
	s_addc_u32 s37, s11, s3
	s_add_i32 s2, s28, 1
	s_cmp_lt_i32 s2, s26
	s_cselect_b64 s[2:3], -1, 0
	v_writelane_b32 v102, s2, 13
	v_lshrrev_b32_e32 v6, 1, v3
	v_lshlrev_b32_e32 v4, 2, v3
	v_writelane_b32 v102, s3, 14
	s_add_i32 s2, s28, 2
	s_cmp_lt_i32 s2, s26
	s_cselect_b64 s[2:3], -1, 0
	v_writelane_b32 v102, s2, 15
	v_mul_u32_u24_e32 v5, 0x108, v71
	v_and_b32_e32 v6, 0x1f8, v6
	v_writelane_b32 v102, s3, 16
	s_add_i32 s2, s28, 3
	s_cmp_lt_i32 s2, s26
	s_cselect_b64 s[2:3], -1, 0
	v_writelane_b32 v102, s2, 17
	v_add_u32_e32 v73, v0, v4
	v_add3_u32 v74, v0, v5, v6
	v_writelane_b32 v102, s3, 18
	s_add_i32 s2, s28, 4
	s_cmp_lt_i32 s2, s26
	s_cselect_b64 s[2:3], -1, 0
	v_writelane_b32 v102, s2, 19
	v_lshlrev_b32_e32 v0, 8, v2
	v_mov_b32_e32 v5, v1
	v_writelane_b32 v102, s3, 20
	s_add_i32 s2, s28, 5
	s_cmp_lt_i32 s2, s26
	s_cselect_b64 s[2:3], -1, 0
	v_writelane_b32 v102, s2, 21
	s_mul_i32 s8, s15, 3
	s_mul_i32 s69, s15, 5
	v_writelane_b32 v102, s3, 22
	s_add_i32 s2, s28, 6
	s_cmp_lt_i32 s2, s26
	s_cselect_b64 s[48:49], -1, 0
	s_add_i32 s2, s28, 7
	s_cmp_lt_i32 s2, s26
	s_cselect_b64 s[50:51], -1, 0
	;; [unrolled: 3-line block ×5, first 2 shown]
	s_add_i32 s2, s28, 11
	s_cmp_lt_i32 s2, s26
	s_mov_b32 s2, s28
	v_writelane_b32 v102, s2, 23
	s_cselect_b64 s[58:59], -1, 0
	s_mul_i32 s70, s15, 6
	v_writelane_b32 v102, s3, 24
	s_add_i32 s2, s28, 12
	s_cmp_lt_i32 s2, s26
	s_cselect_b64 s[60:61], -1, 0
	s_ashr_i32 s23, s15, 31
	s_add_i32 s3, s15, s15
	s_lshl_b32 s68, s15, 2
	s_lshl_b32 s72, s15, 3
	;; [unrolled: 1-line block ×4, first 2 shown]
	s_lshl_b64 s[62:63], s[22:23], 2
	s_add_u32 s22, s64, s66
	s_addc_u32 s23, s65, s67
	v_lshl_add_u64 v[6:7], s[22:23], 0, v[0:1]
	v_lshl_add_u64 v[4:5], v[6:7], 0, v[4:5]
	v_writelane_b32 v102, s26, 25
	s_mul_i32 s71, s15, 7
	s_mul_i32 s73, s15, 9
	;; [unrolled: 1-line block ×20, first 2 shown]
	v_accvgpr_write_b32 a15, 0
	v_accvgpr_write_b32 a14, 0
	;; [unrolled: 1-line block ×16, first 2 shown]
	v_lshl_add_u64 v[4:5], s[4:5], 0, v[4:5]
	s_mul_i32 s90, s15, 29
	s_mul_i32 s91, s15, 30
	s_mul_i32 s92, s15, 31
	s_mul_i32 s93, s15, 33
	s_mul_i32 s94, s15, 34
	s_mul_i32 s95, s15, 35
	s_mul_i32 s96, s15, 36
	s_mul_i32 s97, s15, 37
	s_mul_i32 s98, s15, 38
	s_mul_i32 s99, s15, 39
	s_mul_i32 s24, s15, 40
	s_mul_i32 s25, s15, 41
	s_mul_i32 s11, s15, 42
	s_mul_i32 s28, s15, 43
	s_mul_i32 s29, s15, 44
	s_mul_i32 s30, s15, 45
	s_mul_i32 s31, s15, 46
	s_mul_i32 s22, s15, 47
	s_mul_i32 s23, s15, 48
	s_mul_i32 s26, s15, 49
	s_mul_i32 s27, s15, 50
	s_mul_i32 s33, s15, 51
	s_mul_i32 s2, s15, 52
	s_mul_i32 s34, s15, 53
	s_mul_i32 s35, s15, 54
	s_mul_i32 s38, s15, 55
	s_mul_i32 s39, s15, 56
	s_mul_i32 s40, s15, 57
	s_mul_i32 s41, s15, 58
	s_mul_i32 s42, s15, 59
	s_mul_i32 s43, s15, 60
	s_mul_i32 s44, s15, 61
	s_mul_i32 s45, s15, 62
	s_mul_i32 s15, s15, 63
	s_mov_b32 s46, 0x5040100
	s_mov_b64 s[4:5], 0
	s_branch .LBB105_6
.LBB105_5:                              ;   in Loop: Header=BB105_6 Depth=1
	v_perm_b32 v0, v0, v75, s46
	v_perm_b32 v75, v77, v78, s46
	ds_write2_b32 v73, v0, v75 offset1:66
	v_perm_b32 v0, v79, v76, s46
	v_perm_b32 v75, v81, v82, s46
	ds_write2_b32 v73, v0, v75 offset0:132 offset1:198
	v_perm_b32 v0, v83, v80, s46
	v_perm_b32 v75, v85, v86, s46
	v_add_u32_e32 v76, 0x400, v73
	ds_write2_b32 v76, v0, v75 offset0:8 offset1:74
	v_perm_b32 v0, v87, v84, s46
	v_perm_b32 v75, v89, v90, s46
	ds_write2_b32 v76, v0, v75 offset0:140 offset1:206
	v_perm_b32 v0, v91, v88, s46
	v_perm_b32 v75, v93, v94, s46
	v_add_u32_e32 v76, 0x800, v73
	ds_write2_b32 v76, v0, v75 offset0:16 offset1:82
	v_perm_b32 v0, v95, v92, s46
	v_perm_b32 v75, v97, v98, s46
	ds_write2_b32 v76, v0, v75 offset0:148 offset1:214
	v_perm_b32 v0, v99, v96, s46
	v_add_u32_e32 v75, 0xc00, v73
	ds_write2_b32 v75, v0, v1 offset0:24 offset1:90
	ds_write2_b32 v75, v1, v1 offset0:156 offset1:222
	ds_read2_b64 v[76:79], v74 offset1:4
	s_waitcnt lgkmcnt(0)
	v_mfma_f32_16x16x16_f16 a[4:7], v[12:13], v[76:77], a[4:7]
	v_add_u32_e32 v72, 0xc0, v72
	s_mov_b64 vcc, 0x300
	v_lshl_add_u64 v[4:5], v[4:5], 0, vcc
	v_mfma_f32_16x16x16_f16 a[0:3], v[38:39], v[76:77], a[0:3]
	v_cmp_le_i32_e32 vcc, s12, v72
	s_or_b64 s[4:5], vcc, s[4:5]
	v_mfma_f32_16x16x16_f16 a[8:11], v[52:53], v[76:77], a[8:11]
	v_mfma_f32_16x16x16_f16 a[12:15], v[68:69], v[76:77], a[12:15]
	;; [unrolled: 1-line block ×3, first 2 shown]
	ds_read2_b64 v[10:13], v74 offset0:8 offset1:12
	v_mfma_f32_16x16x16_f16 a[0:3], v[36:37], v[78:79], a[0:3]
	v_mfma_f32_16x16x16_f16 a[8:11], v[50:51], v[78:79], a[8:11]
	;; [unrolled: 1-line block ×3, first 2 shown]
	s_waitcnt lgkmcnt(0)
	v_mfma_f32_16x16x16_f16 a[4:7], v[8:9], v[10:11], a[4:7]
	v_mfma_f32_16x16x16_f16 a[0:3], v[32:33], v[10:11], a[0:3]
	;; [unrolled: 1-line block ×5, first 2 shown]
	ds_read2_b64 v[6:9], v74 offset0:16 offset1:20
	v_mfma_f32_16x16x16_f16 a[0:3], v[30:31], v[12:13], a[0:3]
	v_mfma_f32_16x16x16_f16 a[8:11], v[46:47], v[12:13], a[8:11]
	;; [unrolled: 1-line block ×3, first 2 shown]
	s_waitcnt lgkmcnt(0)
	v_mfma_f32_16x16x16_f16 a[4:7], v[20:21], v[6:7], a[4:7]
	v_mfma_f32_16x16x16_f16 a[0:3], v[28:29], v[6:7], a[0:3]
	;; [unrolled: 1-line block ×8, first 2 shown]
	ds_read2_b64 v[6:9], v74 offset0:24 offset1:28
	s_waitcnt lgkmcnt(0)
	v_mfma_f32_16x16x16_f16 a[4:7], v[16:17], v[6:7], a[4:7]
	v_mfma_f32_16x16x16_f16 a[0:3], v[24:25], v[6:7], a[0:3]
	;; [unrolled: 1-line block ×8, first 2 shown]
	s_andn2_b64 exec, exec, s[4:5]
	s_cbranch_execz .LBB105_45
.LBB105_6:                              ; =>This Inner Loop Header: Depth=1
	v_lshl_add_u64 v[6:7], v[4:5], 0, s[62:63]
	global_load_dword v0, v[4:5], off
	global_load_dword v22, v[6:7], off
	v_add_u32_e32 v6, s3, v72
	v_add_u32_e32 v10, s68, v72
	;; [unrolled: 1-line block ×4, first 2 shown]
	v_ashrrev_i32_e32 v7, 31, v6
	v_add_u32_e32 v8, s8, v72
	v_ashrrev_i32_e32 v11, 31, v10
	v_ashrrev_i32_e32 v13, 31, v12
	v_add_u32_e32 v14, s70, v72
	v_add_u32_e32 v16, s71, v72
	v_ashrrev_i32_e32 v19, 31, v18
	v_add_u32_e32 v20, s73, v72
	v_lshl_add_u64 v[6:7], v[6:7], 2, s[0:1]
	v_ashrrev_i32_e32 v9, 31, v8
	v_lshl_add_u64 v[10:11], v[10:11], 2, s[0:1]
	v_lshl_add_u64 v[12:13], v[12:13], 2, s[0:1]
	v_ashrrev_i32_e32 v15, 31, v14
	v_ashrrev_i32_e32 v17, 31, v16
	v_lshl_add_u64 v[18:19], v[18:19], 2, s[0:1]
	v_ashrrev_i32_e32 v21, 31, v20
	v_lshl_add_u64 v[8:9], v[8:9], 2, s[0:1]
	v_lshl_add_u64 v[14:15], v[14:15], 2, s[0:1]
	;; [unrolled: 1-line block ×4, first 2 shown]
	global_load_dword v23, v[6:7], off
	global_load_dword v24, v[8:9], off
	;; [unrolled: 1-line block ×6, first 2 shown]
	s_nop 0
	global_load_dword v18, v[18:19], off
	s_nop 0
	global_load_dword v19, v[20:21], off
	v_add_u32_e32 v6, s74, v72
	v_add_u32_e32 v10, s76, v72
	;; [unrolled: 1-line block ×3, first 2 shown]
	v_ashrrev_i32_e32 v7, 31, v6
	v_add_u32_e32 v8, s75, v72
	v_ashrrev_i32_e32 v11, 31, v10
	v_ashrrev_i32_e32 v13, 31, v12
	v_add_u32_e32 v14, s78, v72
	v_add_u32_e32 v16, s79, v72
	v_lshl_add_u64 v[6:7], v[6:7], 2, s[0:1]
	v_ashrrev_i32_e32 v9, 31, v8
	v_lshl_add_u64 v[10:11], v[10:11], 2, s[0:1]
	v_lshl_add_u64 v[12:13], v[12:13], 2, s[0:1]
	v_ashrrev_i32_e32 v15, 31, v14
	v_ashrrev_i32_e32 v17, 31, v16
	v_lshl_add_u64 v[8:9], v[8:9], 2, s[0:1]
	v_lshl_add_u64 v[14:15], v[14:15], 2, s[0:1]
	;; [unrolled: 1-line block ×3, first 2 shown]
	global_load_dword v20, v[6:7], off
	global_load_dword v21, v[8:9], off
	s_nop 0
	global_load_dword v10, v[10:11], off
	s_nop 0
	;; [unrolled: 2-line block ×3, first 2 shown]
	global_load_dword v12, v[14:15], off
	global_load_dword v13, v[16:17], off
	v_add_u32_e32 v6, s80, v72
	v_add_u32_e32 v8, s81, v72
	v_ashrrev_i32_e32 v7, 31, v6
	v_ashrrev_i32_e32 v9, 31, v8
	v_lshl_add_u64 v[6:7], v[6:7], 2, s[0:1]
	v_add_u32_e32 v14, s82, v72
	v_lshl_add_u64 v[8:9], v[8:9], 2, s[0:1]
	global_load_dword v30, v[6:7], off
	global_load_dword v31, v[8:9], off
	v_ashrrev_i32_e32 v15, 31, v14
	v_add_u32_e32 v16, s83, v72
	v_lshl_add_u64 v[14:15], v[14:15], 2, s[0:1]
	v_ashrrev_i32_e32 v17, 31, v16
	v_lshl_add_u64 v[16:17], v[16:17], 2, s[0:1]
	v_readlane_b32 vcc_lo, v102, 11
	v_readlane_b32 vcc_hi, v102, 12
	s_andn2_b64 vcc, exec, vcc
	s_waitcnt vmcnt(17)
	ds_write_b32 v73, v0
	s_waitcnt vmcnt(16)
	ds_write_b32 v73, v22 offset:264
	s_waitcnt vmcnt(15)
	ds_write_b32 v73, v23 offset:528
	;; [unrolled: 2-line block ×15, first 2 shown]
	v_add_u32_e32 v18, s84, v72
	v_add_u32_e32 v20, s64, v72
	;; [unrolled: 1-line block ×6, first 2 shown]
	v_ashrrev_i32_e32 v19, 31, v18
	v_ashrrev_i32_e32 v21, 31, v20
	;; [unrolled: 1-line block ×6, first 2 shown]
	ds_read_b64 v[12:13], v74
	ds_read_b64 v[10:11], v74 offset:32
	ds_read_b64 v[8:9], v74 offset:64
	;; [unrolled: 1-line block ×3, first 2 shown]
	v_lshl_add_u64 v[18:19], v[18:19], 2, s[0:1]
	v_lshl_add_u64 v[20:21], v[20:21], 2, s[0:1]
	v_lshl_add_u64 v[22:23], v[22:23], 2, s[0:1]
	v_lshl_add_u64 v[24:25], v[24:25], 2, s[0:1]
	v_lshl_add_u64 v[26:27], v[26:27], 2, s[0:1]
	v_lshl_add_u64 v[28:29], v[28:29], 2, s[0:1]
	global_load_dword v0, v[14:15], off
	global_load_dword v32, v[16:17], off
	global_load_dword v33, v[18:19], off
	global_load_dword v34, v[20:21], off
	global_load_dword v35, v[22:23], off
	global_load_dword v36, v[24:25], off
	global_load_dword v37, v[26:27], off
	global_load_dword v38, v[28:29], off
	v_add_u32_e32 v14, s87, v72
	v_ashrrev_i32_e32 v15, 31, v14
	v_add_u32_e32 v16, s88, v72
	v_add_u32_e32 v18, s89, v72
	v_add_u32_e32 v20, s90, v72
	v_add_u32_e32 v22, s91, v72
	v_add_u32_e32 v24, s92, v72
	v_add_u32_e32 v26, s85, v72
	v_add_u32_e32 v28, s93, v72
	v_lshl_add_u64 v[14:15], v[14:15], 2, s[0:1]
	v_ashrrev_i32_e32 v17, 31, v16
	v_ashrrev_i32_e32 v19, 31, v18
	v_ashrrev_i32_e32 v21, 31, v20
	v_ashrrev_i32_e32 v23, 31, v22
	v_ashrrev_i32_e32 v25, 31, v24
	v_ashrrev_i32_e32 v27, 31, v26
	v_ashrrev_i32_e32 v29, 31, v28
	v_lshl_add_u64 v[16:17], v[16:17], 2, s[0:1]
	v_lshl_add_u64 v[18:19], v[18:19], 2, s[0:1]
	v_lshl_add_u64 v[20:21], v[20:21], 2, s[0:1]
	v_lshl_add_u64 v[22:23], v[22:23], 2, s[0:1]
	v_lshl_add_u64 v[24:25], v[24:25], 2, s[0:1]
	v_lshl_add_u64 v[26:27], v[26:27], 2, s[0:1]
	v_lshl_add_u64 v[28:29], v[28:29], 2, s[0:1]
	global_load_dword v39, v[14:15], off
	global_load_dword v40, v[16:17], off
	global_load_dword v41, v[18:19], off
	global_load_dword v42, v[20:21], off
	global_load_dword v43, v[22:23], off
	global_load_dword v44, v[24:25], off
	global_load_dword v45, v[26:27], off
	global_load_dword v46, v[28:29], off
	v_add_u32_e32 v14, s94, v72
	v_ashrrev_i32_e32 v15, 31, v14
	v_add_u32_e32 v16, s95, v72
	v_add_u32_e32 v18, s96, v72
	v_add_u32_e32 v20, s97, v72
	v_add_u32_e32 v22, s98, v72
	v_add_u32_e32 v24, s99, v72
	v_add_u32_e32 v26, s24, v72
	v_add_u32_e32 v28, s25, v72
	v_lshl_add_u64 v[14:15], v[14:15], 2, s[0:1]
	v_ashrrev_i32_e32 v17, 31, v16
	v_ashrrev_i32_e32 v19, 31, v18
	v_ashrrev_i32_e32 v21, 31, v20
	v_ashrrev_i32_e32 v23, 31, v22
	v_ashrrev_i32_e32 v25, 31, v24
	v_ashrrev_i32_e32 v27, 31, v26
	v_ashrrev_i32_e32 v29, 31, v28
	v_lshl_add_u64 v[16:17], v[16:17], 2, s[0:1]
	;; [unrolled: 32-line block ×4, first 2 shown]
	v_lshl_add_u64 v[18:19], v[18:19], 2, s[0:1]
	v_lshl_add_u64 v[20:21], v[20:21], 2, s[0:1]
	;; [unrolled: 1-line block ×6, first 2 shown]
	global_load_dword v63, v[14:15], off
	global_load_dword v64, v[16:17], off
	;; [unrolled: 1-line block ×8, first 2 shown]
	v_add_u32_e32 v14, s41, v72
	v_ashrrev_i32_e32 v15, 31, v14
	v_add_u32_e32 v16, s42, v72
	v_add_u32_e32 v18, s43, v72
	;; [unrolled: 1-line block ×5, first 2 shown]
	v_lshl_add_u64 v[14:15], v[14:15], 2, s[0:1]
	v_ashrrev_i32_e32 v17, 31, v16
	v_ashrrev_i32_e32 v19, 31, v18
	;; [unrolled: 1-line block ×5, first 2 shown]
	v_lshl_add_u64 v[16:17], v[16:17], 2, s[0:1]
	v_lshl_add_u64 v[18:19], v[18:19], 2, s[0:1]
	v_lshl_add_u64 v[20:21], v[20:21], 2, s[0:1]
	v_lshl_add_u64 v[22:23], v[22:23], 2, s[0:1]
	v_lshl_add_u64 v[24:25], v[24:25], 2, s[0:1]
	global_load_dword v76, v[14:15], off
	global_load_dword v77, v[16:17], off
	;; [unrolled: 1-line block ×6, first 2 shown]
	ds_read_b64 v[20:21], v74 offset:128
	ds_read_b64 v[18:19], v74 offset:160
	ds_read_b64 v[16:17], v74 offset:192
	ds_read_b64 v[14:15], v74 offset:224
	s_waitcnt vmcnt(47)
	ds_write_b32 v73, v30
	s_waitcnt vmcnt(46)
	ds_write_b32 v73, v31 offset:264
	s_waitcnt vmcnt(45)
	ds_write_b32 v73, v0 offset:528
	s_waitcnt vmcnt(44)
	ds_write_b32 v73, v32 offset:792
	s_waitcnt vmcnt(43)
	ds_write_b32 v73, v33 offset:1056
	s_waitcnt vmcnt(42)
	ds_write_b32 v73, v34 offset:1320
	s_waitcnt vmcnt(41)
	ds_write_b32 v73, v35 offset:1584
	s_waitcnt vmcnt(40)
	ds_write_b32 v73, v36 offset:1848
	s_waitcnt vmcnt(39)
	ds_write_b32 v73, v37 offset:2112
	s_waitcnt vmcnt(38)
	ds_write_b32 v73, v38 offset:2376
	s_waitcnt vmcnt(37)
	ds_write_b32 v73, v39 offset:2640
	s_waitcnt vmcnt(36)
	ds_write_b32 v73, v40 offset:2904
	s_waitcnt vmcnt(35)
	ds_write_b32 v73, v41 offset:3168
	s_waitcnt vmcnt(34)
	ds_write_b32 v73, v42 offset:3432
	s_waitcnt vmcnt(33)
	ds_write_b32 v73, v43 offset:3696
	s_waitcnt vmcnt(32)
	ds_write_b32 v73, v44 offset:3960
	ds_read_b64 v[38:39], v74
	ds_read_b64 v[36:37], v74 offset:32
	ds_read_b64 v[32:33], v74 offset:64
	ds_read_b64 v[30:31], v74 offset:96
	ds_read_b64 v[28:29], v74 offset:128
	ds_read_b64 v[26:27], v74 offset:160
	ds_read_b64 v[24:25], v74 offset:192
	ds_read_b64 v[22:23], v74 offset:224
	s_waitcnt vmcnt(31)
	ds_write_b32 v73, v45
	s_waitcnt vmcnt(30)
	ds_write_b32 v73, v46 offset:264
	s_waitcnt vmcnt(29)
	ds_write_b32 v73, v47 offset:528
	s_waitcnt vmcnt(28)
	ds_write_b32 v73, v48 offset:792
	s_waitcnt vmcnt(27)
	ds_write_b32 v73, v49 offset:1056
	s_waitcnt vmcnt(26)
	ds_write_b32 v73, v50 offset:1320
	s_waitcnt vmcnt(25)
	ds_write_b32 v73, v51 offset:1584
	s_waitcnt vmcnt(24)
	ds_write_b32 v73, v52 offset:1848
	s_waitcnt vmcnt(23)
	ds_write_b32 v73, v53 offset:2112
	s_waitcnt vmcnt(22)
	ds_write_b32 v73, v54 offset:2376
	s_waitcnt vmcnt(21)
	ds_write_b32 v73, v55 offset:2640
	s_waitcnt vmcnt(20)
	ds_write_b32 v73, v56 offset:2904
	s_waitcnt vmcnt(19)
	ds_write_b32 v73, v57 offset:3168
	s_waitcnt vmcnt(18)
	ds_write_b32 v73, v58 offset:3432
	s_waitcnt vmcnt(17)
	ds_write_b32 v73, v59 offset:3696
	s_waitcnt vmcnt(16)
	ds_write_b32 v73, v60 offset:3960
	ds_read_b64 v[52:53], v74
	ds_read_b64 v[50:51], v74 offset:32
	ds_read_b64 v[48:49], v74 offset:64
	ds_read_b64 v[46:47], v74 offset:96
	;; [unrolled: 40-line block ×3, first 2 shown]
	ds_read_b64 v[64:65], v74 offset:128
	ds_read_b64 v[60:61], v74 offset:160
	;; [unrolled: 1-line block ×4, first 2 shown]
	v_mov_b32_e32 v75, 0
	v_mov_b32_e32 v0, 0
	s_cbranch_vccnz .LBB105_9
; %bb.7:                                ;   in Loop: Header=BB105_6 Depth=1
	s_load_dword s47, s[36:37], 0x0
	v_mov_b32_e32 v0, 0
	v_mov_b32_e32 v75, 0
	s_waitcnt lgkmcnt(0)
	s_mul_hi_u32 vcc_lo, s47, s16
	s_add_i32 vcc_lo, s47, vcc_lo
	s_lshr_b32 vcc_lo, vcc_lo, s17
	s_cmp_ge_i32 vcc_lo, s13
	s_cbranch_scc1 .LBB105_9
; %bb.8:                                ;   in Loop: Header=BB105_6 Depth=1
	s_mul_i32 vcc_hi, vcc_lo, s18
	s_sub_i32 s47, s47, vcc_hi
	s_mul_i32 vcc_lo, vcc_lo, s20
	s_mul_i32 s47, s47, s9
	v_add_u32_e32 v0, vcc_lo, v72
	v_lshl_add_u32 v76, v0, 1, s47
	v_ashrrev_i32_e32 v77, 31, v76
	v_lshl_add_u64 v[76:77], v[76:77], 2, s[6:7]
	global_load_dwordx2 v[76:77], v[76:77], off
	s_waitcnt vmcnt(0)
	v_cvt_f16_f32_e32 v75, v76
	v_cvt_f16_f32_e32 v0, v77
.LBB105_9:                              ;   in Loop: Header=BB105_6 Depth=1
	v_readlane_b32 vcc_lo, v102, 13
	v_readlane_b32 vcc_hi, v102, 14
	v_mov_b32_e32 v76, 0
	s_andn2_b64 vcc, exec, vcc
	v_mov_b32_e32 v78, 0
	v_mov_b32_e32 v77, 0
	s_cbranch_vccnz .LBB105_12
; %bb.10:                               ;   in Loop: Header=BB105_6 Depth=1
	s_load_dword s47, s[36:37], 0x4
	v_mov_b32_e32 v77, 0
	v_mov_b32_e32 v78, 0
	s_waitcnt lgkmcnt(0)
	s_mul_hi_u32 vcc_lo, s47, s16
	s_add_i32 vcc_lo, s47, vcc_lo
	s_lshr_b32 vcc_lo, vcc_lo, s17
	s_cmp_ge_i32 vcc_lo, s13
	s_cbranch_scc1 .LBB105_12
; %bb.11:                               ;   in Loop: Header=BB105_6 Depth=1
	s_mul_i32 vcc_hi, vcc_lo, s18
	s_sub_i32 s47, s47, vcc_hi
	s_mul_i32 vcc_lo, vcc_lo, s20
	s_mul_i32 s47, s47, s9
	v_add_u32_e32 v77, vcc_lo, v72
	v_lshl_add_u32 v78, v77, 1, s47
	v_ashrrev_i32_e32 v79, 31, v78
	v_lshl_add_u64 v[78:79], v[78:79], 2, s[6:7]
	global_load_dwordx2 v[78:79], v[78:79], off
	s_waitcnt vmcnt(0)
	v_cvt_f16_f32_e32 v78, v78
	v_cvt_f16_f32_e32 v77, v79
.LBB105_12:                             ;   in Loop: Header=BB105_6 Depth=1
	v_readlane_b32 vcc_lo, v102, 15
	v_readlane_b32 vcc_hi, v102, 16
	s_andn2_b64 vcc, exec, vcc
	v_mov_b32_e32 v79, 0
	s_cbranch_vccnz .LBB105_15
; %bb.13:                               ;   in Loop: Header=BB105_6 Depth=1
	s_load_dword s47, s[36:37], 0x8
	v_mov_b32_e32 v79, 0
	v_mov_b32_e32 v76, 0
	s_waitcnt lgkmcnt(0)
	s_mul_hi_u32 vcc_lo, s47, s16
	s_add_i32 vcc_lo, s47, vcc_lo
	s_lshr_b32 vcc_lo, vcc_lo, s17
	s_cmp_ge_i32 vcc_lo, s13
	s_cbranch_scc1 .LBB105_15
; %bb.14:                               ;   in Loop: Header=BB105_6 Depth=1
	s_mul_i32 vcc_hi, vcc_lo, s18
	s_sub_i32 s47, s47, vcc_hi
	s_mul_i32 vcc_lo, vcc_lo, s20
	s_mul_i32 s47, s47, s9
	v_add_u32_e32 v76, vcc_lo, v72
	v_lshl_add_u32 v80, v76, 1, s47
	v_ashrrev_i32_e32 v81, 31, v80
	v_lshl_add_u64 v[80:81], v[80:81], 2, s[6:7]
	global_load_dwordx2 v[80:81], v[80:81], off
	s_waitcnt vmcnt(0)
	v_cvt_f16_f32_e32 v76, v80
	v_cvt_f16_f32_e32 v79, v81
.LBB105_15:                             ;   in Loop: Header=BB105_6 Depth=1
	v_readlane_b32 vcc_lo, v102, 17
	v_readlane_b32 vcc_hi, v102, 18
	v_mov_b32_e32 v80, 0
	s_andn2_b64 vcc, exec, vcc
	v_mov_b32_e32 v82, 0
	v_mov_b32_e32 v81, 0
	s_cbranch_vccnz .LBB105_18
; %bb.16:                               ;   in Loop: Header=BB105_6 Depth=1
	s_load_dword s47, s[36:37], 0xc
	v_mov_b32_e32 v81, 0
	v_mov_b32_e32 v82, 0
	s_waitcnt lgkmcnt(0)
	s_mul_hi_u32 vcc_lo, s47, s16
	s_add_i32 vcc_lo, s47, vcc_lo
	s_lshr_b32 vcc_lo, vcc_lo, s17
	s_cmp_ge_i32 vcc_lo, s13
	s_cbranch_scc1 .LBB105_18
; %bb.17:                               ;   in Loop: Header=BB105_6 Depth=1
	s_mul_i32 vcc_hi, vcc_lo, s18
	s_sub_i32 s47, s47, vcc_hi
	s_mul_i32 vcc_lo, vcc_lo, s20
	s_mul_i32 s47, s47, s9
	v_add_u32_e32 v81, vcc_lo, v72
	v_lshl_add_u32 v82, v81, 1, s47
	v_ashrrev_i32_e32 v83, 31, v82
	v_lshl_add_u64 v[82:83], v[82:83], 2, s[6:7]
	global_load_dwordx2 v[82:83], v[82:83], off
	s_waitcnt vmcnt(0)
	v_cvt_f16_f32_e32 v82, v82
	v_cvt_f16_f32_e32 v81, v83
.LBB105_18:                             ;   in Loop: Header=BB105_6 Depth=1
	v_readlane_b32 vcc_lo, v102, 19
	v_readlane_b32 vcc_hi, v102, 20
	s_andn2_b64 vcc, exec, vcc
	v_mov_b32_e32 v83, 0
	s_cbranch_vccnz .LBB105_21
; %bb.19:                               ;   in Loop: Header=BB105_6 Depth=1
	s_load_dword s47, s[36:37], 0x10
	v_mov_b32_e32 v83, 0
	v_mov_b32_e32 v80, 0
	s_waitcnt lgkmcnt(0)
	s_mul_hi_u32 vcc_lo, s47, s16
	s_add_i32 vcc_lo, s47, vcc_lo
	s_lshr_b32 vcc_lo, vcc_lo, s17
	s_cmp_ge_i32 vcc_lo, s13
	s_cbranch_scc1 .LBB105_21
; %bb.20:                               ;   in Loop: Header=BB105_6 Depth=1
	s_mul_i32 vcc_hi, vcc_lo, s18
	s_sub_i32 s47, s47, vcc_hi
	s_mul_i32 vcc_lo, vcc_lo, s20
	s_mul_i32 s47, s47, s9
	v_add_u32_e32 v80, vcc_lo, v72
	v_lshl_add_u32 v84, v80, 1, s47
	v_ashrrev_i32_e32 v85, 31, v84
	v_lshl_add_u64 v[84:85], v[84:85], 2, s[6:7]
	global_load_dwordx2 v[84:85], v[84:85], off
	s_waitcnt vmcnt(0)
	v_cvt_f16_f32_e32 v80, v84
	v_cvt_f16_f32_e32 v83, v85
.LBB105_21:                             ;   in Loop: Header=BB105_6 Depth=1
	v_readlane_b32 vcc_lo, v102, 21
	v_readlane_b32 vcc_hi, v102, 22
	v_mov_b32_e32 v84, 0
	s_andn2_b64 vcc, exec, vcc
	v_mov_b32_e32 v86, 0
	v_mov_b32_e32 v85, 0
	s_cbranch_vccnz .LBB105_24
; %bb.22:                               ;   in Loop: Header=BB105_6 Depth=1
	s_load_dword s47, s[36:37], 0x14
	v_mov_b32_e32 v85, 0
	v_mov_b32_e32 v86, 0
	s_waitcnt lgkmcnt(0)
	s_mul_hi_u32 vcc_lo, s47, s16
	s_add_i32 vcc_lo, s47, vcc_lo
	s_lshr_b32 vcc_lo, vcc_lo, s17
	s_cmp_ge_i32 vcc_lo, s13
	s_cbranch_scc1 .LBB105_24
; %bb.23:                               ;   in Loop: Header=BB105_6 Depth=1
	s_mul_i32 vcc_hi, vcc_lo, s18
	s_sub_i32 s47, s47, vcc_hi
	s_mul_i32 vcc_lo, vcc_lo, s20
	s_mul_i32 s47, s47, s9
	v_add_u32_e32 v85, vcc_lo, v72
	v_lshl_add_u32 v86, v85, 1, s47
	v_ashrrev_i32_e32 v87, 31, v86
	v_lshl_add_u64 v[86:87], v[86:87], 2, s[6:7]
	global_load_dwordx2 v[86:87], v[86:87], off
	s_waitcnt vmcnt(0)
	v_cvt_f16_f32_e32 v86, v86
	v_cvt_f16_f32_e32 v85, v87
.LBB105_24:                             ;   in Loop: Header=BB105_6 Depth=1
	s_andn2_b64 vcc, exec, s[48:49]
	v_mov_b32_e32 v87, 0
	s_cbranch_vccnz .LBB105_27
; %bb.25:                               ;   in Loop: Header=BB105_6 Depth=1
	s_load_dword s47, s[36:37], 0x18
	v_mov_b32_e32 v87, 0
	v_mov_b32_e32 v84, 0
	s_waitcnt lgkmcnt(0)
	s_mul_hi_u32 vcc_lo, s47, s16
	s_add_i32 vcc_lo, s47, vcc_lo
	s_lshr_b32 vcc_lo, vcc_lo, s17
	s_cmp_ge_i32 vcc_lo, s13
	s_cbranch_scc1 .LBB105_27
; %bb.26:                               ;   in Loop: Header=BB105_6 Depth=1
	s_mul_i32 vcc_hi, vcc_lo, s18
	s_sub_i32 s47, s47, vcc_hi
	s_mul_i32 vcc_lo, vcc_lo, s20
	s_mul_i32 s47, s47, s9
	v_add_u32_e32 v84, vcc_lo, v72
	v_lshl_add_u32 v88, v84, 1, s47
	v_ashrrev_i32_e32 v89, 31, v88
	v_lshl_add_u64 v[88:89], v[88:89], 2, s[6:7]
	global_load_dwordx2 v[88:89], v[88:89], off
	s_waitcnt vmcnt(0)
	v_cvt_f16_f32_e32 v84, v88
	v_cvt_f16_f32_e32 v87, v89
.LBB105_27:                             ;   in Loop: Header=BB105_6 Depth=1
	v_mov_b32_e32 v88, 0
	s_andn2_b64 vcc, exec, s[50:51]
	v_mov_b32_e32 v90, 0
	v_mov_b32_e32 v89, 0
	s_cbranch_vccnz .LBB105_30
; %bb.28:                               ;   in Loop: Header=BB105_6 Depth=1
	s_load_dword s47, s[36:37], 0x1c
	v_mov_b32_e32 v89, 0
	v_mov_b32_e32 v90, 0
	s_waitcnt lgkmcnt(0)
	s_mul_hi_u32 vcc_lo, s47, s16
	s_add_i32 vcc_lo, s47, vcc_lo
	s_lshr_b32 vcc_lo, vcc_lo, s17
	s_cmp_ge_i32 vcc_lo, s13
	s_cbranch_scc1 .LBB105_30
; %bb.29:                               ;   in Loop: Header=BB105_6 Depth=1
	s_mul_i32 vcc_hi, vcc_lo, s18
	s_sub_i32 s47, s47, vcc_hi
	s_mul_i32 vcc_lo, vcc_lo, s20
	s_mul_i32 s47, s47, s9
	v_add_u32_e32 v89, vcc_lo, v72
	v_lshl_add_u32 v90, v89, 1, s47
	v_ashrrev_i32_e32 v91, 31, v90
	v_lshl_add_u64 v[90:91], v[90:91], 2, s[6:7]
	global_load_dwordx2 v[90:91], v[90:91], off
	s_waitcnt vmcnt(0)
	v_cvt_f16_f32_e32 v90, v90
	v_cvt_f16_f32_e32 v89, v91
.LBB105_30:                             ;   in Loop: Header=BB105_6 Depth=1
	s_andn2_b64 vcc, exec, s[52:53]
	v_mov_b32_e32 v91, 0
	s_cbranch_vccnz .LBB105_33
; %bb.31:                               ;   in Loop: Header=BB105_6 Depth=1
	s_load_dword s47, s[36:37], 0x20
	v_mov_b32_e32 v91, 0
	v_mov_b32_e32 v88, 0
	s_waitcnt lgkmcnt(0)
	s_mul_hi_u32 vcc_lo, s47, s16
	s_add_i32 vcc_lo, s47, vcc_lo
	s_lshr_b32 vcc_lo, vcc_lo, s17
	s_cmp_ge_i32 vcc_lo, s13
	s_cbranch_scc1 .LBB105_33
; %bb.32:                               ;   in Loop: Header=BB105_6 Depth=1
	s_mul_i32 vcc_hi, vcc_lo, s18
	s_sub_i32 s47, s47, vcc_hi
	s_mul_i32 vcc_lo, vcc_lo, s20
	s_mul_i32 s47, s47, s9
	v_add_u32_e32 v88, vcc_lo, v72
	v_lshl_add_u32 v92, v88, 1, s47
	v_ashrrev_i32_e32 v93, 31, v92
	v_lshl_add_u64 v[92:93], v[92:93], 2, s[6:7]
	global_load_dwordx2 v[92:93], v[92:93], off
	s_waitcnt vmcnt(0)
	v_cvt_f16_f32_e32 v88, v92
	v_cvt_f16_f32_e32 v91, v93
.LBB105_33:                             ;   in Loop: Header=BB105_6 Depth=1
	v_mov_b32_e32 v92, 0
	s_andn2_b64 vcc, exec, s[54:55]
	;; [unrolled: 56-line block ×3, first 2 shown]
	v_mov_b32_e32 v98, 0
	v_mov_b32_e32 v97, 0
	s_cbranch_vccnz .LBB105_42
; %bb.40:                               ;   in Loop: Header=BB105_6 Depth=1
	s_load_dword s47, s[36:37], 0x2c
	v_mov_b32_e32 v97, 0
	v_mov_b32_e32 v98, 0
	s_waitcnt lgkmcnt(0)
	s_mul_hi_u32 vcc_lo, s47, s16
	s_add_i32 vcc_lo, s47, vcc_lo
	s_lshr_b32 vcc_lo, vcc_lo, s17
	s_cmp_ge_i32 vcc_lo, s13
	s_cbranch_scc1 .LBB105_42
; %bb.41:                               ;   in Loop: Header=BB105_6 Depth=1
	s_mul_i32 vcc_hi, vcc_lo, s18
	s_sub_i32 s47, s47, vcc_hi
	s_mul_i32 vcc_lo, vcc_lo, s20
	s_mul_i32 s47, s47, s9
	v_add_u32_e32 v97, vcc_lo, v72
	v_lshl_add_u32 v98, v97, 1, s47
	v_ashrrev_i32_e32 v99, 31, v98
	v_lshl_add_u64 v[98:99], v[98:99], 2, s[6:7]
	global_load_dwordx2 v[98:99], v[98:99], off
	s_waitcnt vmcnt(0)
	v_cvt_f16_f32_e32 v98, v98
	v_cvt_f16_f32_e32 v97, v99
.LBB105_42:                             ;   in Loop: Header=BB105_6 Depth=1
	s_andn2_b64 vcc, exec, s[60:61]
	v_mov_b32_e32 v99, 0
	s_cbranch_vccnz .LBB105_5
; %bb.43:                               ;   in Loop: Header=BB105_6 Depth=1
	s_load_dword s47, s[36:37], 0x30
	v_mov_b32_e32 v99, 0
	v_mov_b32_e32 v96, 0
	s_waitcnt lgkmcnt(0)
	s_mul_hi_u32 vcc_lo, s47, s16
	s_add_i32 vcc_lo, s47, vcc_lo
	s_lshr_b32 vcc_lo, vcc_lo, s17
	s_cmp_ge_i32 vcc_lo, s13
	s_cbranch_scc1 .LBB105_5
; %bb.44:                               ;   in Loop: Header=BB105_6 Depth=1
	s_mul_i32 vcc_hi, vcc_lo, s18
	s_sub_i32 s47, s47, vcc_hi
	s_mul_i32 vcc_lo, vcc_lo, s20
	s_mul_i32 s47, s47, s9
	v_add_u32_e32 v96, vcc_lo, v72
	v_lshl_add_u32 v100, v96, 1, s47
	v_ashrrev_i32_e32 v101, 31, v100
	v_lshl_add_u64 v[100:101], v[100:101], 2, s[6:7]
	global_load_dwordx2 v[100:101], v[100:101], off
	s_waitcnt vmcnt(0)
	v_cvt_f16_f32_e32 v96, v100
	v_cvt_f16_f32_e32 v99, v101
	s_branch .LBB105_5
.LBB105_45:
	s_or_b64 exec, exec, s[4:5]
	v_readlane_b32 s24, v102, 6
	v_readlane_b32 s30, v102, 9
	;; [unrolled: 1-line block ×12, first 2 shown]
.LBB105_46:
	s_or_b64 exec, exec, s[36:37]
	v_lshl_add_u32 v0, v70, 2, 0
	v_mul_u32_u24_e32 v1, 0x308, v71
	v_and_b32_e32 v4, 0x3f0, v3
	v_add3_u32 v0, v0, v1, v4
	v_accvgpr_read_b32 v1, a5
	v_accvgpr_read_b32 v4, a4
	s_barrier
	ds_write2_b32 v0, v4, v1 offset1:1
	v_accvgpr_read_b32 v1, a7
	v_accvgpr_read_b32 v4, a6
	ds_write2_b32 v0, v4, v1 offset0:2 offset1:3
	v_accvgpr_read_b32 v1, a1
	v_accvgpr_read_b32 v4, a0
	ds_write2_b32 v0, v4, v1 offset0:16 offset1:17
	;; [unrolled: 3-line block ×3, first 2 shown]
	v_accvgpr_read_b32 v1, a9
	v_accvgpr_read_b32 v4, a8
	s_lshl_b64 s[0:1], s[30:31], 2
	ds_write2_b32 v0, v4, v1 offset0:32 offset1:33
	v_accvgpr_read_b32 v1, a11
	v_accvgpr_read_b32 v4, a10
	s_add_u32 s4, s22, s0
	ds_write2_b32 v0, v4, v1 offset0:34 offset1:35
	v_accvgpr_read_b32 v1, a13
	v_accvgpr_read_b32 v4, a12
	s_addc_u32 s5, s23, s1
	ds_write2_b32 v0, v4, v1 offset0:48 offset1:49
	v_accvgpr_read_b32 v1, a15
	v_accvgpr_read_b32 v4, a14
	ds_write2_b32 v0, v4, v1 offset0:50 offset1:51
	s_cmp_gt_i32 s14, 0
	v_add_u32_e32 v0, s28, v2
	s_cselect_b64 s[6:7], -1, 0
	v_cmp_gt_i32_e64 s[0:1], s26, v0
	v_cmp_gt_u32_e32 vcc, 13, v2
	s_and_b64 s[0:1], s[6:7], s[0:1]
	v_lshl_add_u32 v5, v3, 2, 0
	v_add_u32_e32 v4, s11, v3
	v_mul_u32_u24_e32 v6, 0x308, v2
	s_and_b64 s[2:3], vcc, s[0:1]
	s_waitcnt lgkmcnt(0)
	s_barrier
	s_and_saveexec_b64 s[0:1], s[2:3]
	v_readlane_b32 s8, v102, 0
	v_readlane_b32 s9, v102, 1
	s_cbranch_execz .LBB105_49
; %bb.47:
	v_ashrrev_i32_e32 v1, 31, v0
	v_lshl_add_u64 v[8:9], v[0:1], 2, s[4:5]
	global_load_dword v3, v[8:9], off
	s_waitcnt vmcnt(0)
	v_mul_hi_u32 v1, v3, s19
	v_add_u32_e32 v1, v3, v1
	v_lshrrev_b32_e32 v1, s24, v1
	v_cmp_gt_i32_e32 vcc, s13, v1
	s_and_b64 exec, exec, vcc
	s_cbranch_execz .LBB105_49
; %bb.48:
	v_add_u32_e32 v7, v5, v6
	ds_read2st64_b32 v[8:9], v7 offset1:1
	ds_read_b32 v7, v7 offset:512
	v_mul_lo_u32 v10, v1, s25
	v_sub_u32_e32 v3, v3, v10
	v_mul_lo_u32 v3, v3, s10
	s_waitcnt lgkmcnt(1)
	v_add_f32_e32 v8, 0, v8
	v_add_f32_e32 v8, v8, v9
	v_mul_lo_u32 v1, v1, s21
	s_waitcnt lgkmcnt(0)
	v_add_f32_e32 v7, v8, v7
	v_add3_u32 v8, v4, v1, v3
	v_mov_b32_e32 v9, 0
	v_lshl_add_u64 v[8:9], v[8:9], 2, s[8:9]
	global_store_dword v[8:9], v7, off
.LBB105_49:
	s_or_b64 exec, exec, s[0:1]
	v_add_u32_e32 v1, 3, v0
	v_cmp_gt_i32_e64 s[0:1], s26, v1
	v_cmp_gt_u32_e32 vcc, 10, v2
	s_and_b64 s[0:1], s[6:7], s[0:1]
	s_and_b64 s[2:3], vcc, s[0:1]
	s_and_saveexec_b64 s[0:1], s[2:3]
	s_cbranch_execz .LBB105_52
; %bb.50:
	s_ashr_i32 s29, s28, 31
	v_mov_b32_e32 v3, 0
	v_lshl_add_u64 v[8:9], v[2:3], 0, s[28:29]
	v_lshl_add_u64 v[8:9], v[8:9], 2, s[4:5]
	global_load_dword v7, v[8:9], off offset:12
	s_waitcnt vmcnt(0)
	v_mul_hi_u32 v1, v7, s19
	v_add_u32_e32 v1, v7, v1
	v_lshrrev_b32_e32 v1, s24, v1
	v_cmp_gt_i32_e32 vcc, s13, v1
	s_and_b64 exec, exec, vcc
	s_cbranch_execz .LBB105_52
; %bb.51:
	v_add_u32_e32 v10, v6, v5
	v_add_u32_e32 v8, 24, v10
	ds_read2st64_b32 v[8:9], v8 offset0:9 offset1:10
	ds_read_b32 v10, v10 offset:2840
	v_mul_lo_u32 v11, v1, s25
	v_sub_u32_e32 v7, v7, v11
	v_mul_lo_u32 v7, v7, s10
	s_waitcnt lgkmcnt(1)
	v_add_f32_e32 v8, 0, v8
	v_add_f32_e32 v8, v8, v9
	v_mul_lo_u32 v1, v1, s21
	s_waitcnt lgkmcnt(0)
	v_add_f32_e32 v10, v8, v10
	v_add3_u32 v8, v4, v1, v7
	v_mov_b32_e32 v9, v3
	v_lshl_add_u64 v[8:9], v[8:9], 2, s[8:9]
	global_store_dword v[8:9], v10, off
.LBB105_52:
	s_or_b64 exec, exec, s[0:1]
	v_add_u32_e32 v1, 6, v0
	v_cmp_gt_i32_e64 s[0:1], s26, v1
	v_cmp_gt_u32_e32 vcc, 7, v2
	s_and_b64 s[0:1], s[6:7], s[0:1]
	s_and_b64 s[2:3], vcc, s[0:1]
	s_and_saveexec_b64 s[0:1], s[2:3]
	s_cbranch_execz .LBB105_55
; %bb.53:
	s_ashr_i32 s29, s28, 31
	v_mov_b32_e32 v3, 0
	v_lshl_add_u64 v[8:9], v[2:3], 0, s[28:29]
	v_lshl_add_u64 v[8:9], v[8:9], 2, s[4:5]
	global_load_dword v7, v[8:9], off offset:24
	s_waitcnt vmcnt(0)
	v_mul_hi_u32 v1, v7, s19
	v_add_u32_e32 v1, v7, v1
	v_lshrrev_b32_e32 v1, s24, v1
	v_cmp_gt_i32_e32 vcc, s13, v1
	s_and_b64 exec, exec, vcc
	s_cbranch_execz .LBB105_55
; %bb.54:
	v_add_u32_e32 v10, v5, v6
	v_add_u32_e32 v8, 48, v10
	ds_read2st64_b32 v[8:9], v8 offset0:18 offset1:19
	ds_read_b32 v10, v10 offset:5168
	v_mul_lo_u32 v11, v1, s25
	v_sub_u32_e32 v7, v7, v11
	v_mul_lo_u32 v7, v7, s10
	s_waitcnt lgkmcnt(1)
	v_add_f32_e32 v8, 0, v8
	v_add_f32_e32 v8, v8, v9
	v_mul_lo_u32 v1, v1, s21
	s_waitcnt lgkmcnt(0)
	v_add_f32_e32 v10, v8, v10
	v_add3_u32 v8, v4, v1, v7
	v_mov_b32_e32 v9, v3
	v_lshl_add_u64 v[8:9], v[8:9], 2, s[8:9]
	global_store_dword v[8:9], v10, off
.LBB105_55:
	s_or_b64 exec, exec, s[0:1]
	v_add_u32_e32 v0, 9, v0
	v_cmp_gt_i32_e64 s[0:1], s26, v0
	v_cmp_gt_u32_e32 vcc, 4, v2
	s_and_b64 s[0:1], s[6:7], s[0:1]
	s_and_b64 s[2:3], vcc, s[0:1]
	s_and_saveexec_b64 s[0:1], s[2:3]
	s_cbranch_execz .LBB105_58
; %bb.56:
	s_ashr_i32 s29, s28, 31
	v_mov_b32_e32 v3, 0
	v_lshl_add_u64 v[0:1], v[2:3], 0, s[28:29]
	v_lshl_add_u64 v[0:1], v[0:1], 2, s[4:5]
	global_load_dword v1, v[0:1], off offset:36
	s_waitcnt vmcnt(0)
	v_mul_hi_u32 v0, v1, s19
	v_add_u32_e32 v0, v1, v0
	v_lshrrev_b32_e32 v0, s24, v0
	v_cmp_gt_i32_e32 vcc, s13, v0
	s_and_b64 exec, exec, vcc
	s_cbranch_execz .LBB105_58
; %bb.57:
	v_add_u32_e32 v8, v5, v6
	v_add_u32_e32 v6, 0x48, v8
	ds_read2st64_b32 v[6:7], v6 offset0:27 offset1:28
	ds_read_b32 v8, v8 offset:7496
	v_mul_lo_u32 v9, v0, s25
	v_sub_u32_e32 v1, v1, v9
	v_mul_lo_u32 v1, v1, s10
	s_waitcnt lgkmcnt(1)
	v_add_f32_e32 v6, 0, v6
	v_mul_lo_u32 v0, v0, s21
	v_add_f32_e32 v6, v6, v7
	v_add3_u32 v0, v4, v0, v1
	v_mov_b32_e32 v1, v3
	s_waitcnt lgkmcnt(0)
	v_add_f32_e32 v6, v6, v8
	v_lshl_add_u64 v[0:1], v[0:1], 2, s[8:9]
	global_store_dword v[0:1], v6, off
.LBB105_58:
	s_or_b64 exec, exec, s[0:1]
	v_cmp_eq_u32_e32 vcc, 0, v2
	s_and_saveexec_b64 s[0:1], vcc
	s_cbranch_execz .LBB105_62
; %bb.59:
	s_add_i32 s0, s28, 12
	s_cmp_ge_i32 s0, s26
	s_cselect_b64 s[0:1], -1, 0
	s_xor_b64 s[2:3], s[6:7], -1
	s_or_b64 s[0:1], s[2:3], s[0:1]
	s_and_b64 vcc, exec, s[0:1]
	s_cbranch_vccnz .LBB105_62
; %bb.60:
	s_ashr_i32 s29, s28, 31
	s_lshl_b64 s[0:1], s[28:29], 2
	s_add_u32 s0, s4, s0
	s_addc_u32 s1, s5, s1
	s_load_dword s1, s[0:1], 0x30
	s_waitcnt lgkmcnt(0)
	s_mul_hi_u32 s0, s1, s19
	s_add_i32 s0, s1, s0
	s_lshr_b32 s0, s0, s24
	s_cmp_ge_i32 s0, s13
	s_cbranch_scc1 .LBB105_62
; %bb.61:
	v_add_u32_e32 v0, 0x60, v5
	ds_read2st64_b32 v[0:1], v0 offset0:36 offset1:37
	ds_read_b32 v2, v5 offset:9824
	s_mul_i32 s2, s0, s25
	s_sub_i32 s1, s1, s2
	s_mul_i32 s1, s1, s10
	s_waitcnt lgkmcnt(1)
	v_add_f32_e32 v0, 0, v0
	s_mul_i32 s0, s0, s21
	v_add_f32_e32 v0, v0, v1
	s_add_i32 s1, s1, s0
	s_waitcnt lgkmcnt(0)
	v_add_f32_e32 v2, v0, v2
	v_add_u32_e32 v0, s1, v4
	v_mov_b32_e32 v1, 0
	v_lshl_add_u64 v[0:1], v[0:1], 2, s[8:9]
	global_store_dword v[0:1], v2, off
.LBB105_62:
	s_endpgm
	.section	.rodata,"a",@progbits
	.p2align	6, 0x0
	.amdhsa_kernel _ZL13mul_mat_f_idsI7__half2Li64ELi13ELi3EEvPKT_PKfPKiS7_S7_Pfiiiiiiiiiiiiii15HIP_vector_typeIjLj3EESA_
		.amdhsa_group_segment_fixed_size 0
		.amdhsa_private_segment_fixed_size 0
		.amdhsa_kernarg_size 128
		.amdhsa_user_sgpr_count 2
		.amdhsa_user_sgpr_dispatch_ptr 0
		.amdhsa_user_sgpr_queue_ptr 0
		.amdhsa_user_sgpr_kernarg_segment_ptr 1
		.amdhsa_user_sgpr_dispatch_id 0
		.amdhsa_user_sgpr_kernarg_preload_length 0
		.amdhsa_user_sgpr_kernarg_preload_offset 0
		.amdhsa_user_sgpr_private_segment_size 0
		.amdhsa_uses_dynamic_stack 0
		.amdhsa_enable_private_segment 0
		.amdhsa_system_sgpr_workgroup_id_x 1
		.amdhsa_system_sgpr_workgroup_id_y 1
		.amdhsa_system_sgpr_workgroup_id_z 1
		.amdhsa_system_sgpr_workgroup_info 0
		.amdhsa_system_vgpr_workitem_id 1
		.amdhsa_next_free_vgpr 120
		.amdhsa_next_free_sgpr 100
		.amdhsa_accum_offset 104
		.amdhsa_reserve_vcc 1
		.amdhsa_float_round_mode_32 0
		.amdhsa_float_round_mode_16_64 0
		.amdhsa_float_denorm_mode_32 3
		.amdhsa_float_denorm_mode_16_64 3
		.amdhsa_dx10_clamp 1
		.amdhsa_ieee_mode 1
		.amdhsa_fp16_overflow 0
		.amdhsa_tg_split 0
		.amdhsa_exception_fp_ieee_invalid_op 0
		.amdhsa_exception_fp_denorm_src 0
		.amdhsa_exception_fp_ieee_div_zero 0
		.amdhsa_exception_fp_ieee_overflow 0
		.amdhsa_exception_fp_ieee_underflow 0
		.amdhsa_exception_fp_ieee_inexact 0
		.amdhsa_exception_int_div_zero 0
	.end_amdhsa_kernel
	.section	.text._ZL13mul_mat_f_idsI7__half2Li64ELi13ELi3EEvPKT_PKfPKiS7_S7_Pfiiiiiiiiiiiiii15HIP_vector_typeIjLj3EESA_,"axG",@progbits,_ZL13mul_mat_f_idsI7__half2Li64ELi13ELi3EEvPKT_PKfPKiS7_S7_Pfiiiiiiiiiiiiii15HIP_vector_typeIjLj3EESA_,comdat
.Lfunc_end105:
	.size	_ZL13mul_mat_f_idsI7__half2Li64ELi13ELi3EEvPKT_PKfPKiS7_S7_Pfiiiiiiiiiiiiii15HIP_vector_typeIjLj3EESA_, .Lfunc_end105-_ZL13mul_mat_f_idsI7__half2Li64ELi13ELi3EEvPKT_PKfPKiS7_S7_Pfiiiiiiiiiiiiii15HIP_vector_typeIjLj3EESA_
                                        ; -- End function
	.set _ZL13mul_mat_f_idsI7__half2Li64ELi13ELi3EEvPKT_PKfPKiS7_S7_Pfiiiiiiiiiiiiii15HIP_vector_typeIjLj3EESA_.num_vgpr, 103
	.set _ZL13mul_mat_f_idsI7__half2Li64ELi13ELi3EEvPKT_PKfPKiS7_S7_Pfiiiiiiiiiiiiii15HIP_vector_typeIjLj3EESA_.num_agpr, 16
	.set _ZL13mul_mat_f_idsI7__half2Li64ELi13ELi3EEvPKT_PKfPKiS7_S7_Pfiiiiiiiiiiiiii15HIP_vector_typeIjLj3EESA_.numbered_sgpr, 100
	.set _ZL13mul_mat_f_idsI7__half2Li64ELi13ELi3EEvPKT_PKfPKiS7_S7_Pfiiiiiiiiiiiiii15HIP_vector_typeIjLj3EESA_.num_named_barrier, 0
	.set _ZL13mul_mat_f_idsI7__half2Li64ELi13ELi3EEvPKT_PKfPKiS7_S7_Pfiiiiiiiiiiiiii15HIP_vector_typeIjLj3EESA_.private_seg_size, 0
	.set _ZL13mul_mat_f_idsI7__half2Li64ELi13ELi3EEvPKT_PKfPKiS7_S7_Pfiiiiiiiiiiiiii15HIP_vector_typeIjLj3EESA_.uses_vcc, 1
	.set _ZL13mul_mat_f_idsI7__half2Li64ELi13ELi3EEvPKT_PKfPKiS7_S7_Pfiiiiiiiiiiiiii15HIP_vector_typeIjLj3EESA_.uses_flat_scratch, 0
	.set _ZL13mul_mat_f_idsI7__half2Li64ELi13ELi3EEvPKT_PKfPKiS7_S7_Pfiiiiiiiiiiiiii15HIP_vector_typeIjLj3EESA_.has_dyn_sized_stack, 0
	.set _ZL13mul_mat_f_idsI7__half2Li64ELi13ELi3EEvPKT_PKfPKiS7_S7_Pfiiiiiiiiiiiiii15HIP_vector_typeIjLj3EESA_.has_recursion, 0
	.set _ZL13mul_mat_f_idsI7__half2Li64ELi13ELi3EEvPKT_PKfPKiS7_S7_Pfiiiiiiiiiiiiii15HIP_vector_typeIjLj3EESA_.has_indirect_call, 0
	.section	.AMDGPU.csdata,"",@progbits
; Kernel info:
; codeLenInByte = 7352
; TotalNumSgprs: 106
; NumVgprs: 103
; NumAgprs: 16
; TotalNumVgprs: 120
; ScratchSize: 0
; MemoryBound: 0
; FloatMode: 240
; IeeeMode: 1
; LDSByteSize: 0 bytes/workgroup (compile time only)
; SGPRBlocks: 13
; VGPRBlocks: 14
; NumSGPRsForWavesPerEU: 106
; NumVGPRsForWavesPerEU: 120
; AccumOffset: 104
; Occupancy: 4
; WaveLimiterHint : 1
; COMPUTE_PGM_RSRC2:SCRATCH_EN: 0
; COMPUTE_PGM_RSRC2:USER_SGPR: 2
; COMPUTE_PGM_RSRC2:TRAP_HANDLER: 0
; COMPUTE_PGM_RSRC2:TGID_X_EN: 1
; COMPUTE_PGM_RSRC2:TGID_Y_EN: 1
; COMPUTE_PGM_RSRC2:TGID_Z_EN: 1
; COMPUTE_PGM_RSRC2:TIDIG_COMP_CNT: 1
; COMPUTE_PGM_RSRC3_GFX90A:ACCUM_OFFSET: 25
; COMPUTE_PGM_RSRC3_GFX90A:TG_SPLIT: 0
	.section	.text._ZL9mul_mat_fI7__half2Li64ELi13ELi3ELb1EEvPKT_PKfPKiPfiiiiiiiiiiiiiiii,"axG",@progbits,_ZL9mul_mat_fI7__half2Li64ELi13ELi3ELb1EEvPKT_PKfPKiPfiiiiiiiiiiiiiiii,comdat
	.globl	_ZL9mul_mat_fI7__half2Li64ELi13ELi3ELb1EEvPKT_PKfPKiPfiiiiiiiiiiiiiiii ; -- Begin function _ZL9mul_mat_fI7__half2Li64ELi13ELi3ELb1EEvPKT_PKfPKiPfiiiiiiiiiiiiiiii
	.p2align	8
	.type	_ZL9mul_mat_fI7__half2Li64ELi13ELi3ELb1EEvPKT_PKfPKiPfiiiiiiiiiiiiiiii,@function
_ZL9mul_mat_fI7__half2Li64ELi13ELi3ELb1EEvPKT_PKfPKiPfiiiiiiiiiiiiiiii: ; @_ZL9mul_mat_fI7__half2Li64ELi13ELi3ELb1EEvPKT_PKfPKiPfiiiiiiiiiiiiiiii
; %bb.0:
	s_load_dwordx8 s[44:51], s[0:1], 0x20
	s_mov_b32 s24, s4
	v_bfe_u32 v80, v0, 10, 10
	s_waitcnt lgkmcnt(0)
	s_add_i32 s4, s45, 12
	s_mul_hi_i32 s4, s4, 0x4ec4ec4f
	s_lshr_b32 s5, s4, 31
	s_ashr_i32 s4, s4, 2
	s_add_i32 s4, s4, s5
	v_cvt_f32_u32_e32 v1, s4
	s_load_dword s5, s[0:1], 0x64
	s_add_u32 s14, s0, 0x60
	s_addc_u32 s15, s1, 0
	v_rcp_iflag_f32_e32 v1, v1
	s_sub_i32 s6, 0, s4
	s_load_dwordx4 s[52:55], s[0:1], 0x44
	s_load_dwordx2 s[8:9], s[0:1], 0x10
	v_mul_f32_e32 v1, 0x4f7ffffe, v1
	v_cvt_u32_f32_e32 v1, v1
	v_mul_lo_u32 v2, s6, v1
	v_mul_hi_u32 v2, v1, v2
	v_add_u32_e32 v1, v1, v2
	s_waitcnt lgkmcnt(0)
	v_mul_hi_u32 v1, s5, v1
	v_mul_lo_u32 v2, v1, s4
	v_sub_u32_e32 v2, s5, v2
	v_add_u32_e32 v3, 1, v1
	v_subrev_u32_e32 v4, s4, v2
	v_cmp_le_u32_e32 vcc, s4, v2
	s_nop 1
	v_cndmask_b32_e32 v1, v1, v3, vcc
	v_cndmask_b32_e32 v2, v2, v4, vcc
	v_add_u32_e32 v3, 1, v1
	v_cmp_le_u32_e32 vcc, s4, v2
	s_nop 1
	v_cndmask_b32_e32 v1, v1, v3, vcc
	v_cvt_f32_u32_e32 v2, v1
	v_sub_u32_e32 v4, 0, v1
	v_rcp_iflag_f32_e32 v2, v2
	s_nop 0
	v_mul_f32_e32 v2, 0x4f7ffffe, v2
	v_cvt_u32_f32_e32 v3, v2
	v_and_b32_e32 v2, 0x3ff, v0
	v_cmp_eq_u32_e32 vcc, 0, v2
	v_mul_lo_u32 v4, v4, v3
	v_mul_hi_u32 v4, v3, v4
	v_add_u32_e32 v3, v3, v4
	v_mul_hi_u32 v3, s3, v3
	s_and_saveexec_b64 s[6:7], vcc
; %bb.1:
	v_mov_b32_e32 v4, 0x100
	v_lshl_add_u32 v4, v80, 2, v4
	v_mov_b32_e32 v5, -1
	ds_write_b32 v4, v5
; %bb.2:
	s_or_b64 exec, exec, s[6:7]
	v_mul_lo_u32 v4, v3, v1
	v_sub_u32_e32 v4, s3, v4
	v_add_u32_e32 v5, 1, v3
	v_sub_u32_e32 v6, v4, v1
	v_cmp_ge_u32_e64 s[6:7], v4, v1
	v_cmp_gt_i32_e64 s[10:11], s46, v2
	s_nop 0
	v_cndmask_b32_e64 v3, v3, v5, s[6:7]
	v_cndmask_b32_e64 v4, v4, v6, s[6:7]
	v_add_u32_e32 v5, 1, v3
	v_cmp_ge_u32_e64 s[6:7], v4, v1
	s_nop 1
	v_cndmask_b32_e64 v3, v3, v5, s[6:7]
	v_mul_lo_u32 v1, v3, v1
	v_mul_lo_u32 v3, v3, 13
	v_mul_hi_i32 v5, v3, s51
	v_mul_lo_u32 v4, v3, s51
	v_sub_u32_e32 v10, s3, v1
	v_lshlrev_b64 v[4:5], 2, v[4:5]
	v_add_u32_e32 v1, v80, v3
	v_lshl_add_u64 v[4:5], s[8:9], 0, v[4:5]
	v_cmp_gt_i32_e64 s[26:27], s45, v1
	v_mov_b32_e32 v1, 0
	s_and_saveexec_b64 s[12:13], s[26:27]
	s_cbranch_execz .LBB106_10
; %bb.3:
	v_mov_b32_e32 v1, 0
	s_and_saveexec_b64 s[16:17], s[10:11]
	s_cbranch_execz .LBB106_9
; %bb.4:
	v_mul_lo_u32 v6, v80, s51
	v_ashrrev_i32_e32 v7, 31, v6
	v_mov_b32_e32 v1, 0x100
	v_lshl_add_u64 v[6:7], v[6:7], 2, v[4:5]
	v_lshl_add_u32 v11, v80, 2, v1
	v_mul_lo_u32 v8, v2, s50
	s_lshl_b32 s3, s50, 6
	v_mov_b32_e32 v1, 0
	s_mov_b64 s[18:19], 0
	v_mov_b32_e32 v12, v2
	s_branch .LBB106_6
.LBB106_5:                              ;   in Loop: Header=BB106_6 Depth=1
	s_or_b64 exec, exec, s[20:21]
	v_add_u32_e32 v12, 64, v12
	v_cmp_le_i32_e64 s[8:9], s46, v12
	s_xor_b64 s[4:5], s[6:7], -1
	s_or_b64 s[4:5], s[4:5], s[8:9]
	s_and_b64 s[4:5], exec, s[4:5]
	s_or_b64 s[18:19], s[4:5], s[18:19]
	v_add_u32_e32 v8, s3, v8
	s_andn2_b64 exec, exec, s[18:19]
	s_cbranch_execz .LBB106_8
.LBB106_6:                              ; =>This Inner Loop Header: Depth=1
	v_ashrrev_i32_e32 v9, 31, v8
	v_lshl_add_u64 v[14:15], v[8:9], 2, v[6:7]
	global_load_dword v9, v[14:15], off
	s_waitcnt vmcnt(0)
	v_cmp_ne_u32_e64 s[6:7], v9, v10
	v_cmp_eq_u32_e64 s[8:9], v9, v10
	s_and_saveexec_b64 s[20:21], s[8:9]
	s_cbranch_execz .LBB106_5
; %bb.7:                                ;   in Loop: Header=BB106_6 Depth=1
	v_mov_b32_e32 v1, 1
	ds_write_b32 v11, v12
	s_branch .LBB106_5
.LBB106_8:
	s_or_b64 exec, exec, s[18:19]
.LBB106_9:
	s_or_b64 exec, exec, s[16:17]
.LBB106_10:
	s_or_b64 exec, exec, s[12:13]
	s_abs_i32 s3, s55
	s_and_saveexec_b64 s[6:7], vcc
; %bb.11:
	v_mov_b32_e32 v6, 0x100
	v_lshl_add_u32 v6, v80, 2, v6
	v_mov_b32_e32 v7, -1
	ds_write_b32 v6, v7 offset:12
; %bb.12:
	s_or_b64 exec, exec, s[6:7]
	v_cvt_f32_u32_e32 v11, s3
	v_add_u32_e32 v81, 3, v80
	v_add_u32_e32 v6, v81, v3
	v_cmp_gt_i32_e64 s[4:5], s45, v6
	s_mov_b64 s[12:13], exec
                                        ; implicit-def: $vgpr92 : SGPR spill to VGPR lane
	s_nop 0
	v_writelane_b32 v92, s4, 0
	s_nop 1
	v_writelane_b32 v92, s5, 1
	s_and_b64 s[4:5], s[12:13], s[4:5]
	s_mov_b64 exec, s[4:5]
	s_cbranch_execz .LBB106_20
; %bb.13:
	s_and_saveexec_b64 s[16:17], s[10:11]
	s_cbranch_execz .LBB106_19
; %bb.14:
	v_mul_lo_u32 v6, v81, s51
	v_ashrrev_i32_e32 v7, 31, v6
	v_mov_b32_e32 v8, 0x100
	v_lshl_add_u64 v[6:7], v[6:7], 2, v[4:5]
	v_lshl_add_u32 v12, v80, 2, v8
	v_mul_lo_u32 v8, v2, s50
	s_lshl_b32 s4, s50, 6
	s_mov_b64 s[18:19], 0
	v_mov_b32_e32 v13, v2
	s_branch .LBB106_16
.LBB106_15:                             ;   in Loop: Header=BB106_16 Depth=1
	s_or_b64 exec, exec, s[20:21]
	v_add_u32_e32 v13, 64, v13
	v_cmp_le_i32_e64 s[8:9], s46, v13
	s_xor_b64 s[6:7], s[6:7], -1
	s_or_b64 s[6:7], s[6:7], s[8:9]
	s_and_b64 s[6:7], exec, s[6:7]
	s_or_b64 s[18:19], s[6:7], s[18:19]
	v_add_u32_e32 v8, s4, v8
	s_andn2_b64 exec, exec, s[18:19]
	s_cbranch_execz .LBB106_18
.LBB106_16:                             ; =>This Inner Loop Header: Depth=1
	v_ashrrev_i32_e32 v9, 31, v8
	v_lshl_add_u64 v[14:15], v[8:9], 2, v[6:7]
	global_load_dword v9, v[14:15], off
	s_waitcnt vmcnt(0)
	v_cmp_ne_u32_e64 s[6:7], v9, v10
	v_cmp_eq_u32_e64 s[8:9], v9, v10
	s_and_saveexec_b64 s[20:21], s[8:9]
	s_cbranch_execz .LBB106_15
; %bb.17:                               ;   in Loop: Header=BB106_16 Depth=1
	v_mov_b32_e32 v1, 1
	ds_write_b32 v12, v13 offset:12
	s_branch .LBB106_15
.LBB106_18:
	s_or_b64 exec, exec, s[18:19]
.LBB106_19:
	s_or_b64 exec, exec, s[16:17]
.LBB106_20:
	s_or_b64 exec, exec, s[12:13]
	v_rcp_iflag_f32_e32 v6, v11
	s_and_saveexec_b64 s[6:7], vcc
; %bb.21:
	v_mov_b32_e32 v7, 0x100
	v_lshl_add_u32 v7, v80, 2, v7
	v_mov_b32_e32 v8, -1
	ds_write_b32 v7, v8 offset:24
; %bb.22:
	s_or_b64 exec, exec, s[6:7]
	v_add_u32_e32 v82, 6, v80
	v_mul_f32_e32 v11, 0x4f7ffffe, v6
	v_add_u32_e32 v6, v82, v3
	v_cmp_gt_i32_e64 s[4:5], s45, v6
	s_mov_b64 s[12:13], exec
	s_nop 0
	v_writelane_b32 v92, s4, 2
	s_nop 1
	v_writelane_b32 v92, s5, 3
	s_and_b64 s[4:5], s[12:13], s[4:5]
	s_mov_b64 exec, s[4:5]
	s_cbranch_execz .LBB106_30
; %bb.23:
	s_and_saveexec_b64 s[16:17], s[10:11]
	s_cbranch_execz .LBB106_29
; %bb.24:
	v_mul_lo_u32 v6, v82, s51
	v_ashrrev_i32_e32 v7, 31, v6
	v_mov_b32_e32 v8, 0x100
	v_lshl_add_u64 v[6:7], v[6:7], 2, v[4:5]
	v_lshl_add_u32 v12, v80, 2, v8
	v_mul_lo_u32 v8, v2, s50
	s_lshl_b32 s4, s50, 6
	s_mov_b64 s[18:19], 0
	v_mov_b32_e32 v13, v2
	s_branch .LBB106_26
.LBB106_25:                             ;   in Loop: Header=BB106_26 Depth=1
	s_or_b64 exec, exec, s[20:21]
	v_add_u32_e32 v13, 64, v13
	v_cmp_le_i32_e64 s[8:9], s46, v13
	s_xor_b64 s[6:7], s[6:7], -1
	s_or_b64 s[6:7], s[6:7], s[8:9]
	s_and_b64 s[6:7], exec, s[6:7]
	s_or_b64 s[18:19], s[6:7], s[18:19]
	v_add_u32_e32 v8, s4, v8
	s_andn2_b64 exec, exec, s[18:19]
	s_cbranch_execz .LBB106_28
.LBB106_26:                             ; =>This Inner Loop Header: Depth=1
	v_ashrrev_i32_e32 v9, 31, v8
	v_lshl_add_u64 v[14:15], v[8:9], 2, v[6:7]
	global_load_dword v9, v[14:15], off
	s_waitcnt vmcnt(0)
	v_cmp_ne_u32_e64 s[6:7], v9, v10
	v_cmp_eq_u32_e64 s[8:9], v9, v10
	s_and_saveexec_b64 s[20:21], s[8:9]
	s_cbranch_execz .LBB106_25
; %bb.27:                               ;   in Loop: Header=BB106_26 Depth=1
	v_mov_b32_e32 v1, 1
	ds_write_b32 v12, v13 offset:24
	s_branch .LBB106_25
.LBB106_28:
	s_or_b64 exec, exec, s[18:19]
.LBB106_29:
	s_or_b64 exec, exec, s[16:17]
.LBB106_30:
	s_or_b64 exec, exec, s[12:13]
	v_cvt_u32_f32_e32 v11, v11
	s_sub_i32 s4, 0, s3
	s_and_saveexec_b64 s[6:7], vcc
; %bb.31:
	v_mov_b32_e32 v6, 0x100
	v_lshl_add_u32 v6, v80, 2, v6
	v_mov_b32_e32 v7, -1
	ds_write_b32 v6, v7 offset:36
; %bb.32:
	s_or_b64 exec, exec, s[6:7]
	v_add_u32_e32 v83, 9, v80
	v_mul_lo_u32 v12, s4, v11
	v_add_u32_e32 v6, v83, v3
	v_cmp_gt_i32_e64 s[4:5], s45, v6
	s_mov_b64 s[16:17], exec
	s_nop 0
	v_writelane_b32 v92, s4, 4
	s_nop 1
	v_writelane_b32 v92, s5, 5
	s_and_b64 s[4:5], s[16:17], s[4:5]
	s_mov_b64 exec, s[4:5]
	s_cbranch_execz .LBB106_40
; %bb.33:
	s_and_saveexec_b64 s[18:19], s[10:11]
	s_cbranch_execz .LBB106_39
; %bb.34:
	v_mul_lo_u32 v6, v83, s51
	v_ashrrev_i32_e32 v7, 31, v6
	v_mov_b32_e32 v8, 0x100
	v_lshl_add_u64 v[6:7], v[6:7], 2, v[4:5]
	v_lshl_add_u32 v13, v80, 2, v8
	v_mul_lo_u32 v8, v2, s50
	s_lshl_b32 s4, s50, 6
	s_mov_b64 s[20:21], 0
	v_mov_b32_e32 v14, v2
	s_branch .LBB106_36
.LBB106_35:                             ;   in Loop: Header=BB106_36 Depth=1
	s_or_b64 exec, exec, s[22:23]
	v_add_u32_e32 v14, 64, v14
	v_cmp_le_i32_e64 s[12:13], s46, v14
	s_xor_b64 s[6:7], s[8:9], -1
	s_or_b64 s[6:7], s[6:7], s[12:13]
	s_and_b64 s[6:7], exec, s[6:7]
	s_or_b64 s[20:21], s[6:7], s[20:21]
	v_add_u32_e32 v8, s4, v8
	s_andn2_b64 exec, exec, s[20:21]
	s_cbranch_execz .LBB106_38
.LBB106_36:                             ; =>This Inner Loop Header: Depth=1
	v_ashrrev_i32_e32 v9, 31, v8
	v_lshl_add_u64 v[16:17], v[8:9], 2, v[6:7]
	global_load_dword v9, v[16:17], off
	s_waitcnt vmcnt(0)
	v_cmp_ne_u32_e64 s[8:9], v9, v10
	v_cmp_eq_u32_e64 s[12:13], v9, v10
	s_and_saveexec_b64 s[22:23], s[12:13]
	s_cbranch_execz .LBB106_35
; %bb.37:                               ;   in Loop: Header=BB106_36 Depth=1
	v_mov_b32_e32 v1, 1
	ds_write_b32 v13, v14 offset:36
	s_branch .LBB106_35
.LBB106_38:
	s_or_b64 exec, exec, s[20:21]
.LBB106_39:
	s_or_b64 exec, exec, s[18:19]
.LBB106_40:
	s_or_b64 exec, exec, s[16:17]
	v_mul_hi_u32 v6, v11, v12
	s_and_saveexec_b64 s[8:9], vcc
; %bb.41:
	v_mov_b32_e32 v7, 0x100
	v_lshl_add_u32 v7, v80, 2, v7
	v_mov_b32_e32 v8, -1
	ds_write_b32 v7, v8 offset:48
; %bb.42:
	s_or_b64 exec, exec, s[8:9]
	s_load_dwordx4 s[28:31], s[0:1], 0x54
	v_add_u32_e32 v8, v11, v6
	v_add_u32_e32 v6, 12, v80
	s_abs_i32 s4, s24
	v_add_u32_e32 v7, v6, v3
	v_cmp_gt_i32_e64 s[6:7], s45, v7
	s_mov_b64 s[12:13], exec
	s_nop 0
	v_writelane_b32 v92, s6, 6
	s_nop 1
	v_writelane_b32 v92, s7, 7
	s_and_b64 s[6:7], s[12:13], s[6:7]
	s_mov_b64 exec, s[6:7]
	s_cbranch_execz .LBB106_50
; %bb.43:
	s_and_saveexec_b64 s[16:17], s[10:11]
	s_cbranch_execz .LBB106_49
; %bb.44:
	v_mul_lo_u32 v6, v6, s51
	v_ashrrev_i32_e32 v7, 31, v6
	v_lshl_add_u64 v[4:5], v[6:7], 2, v[4:5]
	v_mov_b32_e32 v6, 0x100
	v_lshl_add_u32 v9, v80, 2, v6
	v_mul_lo_u32 v6, v2, s50
	s_lshl_b32 s5, s50, 6
	s_mov_b64 s[18:19], 0
	v_mov_b32_e32 v11, v2
	s_branch .LBB106_46
.LBB106_45:                             ;   in Loop: Header=BB106_46 Depth=1
	s_or_b64 exec, exec, s[20:21]
	v_add_u32_e32 v11, 64, v11
	v_cmp_le_i32_e64 s[10:11], s46, v11
	s_xor_b64 s[6:7], vcc, -1
	s_or_b64 s[6:7], s[6:7], s[10:11]
	s_and_b64 s[6:7], exec, s[6:7]
	s_or_b64 s[18:19], s[6:7], s[18:19]
	v_add_u32_e32 v6, s5, v6
	s_andn2_b64 exec, exec, s[18:19]
	s_cbranch_execz .LBB106_48
.LBB106_46:                             ; =>This Inner Loop Header: Depth=1
	v_ashrrev_i32_e32 v7, 31, v6
	v_lshl_add_u64 v[12:13], v[6:7], 2, v[4:5]
	global_load_dword v7, v[12:13], off
	s_waitcnt vmcnt(0)
	v_cmp_ne_u32_e32 vcc, v7, v10
	v_cmp_eq_u32_e64 s[10:11], v7, v10
	s_and_saveexec_b64 s[20:21], s[10:11]
	s_cbranch_execz .LBB106_45
; %bb.47:                               ;   in Loop: Header=BB106_46 Depth=1
	v_mov_b32_e32 v1, 1
	ds_write_b32 v9, v11 offset:48
	s_branch .LBB106_45
.LBB106_48:
	s_or_b64 exec, exec, s[18:19]
.LBB106_49:
	s_or_b64 exec, exec, s[16:17]
.LBB106_50:
	s_or_b64 exec, exec, s[12:13]
	s_load_dwordx2 s[6:7], s[14:15], 0xc
	s_load_dwordx2 s[12:13], s[0:1], 0x8
	;; [unrolled: 1-line block ×3, first 2 shown]
	v_or_b32_dpp v1, v1, v1 row_shl:1 row_mask:0xf bank_mask:0xf bound_ctrl:1
	v_mul_hi_u32 v4, s4, v8
	s_waitcnt lgkmcnt(0)
	s_and_b32 s5, s7, 0xffff
	s_lshr_b32 s7, s6, 16
	v_writelane_b32 v92, s8, 8
	s_and_b32 s6, s6, 0xffff
	v_or_b32_dpp v1, v1, v1 row_shl:2 row_mask:0xf bank_mask:0xf bound_ctrl:1
	v_writelane_b32 v92, s9, 9
	s_mul_i32 s8, s7, s6
	v_or_b32_dpp v1, v1, v1 row_shl:4 row_mask:0xf bank_mask:0xf bound_ctrl:1
	s_bfe_i32 s8, s8, 0x180000
	s_mul_i32 s5, s8, s5
	v_or_b32_dpp v1, v1, v1 row_shl:8 row_mask:0xf bank_mask:0xf bound_ctrl:1
	s_add_i32 s8, s5, 63
	s_bitcmp1_b32 exec_hi, 0
	v_mov_b32_dpp v5, v1 wave_shl:1 row_mask:0xf bank_mask:0xf bound_ctrl:1
                                        ; kill: killed $sgpr14 killed $sgpr15
	s_nop 1
	v_or_b32_dpp v1, v5, v1 row_mirror row_mask:0xf bank_mask:0xf bound_ctrl:1
	s_nop 0
	v_readlane_b32 s5, v1, 32
	s_cselect_b32 s5, s5, 0
	v_readlane_b32 s9, v1, 0
	s_or_b32 s5, s5, s9
	s_andn2_b32 s8, s8, 63
	s_cmp_lg_u32 s8, 64
	v_mov_b32_e32 v1, s5
	s_cbranch_scc0 .LBB106_57
; %bb.51:
	v_bfe_u32 v0, v0, 20, 10
	v_mbcnt_lo_u32_b32 v1, -1, 0
	v_mad_u32_u24 v0, v0, s7, v80
	v_mbcnt_hi_u32_b32 v5, -1, v1
	v_mad_u64_u32 v[0:1], s[6:7], v0, s6, v[2:3]
	v_lshrrev_b32_e32 v1, 6, v0
	v_or_b32_e32 v1, v5, v1
	v_cmp_eq_u32_e32 vcc, 0, v1
	s_and_saveexec_b64 s[10:11], vcc
; %bb.52:
	v_mov_b32_e32 v1, 0
	v_mov_b32_e32 v6, s5
	ds_write_b32 v1, v6
; %bb.53:
	s_or_b64 exec, exec, s[10:11]
	v_cmp_eq_u32_e32 vcc, 0, v5
	v_cmp_lt_u32_e64 s[10:11], 63, v0
	s_and_b64 s[6:7], s[10:11], vcc
	s_waitcnt lgkmcnt(0)
	s_barrier
	s_and_saveexec_b64 s[10:11], s[6:7]
	s_cbranch_execz .LBB106_56
; %bb.54:
	v_mbcnt_lo_u32_b32 v0, exec_lo, 0
	v_mbcnt_hi_u32_b32 v0, exec_hi, v0
	v_cmp_eq_u32_e32 vcc, 0, v0
	s_and_b64 exec, exec, vcc
; %bb.55:
	v_mov_b32_e32 v0, 0
	v_mov_b32_e32 v1, s5
	ds_or_b32 v0, v1
.LBB106_56:
	s_or_b64 exec, exec, s[10:11]
	v_mov_b32_e32 v0, 0
	s_waitcnt lgkmcnt(0)
	s_barrier
	ds_read_b32 v1, v0
	s_waitcnt lgkmcnt(0)
	s_barrier
.LBB106_57:
	s_load_dwordx2 s[10:11], s[0:1], 0x0
	v_cmp_ne_u32_e32 vcc, 0, v1
	s_ashr_i32 s5, s24, 31
	s_ashr_i32 s6, s55, 31
	s_cbranch_vccz .LBB106_135
; %bb.58:
	v_lshlrev_b32_e32 v84, 6, v80
	v_add_u32_e32 v86, v84, v2
	v_cmp_le_i32_e32 vcc, s44, v86
	v_and_b32_e32 v85, 15, v2
	s_and_saveexec_b64 s[0:1], vcc
	s_xor_b64 s[0:1], exec, s[0:1]
; %bb.59:
	v_and_b32_e32 v85, 15, v2
                                        ; implicit-def: $vgpr86
                                        ; implicit-def: $vgpr4
                                        ; implicit-def: $vgpr10
; %bb.60:
	s_or_saveexec_b64 s[0:1], s[0:1]
	s_lshl_b32 s7, s2, 6
	v_mov_b32_e32 v1, 0
	v_accvgpr_write_b32 a0, 0
	v_accvgpr_write_b32 a1, 0
	;; [unrolled: 1-line block ×16, first 2 shown]
	v_writelane_b32 v92, s0, 10
	s_nop 1
	v_writelane_b32 v92, s1, 11
	s_xor_b64 exec, exec, s[0:1]
	s_cbranch_execz .LBB106_116
; %bb.61:
	v_mul_lo_u32 v0, v4, s3
	v_sub_u32_e32 v0, s4, v0
	v_add_u32_e32 v5, 1, v4
	v_subrev_u32_e32 v6, s3, v0
	v_cmp_le_u32_e32 vcc, s3, v0
	s_xor_b32 s0, s5, s6
	v_writelane_b32 v92, s26, 12
	v_cndmask_b32_e32 v4, v4, v5, vcc
	v_cndmask_b32_e32 v0, v0, v6, vcc
	v_add_u32_e32 v5, 1, v4
	v_cmp_le_u32_e32 vcc, s3, v0
	v_writelane_b32 v92, s27, 13
	v_writelane_b32 v92, s7, 14
	v_cndmask_b32_e32 v0, v4, v5, vcc
	v_xor_b32_e32 v0, s0, v0
	v_subrev_u32_e32 v0, s0, v0
	s_mul_i32 s0, s47, s7
	s_ashr_i32 s1, s0, 31
	s_lshl_b64 s[2:3], s[0:1], 2
	s_movk_i32 s0, 0x1080
	v_mov_b32_e32 v87, 0x100
	v_writelane_b32 v92, s24, 15
	v_mul_hi_i32 v5, v0, s28
	v_mul_lo_u32 v4, v0, s28
	v_mul_lo_u32 v6, v10, s52
	v_mad_u32_u24 v0, v80, s0, v87
	s_mul_hi_i32 s1, s29, s24
	v_writelane_b32 v92, s28, 16
	s_mul_i32 s0, s29, s24
	v_ashrrev_i32_e32 v7, 31, v6
	s_lshl_b64 s[0:1], s[0:1], 2
	v_lshlrev_b64 v[10:11], 2, v[6:7]
	v_writelane_b32 v92, s29, 17
	v_mul_hi_i32 v7, s48, v3
	v_mul_lo_u32 v6, s48, v3
	s_add_u32 s0, s12, s0
	v_writelane_b32 v92, s30, 18
	v_lshlrev_b64 v[6:7], 3, v[6:7]
	s_addc_u32 s1, s13, s1
	v_writelane_b32 v92, s31, 19
	v_lshl_add_u64 v[6:7], s[0:1], 0, v[6:7]
	s_lshl_b32 s0, s48, 3
	v_writelane_b32 v92, s0, 20
	s_mul_i32 s0, s48, 6
	v_lshlrev_b64 v[8:9], 2, v[4:5]
	v_writelane_b32 v92, s0, 21
	s_lshl_b32 s0, s48, 4
	s_waitcnt lgkmcnt(0)
	v_lshl_add_u64 v[4:5], s[10:11], 0, v[8:9]
	v_writelane_b32 v92, s0, 22
	s_mul_i32 s0, s48, 10
	v_lshl_add_u64 v[4:5], v[4:5], 0, v[10:11]
	v_writelane_b32 v92, s0, 23
	s_mul_i32 s0, s48, 12
	s_ashr_i32 s13, s47, 31
	s_mov_b32 s12, s47
	v_lshl_add_u64 v[4:5], v[4:5], 0, s[2:3]
	v_lshrrev_b32_e32 v13, 1, v2
	v_writelane_b32 v92, s0, 24
	v_lshl_add_u64 v[8:9], v[8:9], 0, s[2:3]
	s_lshl_b64 s[2:3], s[12:13], 2
	s_mul_i32 s12, s48, 24
	v_mul_u32_u24_e32 v12, 0x108, v85
	v_and_b32_e32 v13, 0x1f8, v13
	v_writelane_b32 v92, s12, 25
	s_mul_i32 s12, s48, 22
	v_lshl_add_u32 v88, v2, 2, v0
	v_add3_u32 v89, v0, v12, v13
	v_lshl_add_u64 v[8:9], v[8:9], 0, v[10:11]
	v_lshlrev_b32_e32 v0, 1, v2
	v_writelane_b32 v92, s12, 26
	s_mul_i32 s12, s48, 20
	v_add_u32_e32 v12, 1, v3
	v_add_u32_e32 v13, 2, v3
	s_lshl_b32 s46, s48, 2
	v_add_u32_e32 v14, 3, v3
	v_add_u32_e32 v15, 4, v3
	;; [unrolled: 1-line block ×10, first 2 shown]
	v_lshl_add_u64 v[8:9], s[10:11], 0, v[8:9]
	v_lshl_add_u32 v90, v80, 7, v0
	v_lshlrev_b32_e32 v0, 2, v86
	v_writelane_b32 v92, s12, 27
	s_mul_i32 s12, s48, 18
	s_add_i32 s60, s47, s47
	s_mul_i32 s61, s47, 3
	s_lshl_b32 s62, s47, 2
	s_mul_i32 s63, s47, 5
	s_mul_i32 s64, s47, 6
	;; [unrolled: 1-line block ×3, first 2 shown]
	s_lshl_b32 s66, s47, 3
	s_mul_i32 s67, s47, 9
	s_mul_i32 s68, s47, 10
	;; [unrolled: 1-line block ×7, first 2 shown]
	s_lshl_b32 s74, s47, 4
	s_mul_i32 s75, s47, 17
	s_mul_i32 s76, s47, 18
	;; [unrolled: 1-line block ×15, first 2 shown]
	s_lshl_b32 s90, s47, 5
	s_mul_i32 s91, s47, 33
	s_mul_i32 s92, s47, 34
	;; [unrolled: 1-line block ×17, first 2 shown]
	v_cmp_gt_i32_e64 s[10:11], s45, v3
	s_mul_i32 s43, s47, 50
	s_mul_i32 s40, s47, 51
	v_accvgpr_write_b32 a15, 0
	v_accvgpr_write_b32 a14, 0
	;; [unrolled: 1-line block ×16, first 2 shown]
	v_lshl_add_u64 v[8:9], v[8:9], 0, v[0:1]
	s_mul_i32 s41, s47, 52
	s_mul_i32 s6, s47, 53
	;; [unrolled: 1-line block ×12, first 2 shown]
	v_writelane_b32 v92, s12, 28
	s_mul_i32 s59, s48, 14
	s_lshl_b32 s48, s48, 1
	v_cmp_gt_i32_e64 s[12:13], s45, v12
	v_cmp_gt_i32_e64 s[14:15], s45, v13
	;; [unrolled: 1-line block ×12, first 2 shown]
	s_mov_b32 s45, s46
	s_mov_b64 s[46:47], 0
	s_branch .LBB106_64
.LBB106_62:                             ;   in Loop: Header=BB106_64 Depth=1
	v_mul_lo_u32 v0, v0, s53
	v_readlane_b32 vcc_lo, v92, 25
	s_nop 1
	v_add_u32_e32 v0, vcc_lo, v0
	v_add_u32_e32 v74, v0, v90
	v_ashrrev_i32_e32 v75, 31, v74
	v_lshl_add_u64 v[74:75], v[74:75], 2, v[6:7]
	global_load_dwordx2 v[74:75], v[74:75], off
.LBB106_63:                             ;   in Loop: Header=BB106_64 Depth=1
	s_waitcnt vmcnt(0)
	v_cvt_pk_f16_f32 v0, v74, v75
	v_add_u32_e32 v74, 0xc00, v88
	ds_write2_b32 v74, v0, v1 offset0:40 offset1:106
	ds_write2_b32 v74, v1, v1 offset0:172 offset1:238
	ds_read2_b64 v[74:77], v89 offset0:8 offset1:12
	v_add_u32_e32 v86, 0xc0, v86
	s_mov_b64 vcc, 0x300
	v_lshl_add_u64 v[8:9], v[8:9], 0, vcc
	s_waitcnt lgkmcnt(0)
	v_mfma_f32_16x16x16_f16 a[12:15], v[16:17], v[74:75], a[12:15]
	v_cmp_le_i32_e32 vcc, s44, v86
	v_add_u32_e32 v90, 0x180, v90
	s_or_b64 s[46:47], vcc, s[46:47]
	v_mfma_f32_16x16x16_f16 a[8:11], v[42:43], v[74:75], a[8:11]
	v_mfma_f32_16x16x16_f16 a[4:7], v[56:57], v[74:75], a[4:7]
	;; [unrolled: 1-line block ×4, first 2 shown]
	ds_read2_b64 v[14:17], v89 offset0:16 offset1:20
	v_mfma_f32_16x16x16_f16 a[8:11], v[40:41], v[76:77], a[8:11]
	v_mfma_f32_16x16x16_f16 a[4:7], v[54:55], v[76:77], a[4:7]
	;; [unrolled: 1-line block ×3, first 2 shown]
	s_waitcnt lgkmcnt(0)
	v_mfma_f32_16x16x16_f16 a[12:15], v[12:13], v[14:15], a[12:15]
	v_mfma_f32_16x16x16_f16 a[8:11], v[36:37], v[14:15], a[8:11]
	;; [unrolled: 1-line block ×5, first 2 shown]
	ds_read2_b64 v[10:13], v89 offset0:24 offset1:28
	v_mfma_f32_16x16x16_f16 a[8:11], v[34:35], v[16:17], a[8:11]
	v_mfma_f32_16x16x16_f16 a[4:7], v[50:51], v[16:17], a[4:7]
	;; [unrolled: 1-line block ×3, first 2 shown]
	s_waitcnt lgkmcnt(0)
	v_mfma_f32_16x16x16_f16 a[12:15], v[24:25], v[10:11], a[12:15]
	v_mfma_f32_16x16x16_f16 a[8:11], v[32:33], v[10:11], a[8:11]
	;; [unrolled: 1-line block ×8, first 2 shown]
	ds_read2_b64 v[10:13], v89 offset0:32 offset1:36
	s_waitcnt lgkmcnt(0)
	v_mfma_f32_16x16x16_f16 a[12:15], v[20:21], v[10:11], a[12:15]
	v_mfma_f32_16x16x16_f16 a[8:11], v[28:29], v[10:11], a[8:11]
	;; [unrolled: 1-line block ×8, first 2 shown]
	s_andn2_b64 exec, exec, s[46:47]
	s_cbranch_execz .LBB106_115
.LBB106_64:                             ; =>This Inner Loop Header: Depth=1
	v_lshl_add_u64 v[10:11], v[8:9], 0, s[2:3]
	global_load_dword v0, v[8:9], off
	global_load_dword v26, v[10:11], off
	v_add_u32_e32 v10, s60, v86
	v_add_u32_e32 v14, s62, v86
	;; [unrolled: 1-line block ×4, first 2 shown]
	v_ashrrev_i32_e32 v11, 31, v10
	v_add_u32_e32 v12, s61, v86
	v_ashrrev_i32_e32 v15, 31, v14
	v_ashrrev_i32_e32 v17, 31, v16
	v_add_u32_e32 v18, s64, v86
	v_add_u32_e32 v20, s65, v86
	v_ashrrev_i32_e32 v23, 31, v22
	v_add_u32_e32 v24, s67, v86
	v_lshl_add_u64 v[10:11], v[10:11], 2, v[4:5]
	v_ashrrev_i32_e32 v13, 31, v12
	v_lshl_add_u64 v[14:15], v[14:15], 2, v[4:5]
	v_lshl_add_u64 v[16:17], v[16:17], 2, v[4:5]
	v_ashrrev_i32_e32 v19, 31, v18
	v_ashrrev_i32_e32 v21, 31, v20
	v_lshl_add_u64 v[22:23], v[22:23], 2, v[4:5]
	v_ashrrev_i32_e32 v25, 31, v24
	v_lshl_add_u64 v[12:13], v[12:13], 2, v[4:5]
	v_lshl_add_u64 v[18:19], v[18:19], 2, v[4:5]
	;; [unrolled: 1-line block ×4, first 2 shown]
	global_load_dword v27, v[10:11], off
	global_load_dword v28, v[12:13], off
	;; [unrolled: 1-line block ×6, first 2 shown]
	s_nop 0
	global_load_dword v22, v[22:23], off
	s_nop 0
	global_load_dword v23, v[24:25], off
	v_add_u32_e32 v10, s68, v86
	v_add_u32_e32 v14, s70, v86
	;; [unrolled: 1-line block ×3, first 2 shown]
	v_ashrrev_i32_e32 v11, 31, v10
	v_add_u32_e32 v12, s69, v86
	v_ashrrev_i32_e32 v15, 31, v14
	v_ashrrev_i32_e32 v17, 31, v16
	v_add_u32_e32 v18, s72, v86
	v_add_u32_e32 v20, s73, v86
	v_lshl_add_u64 v[10:11], v[10:11], 2, v[4:5]
	v_ashrrev_i32_e32 v13, 31, v12
	v_lshl_add_u64 v[14:15], v[14:15], 2, v[4:5]
	v_lshl_add_u64 v[16:17], v[16:17], 2, v[4:5]
	v_ashrrev_i32_e32 v19, 31, v18
	v_ashrrev_i32_e32 v21, 31, v20
	v_lshl_add_u64 v[12:13], v[12:13], 2, v[4:5]
	v_lshl_add_u64 v[18:19], v[18:19], 2, v[4:5]
	;; [unrolled: 1-line block ×3, first 2 shown]
	global_load_dword v24, v[10:11], off
	global_load_dword v25, v[12:13], off
	s_nop 0
	global_load_dword v14, v[14:15], off
	s_nop 0
	;; [unrolled: 2-line block ×3, first 2 shown]
	global_load_dword v16, v[18:19], off
	global_load_dword v17, v[20:21], off
	v_add_u32_e32 v10, s74, v86
	v_add_u32_e32 v12, s75, v86
	v_ashrrev_i32_e32 v11, 31, v10
	v_ashrrev_i32_e32 v13, 31, v12
	v_lshl_add_u64 v[10:11], v[10:11], 2, v[4:5]
	v_add_u32_e32 v18, s76, v86
	v_lshl_add_u64 v[12:13], v[12:13], 2, v[4:5]
	global_load_dword v34, v[10:11], off
	global_load_dword v35, v[12:13], off
	v_ashrrev_i32_e32 v19, 31, v18
	v_add_u32_e32 v20, s77, v86
	v_lshl_add_u64 v[18:19], v[18:19], 2, v[4:5]
	v_ashrrev_i32_e32 v21, 31, v20
	v_lshl_add_u64 v[20:21], v[20:21], 2, v[4:5]
	s_andn2_b64 vcc, exec, s[10:11]
	s_waitcnt vmcnt(17)
	ds_write_b32 v88, v0 offset:64
	s_waitcnt vmcnt(16)
	ds_write_b32 v88, v26 offset:328
	;; [unrolled: 2-line block ×16, first 2 shown]
	v_add_u32_e32 v22, s78, v86
	v_add_u32_e32 v24, s79, v86
	;; [unrolled: 1-line block ×6, first 2 shown]
	v_ashrrev_i32_e32 v23, 31, v22
	v_ashrrev_i32_e32 v25, 31, v24
	;; [unrolled: 1-line block ×6, first 2 shown]
	ds_read_b64 v[16:17], v89 offset:64
	ds_read_b64 v[14:15], v89 offset:96
	;; [unrolled: 1-line block ×4, first 2 shown]
	v_lshl_add_u64 v[22:23], v[22:23], 2, v[4:5]
	v_lshl_add_u64 v[24:25], v[24:25], 2, v[4:5]
	v_lshl_add_u64 v[26:27], v[26:27], 2, v[4:5]
	v_lshl_add_u64 v[28:29], v[28:29], 2, v[4:5]
	v_lshl_add_u64 v[30:31], v[30:31], 2, v[4:5]
	v_lshl_add_u64 v[32:33], v[32:33], 2, v[4:5]
	global_load_dword v0, v[18:19], off
	global_load_dword v36, v[20:21], off
	global_load_dword v37, v[22:23], off
	global_load_dword v38, v[24:25], off
	global_load_dword v39, v[26:27], off
	global_load_dword v40, v[28:29], off
	global_load_dword v41, v[30:31], off
	global_load_dword v42, v[32:33], off
	v_add_u32_e32 v18, s84, v86
	v_ashrrev_i32_e32 v19, 31, v18
	v_add_u32_e32 v20, s85, v86
	v_add_u32_e32 v22, s86, v86
	v_add_u32_e32 v24, s87, v86
	v_add_u32_e32 v26, s88, v86
	v_add_u32_e32 v28, s89, v86
	v_add_u32_e32 v30, s90, v86
	v_add_u32_e32 v32, s91, v86
	v_lshl_add_u64 v[18:19], v[18:19], 2, v[4:5]
	v_ashrrev_i32_e32 v21, 31, v20
	v_ashrrev_i32_e32 v23, 31, v22
	v_ashrrev_i32_e32 v25, 31, v24
	v_ashrrev_i32_e32 v27, 31, v26
	v_ashrrev_i32_e32 v29, 31, v28
	v_ashrrev_i32_e32 v31, 31, v30
	v_ashrrev_i32_e32 v33, 31, v32
	v_lshl_add_u64 v[20:21], v[20:21], 2, v[4:5]
	v_lshl_add_u64 v[22:23], v[22:23], 2, v[4:5]
	v_lshl_add_u64 v[24:25], v[24:25], 2, v[4:5]
	v_lshl_add_u64 v[26:27], v[26:27], 2, v[4:5]
	v_lshl_add_u64 v[28:29], v[28:29], 2, v[4:5]
	v_lshl_add_u64 v[30:31], v[30:31], 2, v[4:5]
	v_lshl_add_u64 v[32:33], v[32:33], 2, v[4:5]
	global_load_dword v43, v[18:19], off
	global_load_dword v44, v[20:21], off
	global_load_dword v45, v[22:23], off
	global_load_dword v46, v[24:25], off
	global_load_dword v47, v[26:27], off
	global_load_dword v48, v[28:29], off
	global_load_dword v49, v[30:31], off
	global_load_dword v50, v[32:33], off
	v_add_u32_e32 v18, s92, v86
	v_ashrrev_i32_e32 v19, 31, v18
	v_add_u32_e32 v20, s93, v86
	v_add_u32_e32 v22, s94, v86
	v_add_u32_e32 v24, s95, v86
	v_add_u32_e32 v26, s96, v86
	v_add_u32_e32 v28, s97, v86
	v_add_u32_e32 v30, s98, v86
	v_add_u32_e32 v32, s99, v86
	v_lshl_add_u64 v[18:19], v[18:19], 2, v[4:5]
	v_ashrrev_i32_e32 v21, 31, v20
	v_ashrrev_i32_e32 v23, 31, v22
	v_ashrrev_i32_e32 v25, 31, v24
	v_ashrrev_i32_e32 v27, 31, v26
	v_ashrrev_i32_e32 v29, 31, v28
	v_ashrrev_i32_e32 v31, 31, v30
	v_ashrrev_i32_e32 v33, 31, v32
	v_lshl_add_u64 v[20:21], v[20:21], 2, v[4:5]
	;; [unrolled: 32-line block ×4, first 2 shown]
	v_lshl_add_u64 v[22:23], v[22:23], 2, v[4:5]
	v_lshl_add_u64 v[24:25], v[24:25], 2, v[4:5]
	;; [unrolled: 1-line block ×6, first 2 shown]
	global_load_dword v67, v[18:19], off
	global_load_dword v68, v[20:21], off
	;; [unrolled: 1-line block ×8, first 2 shown]
	v_add_u32_e32 v18, s33, v86
	v_ashrrev_i32_e32 v19, 31, v18
	v_add_u32_e32 v20, s4, v86
	v_add_u32_e32 v22, s52, v86
	;; [unrolled: 1-line block ×5, first 2 shown]
	v_lshl_add_u64 v[18:19], v[18:19], 2, v[4:5]
	v_ashrrev_i32_e32 v21, 31, v20
	v_ashrrev_i32_e32 v23, 31, v22
	;; [unrolled: 1-line block ×5, first 2 shown]
	v_lshl_add_u64 v[20:21], v[20:21], 2, v[4:5]
	v_lshl_add_u64 v[22:23], v[22:23], 2, v[4:5]
	v_lshl_add_u64 v[24:25], v[24:25], 2, v[4:5]
	v_lshl_add_u64 v[26:27], v[26:27], 2, v[4:5]
	v_lshl_add_u64 v[28:29], v[28:29], 2, v[4:5]
	global_load_dword v75, v[18:19], off
	global_load_dword v76, v[20:21], off
	;; [unrolled: 1-line block ×6, first 2 shown]
	ds_read_b64 v[24:25], v89 offset:192
	ds_read_b64 v[22:23], v89 offset:224
	ds_read_b64 v[20:21], v89 offset:256
	ds_read_b64 v[18:19], v89 offset:288
	s_waitcnt vmcnt(47)
	ds_write_b32 v88, v34 offset:64
	s_waitcnt vmcnt(46)
	ds_write_b32 v88, v35 offset:328
	s_waitcnt vmcnt(45)
	ds_write_b32 v88, v0 offset:592
	s_waitcnt vmcnt(44)
	ds_write_b32 v88, v36 offset:856
	s_waitcnt vmcnt(43)
	ds_write_b32 v88, v37 offset:1120
	s_waitcnt vmcnt(42)
	ds_write_b32 v88, v38 offset:1384
	s_waitcnt vmcnt(41)
	ds_write_b32 v88, v39 offset:1648
	s_waitcnt vmcnt(40)
	ds_write_b32 v88, v40 offset:1912
	s_waitcnt vmcnt(39)
	ds_write_b32 v88, v41 offset:2176
	s_waitcnt vmcnt(38)
	ds_write_b32 v88, v42 offset:2440
	s_waitcnt vmcnt(37)
	ds_write_b32 v88, v43 offset:2704
	s_waitcnt vmcnt(36)
	ds_write_b32 v88, v44 offset:2968
	s_waitcnt vmcnt(35)
	ds_write_b32 v88, v45 offset:3232
	s_waitcnt vmcnt(34)
	ds_write_b32 v88, v46 offset:3496
	s_waitcnt vmcnt(33)
	ds_write_b32 v88, v47 offset:3760
	s_waitcnt vmcnt(32)
	ds_write_b32 v88, v48 offset:4024
	ds_read_b64 v[42:43], v89 offset:64
	ds_read_b64 v[40:41], v89 offset:96
	ds_read_b64 v[36:37], v89 offset:128
	ds_read_b64 v[34:35], v89 offset:160
	ds_read_b64 v[32:33], v89 offset:192
	ds_read_b64 v[30:31], v89 offset:224
	ds_read_b64 v[28:29], v89 offset:256
	ds_read_b64 v[26:27], v89 offset:288
	s_waitcnt vmcnt(31)
	ds_write_b32 v88, v49 offset:64
	s_waitcnt vmcnt(30)
	ds_write_b32 v88, v50 offset:328
	s_waitcnt vmcnt(29)
	ds_write_b32 v88, v51 offset:592
	s_waitcnt vmcnt(28)
	ds_write_b32 v88, v52 offset:856
	s_waitcnt vmcnt(27)
	ds_write_b32 v88, v53 offset:1120
	s_waitcnt vmcnt(26)
	ds_write_b32 v88, v54 offset:1384
	s_waitcnt vmcnt(25)
	ds_write_b32 v88, v55 offset:1648
	s_waitcnt vmcnt(24)
	ds_write_b32 v88, v56 offset:1912
	s_waitcnt vmcnt(23)
	ds_write_b32 v88, v57 offset:2176
	s_waitcnt vmcnt(22)
	ds_write_b32 v88, v58 offset:2440
	s_waitcnt vmcnt(21)
	ds_write_b32 v88, v59 offset:2704
	s_waitcnt vmcnt(20)
	ds_write_b32 v88, v60 offset:2968
	s_waitcnt vmcnt(19)
	ds_write_b32 v88, v61 offset:3232
	s_waitcnt vmcnt(18)
	ds_write_b32 v88, v62 offset:3496
	s_waitcnt vmcnt(17)
	ds_write_b32 v88, v63 offset:3760
	s_waitcnt vmcnt(16)
	ds_write_b32 v88, v64 offset:4024
	ds_read_b64 v[56:57], v89 offset:64
	ds_read_b64 v[54:55], v89 offset:96
	ds_read_b64 v[52:53], v89 offset:128
	ds_read_b64 v[50:51], v89 offset:160
	;; [unrolled: 40-line block ×3, first 2 shown]
	ds_read_b64 v[68:69], v89 offset:192
	ds_read_b64 v[64:65], v89 offset:224
	;; [unrolled: 1-line block ×4, first 2 shown]
	v_mov_b32_e32 v76, 0
	v_mov_b32_e32 v77, 0
	v_mov_b32_e32 v74, 0
	s_cbranch_vccnz .LBB106_68
; %bb.65:                               ;   in Loop: Header=BB106_64 Depth=1
	ds_read_b32 v0, v87
	s_waitcnt lgkmcnt(0)
	v_cmp_gt_i32_e32 vcc, 0, v0
	s_cbranch_vccnz .LBB106_67
; %bb.66:                               ;   in Loop: Header=BB106_64 Depth=1
	v_mul_lo_u32 v0, v0, s53
	v_add_u32_e32 v76, v90, v0
	v_ashrrev_i32_e32 v77, 31, v76
	v_lshl_add_u64 v[76:77], v[76:77], 2, v[6:7]
	global_load_dwordx2 v[76:77], v[76:77], off
	s_branch .LBB106_68
.LBB106_67:                             ;   in Loop: Header=BB106_64 Depth=1
	v_mov_b32_e32 v76, 0
	v_mov_b32_e32 v77, 0
.LBB106_68:                             ;   in Loop: Header=BB106_64 Depth=1
	s_waitcnt vmcnt(0)
	v_cvt_pk_f16_f32 v0, v76, v77
	s_andn2_b64 vcc, exec, s[12:13]
	v_mov_b32_e32 v76, 0
	v_mov_b32_e32 v77, 0
	ds_write_b32 v88, v0 offset:64
	s_cbranch_vccnz .LBB106_72
; %bb.69:                               ;   in Loop: Header=BB106_64 Depth=1
	ds_read_b32 v0, v87 offset:4
	s_waitcnt lgkmcnt(0)
	v_cmp_gt_i32_e32 vcc, 0, v0
	s_cbranch_vccnz .LBB106_71
; %bb.70:                               ;   in Loop: Header=BB106_64 Depth=1
	v_mul_lo_u32 v0, v0, s53
	v_add_u32_e32 v0, s48, v0
	v_add_u32_e32 v76, v0, v90
	v_ashrrev_i32_e32 v77, 31, v76
	v_lshl_add_u64 v[76:77], v[76:77], 2, v[6:7]
	global_load_dwordx2 v[76:77], v[76:77], off
	s_branch .LBB106_72
.LBB106_71:                             ;   in Loop: Header=BB106_64 Depth=1
	v_mov_b32_e32 v76, 0
	v_mov_b32_e32 v77, 0
.LBB106_72:                             ;   in Loop: Header=BB106_64 Depth=1
	s_waitcnt vmcnt(0)
	v_cvt_pk_f16_f32 v0, v76, v77
	v_mov_b32_e32 v76, 0
	s_andn2_b64 vcc, exec, s[14:15]
	v_mov_b32_e32 v75, 0
	ds_write_b32 v88, v0 offset:328
	s_cbranch_vccnz .LBB106_76
; %bb.73:                               ;   in Loop: Header=BB106_64 Depth=1
	ds_read_b32 v0, v87 offset:8
	s_waitcnt lgkmcnt(0)
	v_cmp_gt_i32_e32 vcc, 0, v0
	s_cbranch_vccnz .LBB106_75
; %bb.74:                               ;   in Loop: Header=BB106_64 Depth=1
	v_mul_lo_u32 v0, v0, s53
	v_add_u32_e32 v0, s45, v0
	v_add_u32_e32 v74, v0, v90
	v_ashrrev_i32_e32 v75, 31, v74
	v_lshl_add_u64 v[74:75], v[74:75], 2, v[6:7]
	global_load_dwordx2 v[74:75], v[74:75], off
	s_branch .LBB106_76
.LBB106_75:                             ;   in Loop: Header=BB106_64 Depth=1
	v_mov_b32_e32 v74, 0
	v_mov_b32_e32 v75, 0
.LBB106_76:                             ;   in Loop: Header=BB106_64 Depth=1
	s_waitcnt vmcnt(0)
	v_cvt_pk_f16_f32 v0, v74, v75
	s_andn2_b64 vcc, exec, s[16:17]
	v_mov_b32_e32 v74, 0
	v_mov_b32_e32 v75, 0
	ds_write_b32 v88, v0 offset:592
	s_cbranch_vccnz .LBB106_80
; %bb.77:                               ;   in Loop: Header=BB106_64 Depth=1
	ds_read_b32 v0, v87 offset:12
	s_waitcnt lgkmcnt(0)
	v_cmp_gt_i32_e32 vcc, 0, v0
	s_cbranch_vccnz .LBB106_79
; %bb.78:                               ;   in Loop: Header=BB106_64 Depth=1
	v_mul_lo_u32 v0, v0, s53
	v_readlane_b32 vcc_lo, v92, 21
	s_nop 1
	v_add_u32_e32 v0, vcc_lo, v0
	v_add_u32_e32 v74, v0, v90
	v_ashrrev_i32_e32 v75, 31, v74
	v_lshl_add_u64 v[74:75], v[74:75], 2, v[6:7]
	global_load_dwordx2 v[74:75], v[74:75], off
	s_branch .LBB106_80
.LBB106_79:                             ;   in Loop: Header=BB106_64 Depth=1
	v_mov_b32_e32 v74, 0
	v_mov_b32_e32 v75, 0
.LBB106_80:                             ;   in Loop: Header=BB106_64 Depth=1
	s_waitcnt vmcnt(0)
	v_cvt_pk_f16_f32 v0, v74, v75
	v_mov_b32_e32 v74, 0
	s_andn2_b64 vcc, exec, s[18:19]
	v_mov_b32_e32 v77, 0
	ds_write_b32 v88, v0 offset:856
	s_cbranch_vccnz .LBB106_84
; %bb.81:                               ;   in Loop: Header=BB106_64 Depth=1
	ds_read_b32 v0, v87 offset:16
	s_waitcnt lgkmcnt(0)
	v_cmp_gt_i32_e32 vcc, 0, v0
	s_cbranch_vccnz .LBB106_83
; %bb.82:                               ;   in Loop: Header=BB106_64 Depth=1
	v_mul_lo_u32 v0, v0, s53
	v_readlane_b32 vcc_lo, v92, 20
	s_nop 1
	v_add_u32_e32 v0, vcc_lo, v0
	v_add_u32_e32 v76, v0, v90
	v_ashrrev_i32_e32 v77, 31, v76
	v_lshl_add_u64 v[76:77], v[76:77], 2, v[6:7]
	global_load_dwordx2 v[76:77], v[76:77], off
	s_branch .LBB106_84
.LBB106_83:                             ;   in Loop: Header=BB106_64 Depth=1
	v_mov_b32_e32 v76, 0
	v_mov_b32_e32 v77, 0
.LBB106_84:                             ;   in Loop: Header=BB106_64 Depth=1
	s_waitcnt vmcnt(0)
	v_cvt_pk_f16_f32 v0, v76, v77
	s_andn2_b64 vcc, exec, s[20:21]
	v_mov_b32_e32 v76, 0
	v_mov_b32_e32 v77, 0
	ds_write_b32 v88, v0 offset:1120
	s_cbranch_vccnz .LBB106_88
; %bb.85:                               ;   in Loop: Header=BB106_64 Depth=1
	ds_read_b32 v0, v87 offset:20
	s_waitcnt lgkmcnt(0)
	v_cmp_gt_i32_e32 vcc, 0, v0
	s_cbranch_vccnz .LBB106_87
; %bb.86:                               ;   in Loop: Header=BB106_64 Depth=1
	v_mul_lo_u32 v0, v0, s53
	v_readlane_b32 vcc_lo, v92, 23
	s_nop 1
	v_add_u32_e32 v0, vcc_lo, v0
	v_add_u32_e32 v76, v0, v90
	v_ashrrev_i32_e32 v77, 31, v76
	v_lshl_add_u64 v[76:77], v[76:77], 2, v[6:7]
	global_load_dwordx2 v[76:77], v[76:77], off
	s_branch .LBB106_88
.LBB106_87:                             ;   in Loop: Header=BB106_64 Depth=1
	v_mov_b32_e32 v76, 0
	v_mov_b32_e32 v77, 0
.LBB106_88:                             ;   in Loop: Header=BB106_64 Depth=1
	s_waitcnt vmcnt(0)
	v_cvt_pk_f16_f32 v0, v76, v77
	v_mov_b32_e32 v78, 0
	s_andn2_b64 vcc, exec, s[22:23]
	v_mov_b32_e32 v75, 0
	ds_write_b32 v88, v0 offset:1384
	s_cbranch_vccnz .LBB106_92
; %bb.89:                               ;   in Loop: Header=BB106_64 Depth=1
	ds_read_b32 v0, v87 offset:24
	s_waitcnt lgkmcnt(0)
	v_cmp_gt_i32_e32 vcc, 0, v0
	s_cbranch_vccnz .LBB106_91
; %bb.90:                               ;   in Loop: Header=BB106_64 Depth=1
	v_mul_lo_u32 v0, v0, s53
	v_readlane_b32 vcc_lo, v92, 24
	s_nop 1
	v_add_u32_e32 v0, vcc_lo, v0
	v_add_u32_e32 v74, v0, v90
	v_ashrrev_i32_e32 v75, 31, v74
	v_lshl_add_u64 v[74:75], v[74:75], 2, v[6:7]
	global_load_dwordx2 v[74:75], v[74:75], off
	s_branch .LBB106_92
.LBB106_91:                             ;   in Loop: Header=BB106_64 Depth=1
	v_mov_b32_e32 v74, 0
	v_mov_b32_e32 v75, 0
.LBB106_92:                             ;   in Loop: Header=BB106_64 Depth=1
	s_waitcnt vmcnt(0)
	v_cvt_pk_f16_f32 v0, v74, v75
	s_andn2_b64 vcc, exec, s[24:25]
	v_mov_b32_e32 v74, 0
	v_mov_b32_e32 v75, 0
	ds_write_b32 v88, v0 offset:1648
	s_cbranch_vccnz .LBB106_96
; %bb.93:                               ;   in Loop: Header=BB106_64 Depth=1
	ds_read_b32 v0, v87 offset:28
	s_waitcnt lgkmcnt(0)
	v_cmp_gt_i32_e32 vcc, 0, v0
	s_cbranch_vccnz .LBB106_95
; %bb.94:                               ;   in Loop: Header=BB106_64 Depth=1
	v_mul_lo_u32 v0, v0, s53
	v_add_u32_e32 v0, s59, v0
	v_add_u32_e32 v74, v0, v90
	v_ashrrev_i32_e32 v75, 31, v74
	v_lshl_add_u64 v[74:75], v[74:75], 2, v[6:7]
	global_load_dwordx2 v[74:75], v[74:75], off
	s_branch .LBB106_96
.LBB106_95:                             ;   in Loop: Header=BB106_64 Depth=1
	v_mov_b32_e32 v74, 0
	v_mov_b32_e32 v75, 0
.LBB106_96:                             ;   in Loop: Header=BB106_64 Depth=1
	s_waitcnt vmcnt(0)
	v_cvt_pk_f16_f32 v0, v74, v75
	v_mov_b32_e32 v76, 0
	s_andn2_b64 vcc, exec, s[26:27]
	v_mov_b32_e32 v79, 0
	ds_write_b32 v88, v0 offset:1912
	s_cbranch_vccnz .LBB106_100
; %bb.97:                               ;   in Loop: Header=BB106_64 Depth=1
	ds_read_b32 v0, v87 offset:32
	s_waitcnt lgkmcnt(0)
	v_cmp_gt_i32_e32 vcc, 0, v0
	s_cbranch_vccnz .LBB106_99
; %bb.98:                               ;   in Loop: Header=BB106_64 Depth=1
	v_mul_lo_u32 v0, v0, s53
	v_readlane_b32 vcc_lo, v92, 22
	s_nop 1
	v_add_u32_e32 v0, vcc_lo, v0
	v_add_u32_e32 v74, v0, v90
	v_ashrrev_i32_e32 v75, 31, v74
	v_lshl_add_u64 v[74:75], v[74:75], 2, v[6:7]
	global_load_dwordx2 v[78:79], v[74:75], off
	s_branch .LBB106_100
.LBB106_99:                             ;   in Loop: Header=BB106_64 Depth=1
	v_mov_b32_e32 v78, 0
	v_mov_b32_e32 v79, 0
.LBB106_100:                            ;   in Loop: Header=BB106_64 Depth=1
	s_waitcnt vmcnt(0)
	v_cvt_pk_f16_f32 v0, v78, v79
	s_andn2_b64 vcc, exec, s[28:29]
	v_mov_b32_e32 v74, 0
	v_mov_b32_e32 v75, 0
	ds_write_b32 v88, v0 offset:2176
	s_cbranch_vccnz .LBB106_104
; %bb.101:                              ;   in Loop: Header=BB106_64 Depth=1
	ds_read_b32 v0, v87 offset:36
	s_waitcnt lgkmcnt(0)
	v_cmp_gt_i32_e32 vcc, 0, v0
	s_cbranch_vccnz .LBB106_103
; %bb.102:                              ;   in Loop: Header=BB106_64 Depth=1
	v_mul_lo_u32 v0, v0, s53
	v_readlane_b32 vcc_lo, v92, 28
	s_nop 1
	v_add_u32_e32 v0, vcc_lo, v0
	v_add_u32_e32 v74, v0, v90
	v_ashrrev_i32_e32 v75, 31, v74
	v_lshl_add_u64 v[74:75], v[74:75], 2, v[6:7]
	global_load_dwordx2 v[74:75], v[74:75], off
	s_branch .LBB106_104
.LBB106_103:                            ;   in Loop: Header=BB106_64 Depth=1
	v_mov_b32_e32 v74, 0
	v_mov_b32_e32 v75, 0
.LBB106_104:                            ;   in Loop: Header=BB106_64 Depth=1
	s_waitcnt vmcnt(0)
	v_cvt_pk_f16_f32 v0, v74, v75
	v_mov_b32_e32 v74, 0
	s_andn2_b64 vcc, exec, s[30:31]
	v_mov_b32_e32 v77, 0
	ds_write_b32 v88, v0 offset:2440
	s_cbranch_vccnz .LBB106_108
; %bb.105:                              ;   in Loop: Header=BB106_64 Depth=1
	ds_read_b32 v0, v87 offset:40
	s_waitcnt lgkmcnt(0)
	v_cmp_gt_i32_e32 vcc, 0, v0
	s_cbranch_vccnz .LBB106_107
; %bb.106:                              ;   in Loop: Header=BB106_64 Depth=1
	v_mul_lo_u32 v0, v0, s53
	v_readlane_b32 vcc_lo, v92, 27
	s_nop 1
	v_add_u32_e32 v0, vcc_lo, v0
	v_add_u32_e32 v76, v0, v90
	v_ashrrev_i32_e32 v77, 31, v76
	v_lshl_add_u64 v[76:77], v[76:77], 2, v[6:7]
	global_load_dwordx2 v[76:77], v[76:77], off
	s_branch .LBB106_108
.LBB106_107:                            ;   in Loop: Header=BB106_64 Depth=1
	v_mov_b32_e32 v76, 0
	v_mov_b32_e32 v77, 0
.LBB106_108:                            ;   in Loop: Header=BB106_64 Depth=1
	s_waitcnt vmcnt(0)
	v_cvt_pk_f16_f32 v0, v76, v77
	s_andn2_b64 vcc, exec, s[34:35]
	v_mov_b32_e32 v76, 0
	v_mov_b32_e32 v77, 0
	ds_write_b32 v88, v0 offset:2704
	s_cbranch_vccnz .LBB106_112
; %bb.109:                              ;   in Loop: Header=BB106_64 Depth=1
	ds_read_b32 v0, v87 offset:44
	s_waitcnt lgkmcnt(0)
	v_cmp_gt_i32_e32 vcc, 0, v0
	s_cbranch_vccnz .LBB106_111
; %bb.110:                              ;   in Loop: Header=BB106_64 Depth=1
	v_mul_lo_u32 v0, v0, s53
	v_readlane_b32 vcc_lo, v92, 26
	s_nop 1
	v_add_u32_e32 v0, vcc_lo, v0
	v_add_u32_e32 v76, v0, v90
	v_ashrrev_i32_e32 v77, 31, v76
	v_lshl_add_u64 v[76:77], v[76:77], 2, v[6:7]
	global_load_dwordx2 v[76:77], v[76:77], off
	s_branch .LBB106_112
.LBB106_111:                            ;   in Loop: Header=BB106_64 Depth=1
	v_mov_b32_e32 v76, 0
	v_mov_b32_e32 v77, 0
.LBB106_112:                            ;   in Loop: Header=BB106_64 Depth=1
	s_waitcnt vmcnt(0)
	v_cvt_pk_f16_f32 v0, v76, v77
	s_andn2_b64 vcc, exec, s[36:37]
	v_mov_b32_e32 v75, 0
	ds_write_b32 v88, v0 offset:2968
	s_cbranch_vccnz .LBB106_63
; %bb.113:                              ;   in Loop: Header=BB106_64 Depth=1
	ds_read_b32 v0, v87 offset:48
	s_waitcnt lgkmcnt(0)
	v_cmp_gt_i32_e32 vcc, 0, v0
	s_cbranch_vccz .LBB106_62
; %bb.114:                              ;   in Loop: Header=BB106_64 Depth=1
	v_mov_b32_e32 v74, 0
	v_mov_b32_e32 v75, 0
	s_branch .LBB106_63
.LBB106_115:
	s_or_b64 exec, exec, s[46:47]
	v_readlane_b32 s26, v92, 12
	v_readlane_b32 s28, v92, 16
	;; [unrolled: 1-line block ×8, first 2 shown]
.LBB106_116:
	v_readlane_b32 s0, v92, 10
	v_readlane_b32 s1, v92, 11
	s_or_b64 exec, exec, s[0:1]
	v_mov_b32_e32 v1, 0x100
	v_lshl_add_u32 v0, v84, 2, v1
	v_mul_u32_u24_e32 v4, 0x308, v85
	v_and_b32_e32 v5, 0x3f0, v2
	v_add3_u32 v4, v0, v4, v5
	v_accvgpr_read_b32 v5, a13
	v_accvgpr_read_b32 v6, a12
	s_waitcnt lgkmcnt(0)
	s_barrier
	ds_write2_b32 v4, v6, v5 offset0:16 offset1:17
	v_accvgpr_read_b32 v5, a15
	v_accvgpr_read_b32 v6, a14
	ds_write2_b32 v4, v6, v5 offset0:18 offset1:19
	v_accvgpr_read_b32 v5, a9
	v_accvgpr_read_b32 v6, a8
	;; [unrolled: 3-line block ×7, first 2 shown]
	s_movk_i32 s0, 0x308
	ds_write2_b32 v4, v6, v5 offset0:66 offset1:67
	v_lshl_add_u32 v6, v2, 2, v1
	v_mad_u32_u24 v1, v80, s0, v6
	s_waitcnt lgkmcnt(0)
	s_barrier
	ds_read2_b32 v[4:5], v1 offset0:16 offset1:80
	ds_read_b32 v8, v1 offset:576
	v_cmp_gt_u32_e32 vcc, 13, v80
	v_mov_b32_e32 v9, -1
	s_and_saveexec_b64 s[0:1], vcc
; %bb.117:
	s_movk_i32 s2, 0xff04
	v_mad_i32_i24 v0, v80, s2, v0
	ds_read_b32 v9, v0
; %bb.118:
	s_or_b64 exec, exec, s[0:1]
	s_mul_hi_i32 s1, s30, s24
	s_mul_i32 s0, s30, s24
	s_lshl_b64 s[0:1], s[0:1], 2
	v_readlane_b32 s2, v92, 8
	v_mul_hi_i32 v1, v3, s49
	v_mul_lo_u32 v0, v3, s49
	v_readlane_b32 s3, v92, 9
	s_add_u32 s0, s2, s0
	s_addc_u32 s1, s3, s1
	v_lshlrev_b64 v[0:1], 2, v[0:1]
	s_waitcnt lgkmcnt(0)
	v_cmp_lt_i32_e32 vcc, -1, v9
	v_mul_u32_u24_e32 v10, 0x308, v80
	v_add_u32_e32 v7, s7, v2
	v_lshl_add_u64 v[0:1], s[0:1], 0, v[0:1]
	s_and_b64 s[2:3], vcc, s[26:27]
	s_and_saveexec_b64 s[0:1], s[2:3]
	s_cbranch_execz .LBB106_120
; %bb.119:
	v_add_f32_e32 v2, 0, v4
	v_add_f32_e32 v2, v2, v5
	;; [unrolled: 1-line block ×3, first 2 shown]
	v_mul_lo_u32 v2, v9, s54
	v_mul_lo_u32 v3, v80, s49
	v_add3_u32 v2, v7, v3, v2
	v_mov_b32_e32 v3, 0
	v_lshl_add_u64 v[2:3], v[2:3], 2, v[0:1]
	global_store_dword v[2:3], v4, off
.LBB106_120:
	s_or_b64 exec, exec, s[0:1]
	v_add_u32_e32 v4, v10, v6
	v_add_u32_e32 v2, 0x58, v4
	ds_read2st64_b32 v[2:3], v2 offset0:9 offset1:10
	ds_read_b32 v5, v4 offset:2904
	v_cmp_gt_u32_e32 vcc, 10, v80
	v_mov_b32_e32 v8, -1
	s_and_saveexec_b64 s[0:1], vcc
; %bb.121:
	v_mov_b32_e32 v8, 0x100
	v_lshl_add_u32 v8, v80, 2, v8
	ds_read_b32 v8, v8 offset:12
; %bb.122:
	s_or_b64 exec, exec, s[0:1]
	v_readlane_b32 s0, v92, 0
	s_waitcnt lgkmcnt(0)
	v_cmp_lt_i32_e32 vcc, -1, v8
	v_readlane_b32 s1, v92, 1
	s_and_b64 s[2:3], vcc, s[0:1]
	s_and_saveexec_b64 s[0:1], s[2:3]
	s_cbranch_execz .LBB106_124
; %bb.123:
	v_add_f32_e32 v2, 0, v2
	v_add_f32_e32 v2, v2, v3
	v_add_f32_e32 v5, v2, v5
	v_mul_lo_u32 v2, v8, s54
	v_mul_lo_u32 v3, v81, s49
	v_add3_u32 v2, v7, v3, v2
	v_mov_b32_e32 v3, 0
	v_lshl_add_u64 v[2:3], v[2:3], 2, v[0:1]
	global_store_dword v[2:3], v5, off
.LBB106_124:
	s_or_b64 exec, exec, s[0:1]
	v_add_u32_e32 v2, 0x70, v4
	ds_read2st64_b32 v[2:3], v2 offset0:18 offset1:19
	ds_read_b32 v5, v4 offset:5232
	v_cmp_gt_u32_e32 vcc, 7, v80
	v_mov_b32_e32 v8, -1
	s_and_saveexec_b64 s[0:1], vcc
; %bb.125:
	v_mov_b32_e32 v8, 0x100
	v_lshl_add_u32 v8, v80, 2, v8
	ds_read_b32 v8, v8 offset:24
; %bb.126:
	s_or_b64 exec, exec, s[0:1]
	v_readlane_b32 s0, v92, 2
	s_waitcnt lgkmcnt(0)
	v_cmp_lt_i32_e32 vcc, -1, v8
	v_readlane_b32 s1, v92, 3
	s_and_b64 s[2:3], vcc, s[0:1]
	s_and_saveexec_b64 s[0:1], s[2:3]
	s_cbranch_execz .LBB106_128
; %bb.127:
	v_add_f32_e32 v2, 0, v2
	v_add_f32_e32 v2, v2, v3
	v_add_f32_e32 v5, v2, v5
	v_mul_lo_u32 v2, v8, s54
	v_mul_lo_u32 v3, v82, s49
	v_add3_u32 v2, v7, v3, v2
	v_mov_b32_e32 v3, 0
	v_lshl_add_u64 v[2:3], v[2:3], 2, v[0:1]
	global_store_dword v[2:3], v5, off
.LBB106_128:
	s_or_b64 exec, exec, s[0:1]
	;; [unrolled: 31-line block ×3, first 2 shown]
	v_cmp_eq_u32_e32 vcc, 0, v80
	s_and_saveexec_b64 s[0:1], vcc
	s_cbranch_execz .LBB106_135
; %bb.133:
	v_mov_b32_e32 v2, 0x100
	ds_read_b32 v2, v2 offset:48
	v_readlane_b32 s2, v92, 6
	v_readlane_b32 s3, v92, 7
	s_waitcnt lgkmcnt(0)
	v_readfirstlane_b32 s0, v2
	s_cmp_gt_i32 s0, -1
	s_cselect_b64 s[0:1], -1, 0
	s_and_b64 s[0:1], s[0:1], s[2:3]
	s_and_b64 exec, exec, s[0:1]
	s_cbranch_execz .LBB106_135
; %bb.134:
	v_add_u32_e32 v3, 0xa0, v6
	ds_read2st64_b32 v[4:5], v3 offset0:36 offset1:37
	ds_read_b32 v3, v6 offset:9888
	v_mul_lo_u32 v2, v2, s54
	s_mul_i32 s0, s49, 12
	v_add_u32_e32 v2, s0, v2
	s_waitcnt lgkmcnt(1)
	v_add_f32_e32 v4, 0, v4
	v_add_f32_e32 v4, v4, v5
	s_waitcnt lgkmcnt(0)
	v_add_f32_e32 v4, v4, v3
	v_add_u32_e32 v2, v2, v7
	v_mov_b32_e32 v3, 0
	v_lshl_add_u64 v[0:1], v[2:3], 2, v[0:1]
	global_store_dword v[0:1], v4, off
.LBB106_135:
	s_endpgm
	.section	.rodata,"a",@progbits
	.p2align	6, 0x0
	.amdhsa_kernel _ZL9mul_mat_fI7__half2Li64ELi13ELi3ELb1EEvPKT_PKfPKiPfiiiiiiiiiiiiiiii
		.amdhsa_group_segment_fixed_size 256
		.amdhsa_private_segment_fixed_size 0
		.amdhsa_kernarg_size 352
		.amdhsa_user_sgpr_count 2
		.amdhsa_user_sgpr_dispatch_ptr 0
		.amdhsa_user_sgpr_queue_ptr 0
		.amdhsa_user_sgpr_kernarg_segment_ptr 1
		.amdhsa_user_sgpr_dispatch_id 0
		.amdhsa_user_sgpr_kernarg_preload_length 0
		.amdhsa_user_sgpr_kernarg_preload_offset 0
		.amdhsa_user_sgpr_private_segment_size 0
		.amdhsa_uses_dynamic_stack 0
		.amdhsa_enable_private_segment 0
		.amdhsa_system_sgpr_workgroup_id_x 1
		.amdhsa_system_sgpr_workgroup_id_y 1
		.amdhsa_system_sgpr_workgroup_id_z 1
		.amdhsa_system_sgpr_workgroup_info 0
		.amdhsa_system_vgpr_workitem_id 2
		.amdhsa_next_free_vgpr 112
		.amdhsa_next_free_sgpr 100
		.amdhsa_accum_offset 96
		.amdhsa_reserve_vcc 1
		.amdhsa_float_round_mode_32 0
		.amdhsa_float_round_mode_16_64 0
		.amdhsa_float_denorm_mode_32 3
		.amdhsa_float_denorm_mode_16_64 3
		.amdhsa_dx10_clamp 1
		.amdhsa_ieee_mode 1
		.amdhsa_fp16_overflow 0
		.amdhsa_tg_split 0
		.amdhsa_exception_fp_ieee_invalid_op 0
		.amdhsa_exception_fp_denorm_src 0
		.amdhsa_exception_fp_ieee_div_zero 0
		.amdhsa_exception_fp_ieee_overflow 0
		.amdhsa_exception_fp_ieee_underflow 0
		.amdhsa_exception_fp_ieee_inexact 0
		.amdhsa_exception_int_div_zero 0
	.end_amdhsa_kernel
	.section	.text._ZL9mul_mat_fI7__half2Li64ELi13ELi3ELb1EEvPKT_PKfPKiPfiiiiiiiiiiiiiiii,"axG",@progbits,_ZL9mul_mat_fI7__half2Li64ELi13ELi3ELb1EEvPKT_PKfPKiPfiiiiiiiiiiiiiiii,comdat
.Lfunc_end106:
	.size	_ZL9mul_mat_fI7__half2Li64ELi13ELi3ELb1EEvPKT_PKfPKiPfiiiiiiiiiiiiiiii, .Lfunc_end106-_ZL9mul_mat_fI7__half2Li64ELi13ELi3ELb1EEvPKT_PKfPKiPfiiiiiiiiiiiiiiii
                                        ; -- End function
	.set _ZL9mul_mat_fI7__half2Li64ELi13ELi3ELb1EEvPKT_PKfPKiPfiiiiiiiiiiiiiiii.num_vgpr, 93
	.set _ZL9mul_mat_fI7__half2Li64ELi13ELi3ELb1EEvPKT_PKfPKiPfiiiiiiiiiiiiiiii.num_agpr, 16
	.set _ZL9mul_mat_fI7__half2Li64ELi13ELi3ELb1EEvPKT_PKfPKiPfiiiiiiiiiiiiiiii.numbered_sgpr, 100
	.set _ZL9mul_mat_fI7__half2Li64ELi13ELi3ELb1EEvPKT_PKfPKiPfiiiiiiiiiiiiiiii.num_named_barrier, 0
	.set _ZL9mul_mat_fI7__half2Li64ELi13ELi3ELb1EEvPKT_PKfPKiPfiiiiiiiiiiiiiiii.private_seg_size, 0
	.set _ZL9mul_mat_fI7__half2Li64ELi13ELi3ELb1EEvPKT_PKfPKiPfiiiiiiiiiiiiiiii.uses_vcc, 1
	.set _ZL9mul_mat_fI7__half2Li64ELi13ELi3ELb1EEvPKT_PKfPKiPfiiiiiiiiiiiiiiii.uses_flat_scratch, 0
	.set _ZL9mul_mat_fI7__half2Li64ELi13ELi3ELb1EEvPKT_PKfPKiPfiiiiiiiiiiiiiiii.has_dyn_sized_stack, 0
	.set _ZL9mul_mat_fI7__half2Li64ELi13ELi3ELb1EEvPKT_PKfPKiPfiiiiiiiiiiiiiiii.has_recursion, 0
	.set _ZL9mul_mat_fI7__half2Li64ELi13ELi3ELb1EEvPKT_PKfPKiPfiiiiiiiiiiiiiiii.has_indirect_call, 0
	.section	.AMDGPU.csdata,"",@progbits
; Kernel info:
; codeLenInByte = 9040
; TotalNumSgprs: 106
; NumVgprs: 93
; NumAgprs: 16
; TotalNumVgprs: 112
; ScratchSize: 0
; MemoryBound: 0
; FloatMode: 240
; IeeeMode: 1
; LDSByteSize: 256 bytes/workgroup (compile time only)
; SGPRBlocks: 13
; VGPRBlocks: 13
; NumSGPRsForWavesPerEU: 106
; NumVGPRsForWavesPerEU: 112
; AccumOffset: 96
; Occupancy: 4
; WaveLimiterHint : 0
; COMPUTE_PGM_RSRC2:SCRATCH_EN: 0
; COMPUTE_PGM_RSRC2:USER_SGPR: 2
; COMPUTE_PGM_RSRC2:TRAP_HANDLER: 0
; COMPUTE_PGM_RSRC2:TGID_X_EN: 1
; COMPUTE_PGM_RSRC2:TGID_Y_EN: 1
; COMPUTE_PGM_RSRC2:TGID_Z_EN: 1
; COMPUTE_PGM_RSRC2:TIDIG_COMP_CNT: 2
; COMPUTE_PGM_RSRC3_GFX90A:ACCUM_OFFSET: 23
; COMPUTE_PGM_RSRC3_GFX90A:TG_SPLIT: 0
	.section	.text._ZL9mul_mat_fI7__half2Li64ELi13ELi3ELb0EEvPKT_PKfPKiPfiiiiiiiiiiiiiiii,"axG",@progbits,_ZL9mul_mat_fI7__half2Li64ELi13ELi3ELb0EEvPKT_PKfPKiPfiiiiiiiiiiiiiiii,comdat
	.globl	_ZL9mul_mat_fI7__half2Li64ELi13ELi3ELb0EEvPKT_PKfPKiPfiiiiiiiiiiiiiiii ; -- Begin function _ZL9mul_mat_fI7__half2Li64ELi13ELi3ELb0EEvPKT_PKfPKiPfiiiiiiiiiiiiiiii
	.p2align	8
	.type	_ZL9mul_mat_fI7__half2Li64ELi13ELi3ELb0EEvPKT_PKfPKiPfiiiiiiiiiiiiiiii,@function
_ZL9mul_mat_fI7__half2Li64ELi13ELi3ELb0EEvPKT_PKfPKiPfiiiiiiiiiiiiiiii: ; @_ZL9mul_mat_fI7__half2Li64ELi13ELi3ELb0EEvPKT_PKfPKiPfiiiiiiiiiiiiiiii
; %bb.0:
	s_load_dword s5, s[0:1], 0x20
	s_load_dwordx4 s[16:19], s[0:1], 0x2c
	v_bfe_u32 v82, v0, 10, 10
	v_lshlrev_b32_e32 v84, 6, v82
	v_and_b32_e32 v83, 0x3ff, v0
	v_add_u32_e32 v86, v84, v83
	s_waitcnt lgkmcnt(0)
	s_ashr_i32 s19, s4, 31
	v_cmp_le_i32_e32 vcc, s5, v86
	v_and_b32_e32 v85, 15, v83
	s_and_saveexec_b64 s[6:7], vcc
	s_xor_b64 s[6:7], exec, s[6:7]
; %bb.1:
	v_and_b32_e32 v85, 15, v83
                                        ; implicit-def: $vgpr86
; %bb.2:
	s_or_saveexec_b64 s[24:25], s[6:7]
	s_load_dwordx8 s[8:15], s[0:1], 0x40
	s_load_dwordx2 s[6:7], s[0:1], 0x18
	s_lshl_b32 s2, s2, 6
	v_mov_b32_e32 v1, 0
	v_accvgpr_write_b32 a0, 0
	v_accvgpr_write_b32 a1, 0
	;; [unrolled: 1-line block ×16, first 2 shown]
	s_xor_b64 exec, exec, s[24:25]
	s_cbranch_execz .LBB107_6
; %bb.3:
	s_waitcnt lgkmcnt(0)
	s_abs_i32 s26, s8
	v_cvt_f32_u32_e32 v0, s26
	s_abs_i32 s27, s12
	v_cvt_f32_u32_e32 v2, s27
	s_sub_i32 s20, 0, s26
	v_rcp_iflag_f32_e32 v0, v0
	s_abs_i32 s28, s3
	v_rcp_iflag_f32_e32 v2, v2
	s_sub_i32 s21, 0, s27
	v_mul_f32_e32 v0, 0x4f7ffffe, v0
	v_cvt_u32_f32_e32 v0, v0
	v_mul_f32_e32 v2, 0x4f7ffffe, v2
	v_cvt_u32_f32_e32 v2, v2
	s_abs_i32 s29, s4
	v_mul_lo_u32 v3, s20, v0
	v_mul_hi_u32 v3, v0, v3
	v_add_u32_e32 v0, v0, v3
	v_mul_hi_u32 v0, s28, v0
	v_mul_lo_u32 v4, s21, v2
	v_mul_lo_u32 v3, v0, s26
	v_mul_hi_u32 v4, v2, v4
	v_sub_u32_e32 v3, s28, v3
	v_add_u32_e32 v2, v2, v4
	v_subrev_u32_e32 v5, s26, v3
	v_cmp_le_u32_e32 vcc, s26, v3
	v_mul_hi_u32 v2, s29, v2
	v_add_u32_e32 v4, 1, v0
	v_cndmask_b32_e32 v3, v3, v5, vcc
	v_cndmask_b32_e32 v0, v0, v4, vcc
	v_cmp_le_u32_e32 vcc, s26, v3
	v_mul_lo_u32 v3, v2, s27
	s_load_dwordx4 s[20:23], s[0:1], 0x0
	s_ashr_i32 s0, s3, 31
	s_ashr_i32 s1, s8, 31
	v_add_u32_e32 v4, 1, v0
	v_sub_u32_e32 v3, s29, v3
	s_xor_b32 s0, s0, s1
	v_cndmask_b32_e32 v0, v0, v4, vcc
	v_add_u32_e32 v4, 1, v2
	v_subrev_u32_e32 v5, s27, v3
	v_cmp_le_u32_e32 vcc, s27, v3
	v_xor_b32_e32 v0, s0, v0
	s_ashr_i32 s8, s12, 31
	v_cndmask_b32_e32 v2, v2, v4, vcc
	v_cndmask_b32_e32 v3, v3, v5, vcc
	v_subrev_u32_e32 v0, s0, v0
	v_add_u32_e32 v4, 1, v2
	v_cmp_le_u32_e32 vcc, s27, v3
	s_xor_b32 s0, s19, s8
	s_mul_i32 s8, s14, s4
	v_cndmask_b32_e32 v2, v2, v4, vcc
	v_mul_lo_u32 v4, v0, s9
	s_mul_hi_i32 s9, s14, s4
	v_xor_b32_e32 v2, s0, v2
	s_lshl_b64 s[26:27], s[8:9], 2
	v_subrev_u32_e32 v2, s0, v2
	s_mul_i32 s0, s16, s2
	s_mul_i32 s28, s10, s3
	s_waitcnt lgkmcnt(0)
	s_add_u32 s8, s22, s26
	v_mul_hi_i32 v3, v2, s13
	v_mul_lo_u32 v2, v2, s13
	s_addc_u32 s9, s23, s27
	s_ashr_i32 s1, s0, 31
	s_ashr_i32 s29, s28, 31
	v_ashrrev_i32_e32 v5, 31, v4
	v_lshlrev_b64 v[6:7], 2, v[2:3]
	s_lshl_b64 s[12:13], s[0:1], 2
	s_lshl_b64 s[28:29], s[28:29], 2
	v_lshl_add_u64 v[2:3], s[20:21], 0, v[6:7]
	v_lshlrev_b64 v[4:5], 2, v[4:5]
	s_add_u32 s0, s8, s28
	s_movk_i32 s8, 0x1080
	v_lshrrev_b32_e32 v10, 1, v83
	v_lshl_add_u64 v[2:3], v[2:3], 0, v[4:5]
	v_mad_u32_u24 v0, v82, s8, 0
	v_lshlrev_b32_e32 v8, 2, v83
	v_mul_u32_u24_e32 v9, 0x108, v85
	v_and_b32_e32 v10, 0x1f8, v10
	v_lshl_add_u64 v[4:5], v[4:5], 0, s[12:13]
	s_addc_u32 s1, s9, s29
	v_add_u32_e32 v87, v0, v8
	v_add3_u32 v88, v0, v9, v10
	s_ashr_i32 s9, s16, 31
	s_mov_b32 s8, s16
	s_ashr_i32 s31, s17, 31
	s_mov_b32 s30, s17
	v_lshlrev_b32_e32 v0, 8, v82
	v_lshl_add_u64 v[4:5], v[4:5], 0, v[6:7]
	v_lshl_add_u64 v[2:3], v[2:3], 0, s[12:13]
	s_add_i32 s10, s16, s16
	s_add_i32 s14, s17, s17
	s_lshl_b32 s33, s17, 2
	s_lshl_b32 s37, s17, 3
	;; [unrolled: 1-line block ×6, first 2 shown]
	s_lshl_b64 s[8:9], s[8:9], 2
	s_lshl_b64 s[12:13], s[30:31], 3
	v_lshl_add_u64 v[4:5], v[4:5], 0, v[0:1]
	v_lshlrev_b32_e32 v0, 9, v82
	s_add_u32 s22, s22, s28
	v_mov_b32_e32 v9, v1
	v_lshl_add_u64 v[6:7], s[26:27], 0, v[0:1]
	v_lshlrev_b32_e32 v0, 3, v83
	s_addc_u32 s23, s23, s29
	v_lshl_add_u64 v[4:5], v[4:5], 0, v[8:9]
	v_lshl_add_u64 v[6:7], v[6:7], 0, v[0:1]
	s_mul_i32 s19, s17, 3
	s_mul_i32 s34, s17, 5
	;; [unrolled: 1-line block ×39, first 2 shown]
	v_lshl_add_u64 v[4:5], s[20:21], 0, v[4:5]
	s_mul_i32 s30, s16, 38
	s_mul_i32 s31, s16, 39
	;; [unrolled: 1-line block ×6, first 2 shown]
	v_lshl_add_u64 v[6:7], s[22:23], 0, v[6:7]
	s_mul_i32 s77, s16, 44
	s_mul_i32 s78, s16, 45
	v_accvgpr_write_b32 a15, 0
	v_accvgpr_write_b32 a14, 0
	;; [unrolled: 1-line block ×16, first 2 shown]
	s_mul_i32 s79, s16, 46
	s_mul_i32 s80, s16, 47
	;; [unrolled: 1-line block ×18, first 2 shown]
	s_mov_b64 s[16:17], 0
	s_mov_b64 s[20:21], 0x300
	;; [unrolled: 1-line block ×3, first 2 shown]
.LBB107_4:                              ; =>This Inner Loop Header: Depth=1
	v_add_u32_e32 v80, s10, v86
	v_add_u32_e32 v10, s42, v86
	;; [unrolled: 1-line block ×3, first 2 shown]
	v_lshl_add_u64 v[8:9], v[4:5], 0, s[8:9]
	v_add_u32_e32 v12, s44, v86
	v_add_u32_e32 v76, s45, v86
	v_ashrrev_i32_e32 v81, 31, v80
	v_ashrrev_i32_e32 v11, 31, v10
	;; [unrolled: 1-line block ×3, first 2 shown]
	v_add_u32_e32 v14, s46, v86
	v_add_u32_e32 v74, s47, v86
	global_load_dword v89, v[8:9], off
	v_lshl_add_u64 v[8:9], v[80:81], 2, v[2:3]
	v_lshl_add_u64 v[10:11], v[10:11], 2, v[2:3]
	;; [unrolled: 1-line block ×3, first 2 shown]
	v_ashrrev_i32_e32 v13, 31, v12
	v_ashrrev_i32_e32 v77, 31, v76
	v_add_u32_e32 v18, s48, v86
	v_add_u32_e32 v72, s49, v86
	global_load_dword v80, v[8:9], off
	global_load_dword v79, v[10:11], off
	;; [unrolled: 1-line block ×3, first 2 shown]
	v_lshl_add_u64 v[12:13], v[12:13], 2, v[2:3]
	v_lshl_add_u64 v[90:91], v[76:77], 2, v[2:3]
	v_ashrrev_i32_e32 v15, 31, v14
	v_ashrrev_i32_e32 v75, 31, v74
	v_add_u32_e32 v40, s50, v86
	v_add_u32_e32 v70, s51, v86
	global_load_dword v77, v[12:13], off
	global_load_dword v76, v[90:91], off
	v_lshl_add_u64 v[14:15], v[14:15], 2, v[2:3]
	v_lshl_add_u64 v[90:91], v[74:75], 2, v[2:3]
	v_ashrrev_i32_e32 v19, 31, v18
	v_ashrrev_i32_e32 v73, 31, v72
	v_add_u32_e32 v44, s52, v86
	v_add_u32_e32 v68, s53, v86
	global_load_dword v75, v[14:15], off
	global_load_dword v74, v[90:91], off
	;; [unrolled: 8-line block ×10, first 2 shown]
	v_lshl_add_u64 v[42:43], v[42:43], 2, v[2:3]
	v_lshl_add_u64 v[90:91], v[46:47], 2, v[2:3]
	v_ashrrev_i32_e32 v31, 31, v30
	v_ashrrev_i32_e32 v39, 31, v38
	v_add_u32_e32 v16, s70, v86
	v_add_u32_e32 v32, s71, v86
	;; [unrolled: 1-line block ×8, first 2 shown]
	global_load_dword v46, v[42:43], off
	global_load_dword v47, v[90:91], off
	v_lshl_add_u64 v[30:31], v[30:31], 2, v[2:3]
	v_lshl_add_u64 v[90:91], v[38:39], 2, v[2:3]
	v_ashrrev_i32_e32 v21, 31, v20
	v_ashrrev_i32_e32 v29, 31, v28
	v_add_u32_e32 v36, s28, v86
	v_add_u32_e32 v12, s75, v86
	;; [unrolled: 1-line block ×3, first 2 shown]
	global_load_dword v38, v[30:31], off
	global_load_dword v39, v[90:91], off
	v_lshl_add_u64 v[20:21], v[20:21], 2, v[2:3]
	v_lshl_add_u64 v[90:91], v[28:29], 2, v[2:3]
	v_ashrrev_i32_e32 v17, 31, v16
	v_ashrrev_i32_e32 v33, 31, v32
	;; [unrolled: 1-line block ×8, first 2 shown]
	v_add_u32_e32 v18, s26, v86
	v_add_u32_e32 v40, s27, v86
	global_load_dword v28, v[20:21], off
	global_load_dword v29, v[90:91], off
	v_lshl_add_u64 v[16:17], v[16:17], 2, v[2:3]
	v_lshl_add_u64 v[90:91], v[32:33], 2, v[2:3]
	;; [unrolled: 1-line block ×4, first 2 shown]
	v_ashrrev_i32_e32 v37, 31, v36
	v_lshl_add_u64 v[24:25], v[24:25], 2, v[2:3]
	v_lshl_add_u64 v[26:27], v[26:27], 2, v[2:3]
	;; [unrolled: 1-line block ×4, first 2 shown]
	v_ashrrev_i32_e32 v13, 31, v12
	v_ashrrev_i32_e32 v15, 31, v14
	v_add_u32_e32 v44, s77, v86
	v_add_u32_e32 v52, s78, v86
	global_load_dword v32, v[16:17], off
	global_load_dword v69, v[90:91], off
	;; [unrolled: 1-line block ×3, first 2 shown]
	s_nop 0
	global_load_dword v90, v[34:35], off
	v_lshl_add_u64 v[34:35], v[36:37], 2, v[2:3]
	global_load_dword v91, v[24:25], off
	global_load_dword v92, v[34:35], off
	s_nop 0
	global_load_dword v26, v[26:27], off
	s_nop 0
	global_load_dword v33, v[4:5], off
	global_load_dword v27, v[8:9], off
	;; [unrolled: 1-line block ×3, first 2 shown]
	s_nop 0
	global_load_dwordx2 v[8:9], v[6:7], off
	v_lshl_add_u64 v[10:11], v[12:13], 2, v[2:3]
	v_lshl_add_u64 v[12:13], v[14:15], 2, v[2:3]
	v_ashrrev_i32_e32 v19, 31, v18
	v_ashrrev_i32_e32 v41, 31, v40
	v_add_u32_e32 v56, s79, v86
	v_add_u32_e32 v60, s80, v86
	global_load_dword v94, v[10:11], off
	global_load_dword v95, v[12:13], off
	v_lshl_add_u64 v[12:13], v[18:19], 2, v[2:3]
	v_lshl_add_u64 v[14:15], v[40:41], 2, v[2:3]
	v_ashrrev_i32_e32 v45, 31, v44
	v_ashrrev_i32_e32 v53, 31, v52
	v_add_u32_e32 v54, s81, v86
	v_add_u32_e32 v48, s82, v86
	global_load_dword v96, v[12:13], off
	global_load_dword v97, v[14:15], off
	v_lshl_add_u64 v[14:15], v[44:45], 2, v[2:3]
	v_lshl_add_u64 v[18:19], v[52:53], 2, v[2:3]
	v_ashrrev_i32_e32 v57, 31, v56
	v_ashrrev_i32_e32 v61, 31, v60
	v_add_u32_e32 v42, s83, v86
	v_add_u32_e32 v30, s84, v86
	;; [unrolled: 1-line block ×4, first 2 shown]
	global_load_dword v44, v[14:15], off
	global_load_dword v45, v[18:19], off
	v_lshl_add_u64 v[18:19], v[56:57], 2, v[2:3]
	v_lshl_add_u64 v[34:35], v[60:61], 2, v[2:3]
	v_ashrrev_i32_e32 v55, 31, v54
	v_ashrrev_i32_e32 v49, 31, v48
	v_add_u32_e32 v22, s87, v86
	v_add_u32_e32 v10, s89, v86
	;; [unrolled: 1-line block ×3, first 2 shown]
	global_load_dword v52, v[18:19], off
	global_load_dword v53, v[34:35], off
	v_lshl_add_u64 v[34:35], v[54:55], 2, v[2:3]
	v_lshl_add_u64 v[36:37], v[48:49], 2, v[2:3]
	v_ashrrev_i32_e32 v43, 31, v42
	v_ashrrev_i32_e32 v31, 31, v30
	;; [unrolled: 1-line block ×4, first 2 shown]
	v_add_u32_e32 v24, s88, v86
	v_add_u32_e32 v14, s91, v86
	;; [unrolled: 1-line block ×3, first 2 shown]
	global_load_dword v56, v[34:35], off
	global_load_dword v57, v[36:37], off
	v_lshl_add_u64 v[36:37], v[42:43], 2, v[2:3]
	v_lshl_add_u64 v[30:31], v[30:31], 2, v[2:3]
	;; [unrolled: 1-line block ×4, first 2 shown]
	v_ashrrev_i32_e32 v23, 31, v22
	v_ashrrev_i32_e32 v11, 31, v10
	v_ashrrev_i32_e32 v13, 31, v12
	v_add_u32_e32 v34, s93, v86
	global_load_dword v42, v[36:37], off
	global_load_dword v43, v[30:31], off
	v_add_u32_e32 v30, s94, v86
	global_load_dword v98, v[20:21], off
	global_load_dword v99, v[16:17], off
	v_add_u32_e32 v16, s95, v86
	v_ashrrev_i32_e32 v25, 31, v24
	v_lshl_add_u64 v[20:21], v[22:23], 2, v[2:3]
	v_lshl_add_u64 v[10:11], v[10:11], 2, v[2:3]
	;; [unrolled: 1-line block ×3, first 2 shown]
	v_ashrrev_i32_e32 v15, 31, v14
	v_ashrrev_i32_e32 v19, 31, v18
	v_lshl_add_u64 v[22:23], v[24:25], 2, v[2:3]
	global_load_dword v100, v[20:21], off
	global_load_dword v101, v[22:23], off
	v_add_u32_e32 v20, s96, v86
	global_load_dword v102, v[10:11], off
	global_load_dword v103, v[12:13], off
	v_lshl_add_u64 v[12:13], v[14:15], 2, v[2:3]
	v_lshl_add_u64 v[14:15], v[18:19], 2, v[2:3]
	v_ashrrev_i32_e32 v35, 31, v34
	v_ashrrev_i32_e32 v31, 31, v30
	v_ashrrev_i32_e32 v17, 31, v16
	v_lshl_add_u64 v[10:11], v[6:7], 0, s[12:13]
	global_load_dword v104, v[12:13], off
	global_load_dword v105, v[14:15], off
	v_lshl_add_u64 v[14:15], v[34:35], 2, v[2:3]
	v_lshl_add_u64 v[18:19], v[30:31], 2, v[2:3]
	v_ashrrev_i32_e32 v21, 31, v20
	v_lshl_add_u64 v[16:17], v[16:17], 2, v[2:3]
	global_load_dword v106, v[14:15], off
	global_load_dword v107, v[18:19], off
	v_lshl_add_u64 v[18:19], v[20:21], 2, v[2:3]
	global_load_dword v108, v[16:17], off
	global_load_dword v109, v[18:19], off
	v_add_u32_e32 v12, s14, v86
	global_load_dwordx2 v[10:11], v[10:11], off
	v_add_u32_e32 v14, s19, v86
	v_add_u32_e32 v16, s33, v86
	s_waitcnt vmcnt(25)
	v_cvt_pk_f16_f32 v110, v8, v9
	v_add_u32_e32 v8, s34, v86
	ds_write_b32 v87, v89 offset:264
	v_add_u32_e32 v18, s36, v86
	v_add_u32_e32 v20, s37, v86
	;; [unrolled: 1-line block ×6, first 2 shown]
	v_ashrrev_i32_e32 v13, 31, v12
	v_ashrrev_i32_e32 v15, 31, v14
	;; [unrolled: 1-line block ×10, first 2 shown]
	ds_write_b32 v87, v33
	ds_write_b32 v87, v80 offset:528
	ds_write_b32 v87, v79 offset:792
	;; [unrolled: 1-line block ×12, first 2 shown]
	v_lshl_add_u64 v[12:13], v[12:13], 3, s[0:1]
	v_lshl_add_u64 v[14:15], v[14:15], 3, s[0:1]
	;; [unrolled: 1-line block ×10, first 2 shown]
	v_accvgpr_mov_b32 a17, a3
	v_accvgpr_mov_b32 a16, a2
	v_lshl_add_u64 v[4:5], v[4:5], 0, s[20:21]
	v_lshl_add_u64 v[6:7], v[6:7], 0, s[22:23]
	s_waitcnt vmcnt(0)
	v_cvt_pk_f16_f32 v89, v10, v11
	v_add_u32_e32 v10, s35, v86
	v_ashrrev_i32_e32 v11, 31, v10
	v_lshl_add_u64 v[10:11], v[10:11], 3, s[0:1]
	global_load_dwordx2 v[12:13], v[12:13], off
	s_nop 0
	global_load_dwordx2 v[14:15], v[14:15], off
	s_nop 0
	;; [unrolled: 2-line block ×10, first 2 shown]
	global_load_dwordx2 v[34:35], v[34:35], off
	ds_write_b32 v87, v0 offset:3696
	ds_write_b32 v87, v67 offset:3960
	v_add_u32_e32 v86, 0xc0, v86
	v_cmp_le_i32_e32 vcc, s5, v86
	s_or_b64 s[16:17], vcc, s[16:17]
	s_waitcnt vmcnt(10)
	v_cvt_pk_f16_f32 v0, v12, v13
	s_waitcnt vmcnt(9)
	v_cvt_pk_f16_f32 v72, v14, v15
	s_waitcnt vmcnt(8)
	v_cvt_pk_f16_f32 v73, v16, v17
	s_waitcnt vmcnt(7)
	v_cvt_pk_f16_f32 v74, v8, v9
	s_waitcnt vmcnt(6)
	v_cvt_pk_f16_f32 v75, v10, v11
	s_waitcnt vmcnt(5)
	v_cvt_pk_f16_f32 v76, v18, v19
	s_waitcnt vmcnt(4)
	v_cvt_pk_f16_f32 v77, v20, v21
	s_waitcnt vmcnt(3)
	v_cvt_pk_f16_f32 v78, v22, v23
	s_waitcnt vmcnt(2)
	v_cvt_pk_f16_f32 v79, v24, v25
	ds_read_b64 v[54:55], v88
	ds_read_b64 v[40:41], v88 offset:32
	ds_read_b64 v[36:37], v88 offset:64
	;; [unrolled: 1-line block ×7, first 2 shown]
	ds_write_b32 v87, v66
	ds_write_b32 v87, v64 offset:264
	ds_write_b32 v87, v65 offset:528
	ds_write_b32 v87, v62 offset:792
	ds_write_b32 v87, v63 offset:1056
	ds_write_b32 v87, v58 offset:1320
	ds_write_b32 v87, v59 offset:1584
	ds_write_b32 v87, v50 offset:1848
	ds_write_b32 v87, v51 offset:2112
	ds_write_b32 v87, v46 offset:2376
	ds_write_b32 v87, v47 offset:2640
	ds_write_b32 v87, v38 offset:2904
	ds_write_b32 v87, v39 offset:3168
	ds_write_b32 v87, v28 offset:3432
	ds_write_b32 v87, v29 offset:3696
	ds_write_b32 v87, v32 offset:3960
	s_waitcnt vmcnt(0)
	v_cvt_pk_f16_f32 v111, v34, v35
	ds_read_b64 v[62:63], v88
	ds_read_b64 v[50:51], v88 offset:32
	ds_read_b64 v[48:49], v88 offset:64
	;; [unrolled: 1-line block ×7, first 2 shown]
	ds_write_b32 v87, v69
	ds_write_b32 v87, v81 offset:264
	ds_write_b32 v87, v90 offset:528
	;; [unrolled: 1-line block ×15, first 2 shown]
	v_cvt_pk_f16_f32 v80, v30, v31
	ds_read_b64 v[68:69], v88
	ds_read_b64 v[60:61], v88 offset:32
	ds_read_b64 v[58:59], v88 offset:64
	;; [unrolled: 1-line block ×7, first 2 shown]
	ds_write_b32 v87, v56
	ds_write_b32 v87, v57 offset:264
	ds_write_b32 v87, v42 offset:528
	;; [unrolled: 1-line block ×15, first 2 shown]
	ds_read_b64 v[70:71], v88
	ds_read_b64 v[66:67], v88 offset:32
	ds_read_b64 v[64:65], v88 offset:64
	;; [unrolled: 1-line block ×7, first 2 shown]
	ds_write_b32 v87, v110
	ds_write_b32 v87, v89 offset:264
	ds_write_b32 v87, v0 offset:528
	;; [unrolled: 1-line block ×15, first 2 shown]
	ds_read_b64 v[72:73], v88
	v_accvgpr_read_b32 v91, a9
	v_accvgpr_read_b32 v90, a8
	;; [unrolled: 1-line block ×4, first 2 shown]
	v_accvgpr_mov_b32 a6, a12
	v_accvgpr_mov_b32 a7, a13
	;; [unrolled: 1-line block ×4, first 2 shown]
	v_accvgpr_read_b32 v94, a4
	v_accvgpr_read_b32 v95, a5
	s_waitcnt lgkmcnt(0)
	v_mfma_f32_16x16x16_f16 a[6:9], v[54:55], v[72:73], a[6:9]
	ds_read_b64 v[54:55], v88 offset:32
	v_accvgpr_write_b32 a2, v94
	v_accvgpr_read_b32 v93, a11
	v_accvgpr_read_b32 v92, a10
	v_accvgpr_write_b32 a10, v90
	v_accvgpr_write_b32 a3, v95
	;; [unrolled: 1-line block ×4, first 2 shown]
	s_waitcnt lgkmcnt(0)
	v_mfma_f32_16x16x16_f16 a[6:9], v[40:41], v[54:55], a[6:9]
	ds_read_b64 v[40:41], v88 offset:64
	v_accvgpr_write_b32 a11, v91
	v_accvgpr_write_b32 a12, v92
	;; [unrolled: 1-line block ×3, first 2 shown]
	v_mfma_f32_16x16x16_f16 a[2:5], v[68:69], v[72:73], a[2:5]
	v_accvgpr_mov_b32 a15, a1
	v_accvgpr_mov_b32 a14, a0
	v_mfma_f32_16x16x16_f16 a[10:13], v[62:63], v[72:73], a[10:13]
	s_nop 0
	v_mfma_f32_16x16x16_f16 a[14:17], v[70:71], v[72:73], a[14:17]
	v_mfma_f32_16x16x16_f16 a[0:3], v[60:61], v[54:55], a[2:5]
	s_waitcnt lgkmcnt(0)
	v_mfma_f32_16x16x16_f16 a[4:7], v[36:37], v[40:41], a[6:9]
	ds_read_b64 v[36:37], v88 offset:96
	v_mfma_f32_16x16x16_f16 a[10:13], v[50:51], v[54:55], a[10:13]
	v_mfma_f32_16x16x16_f16 a[14:17], v[66:67], v[54:55], a[14:17]
	;; [unrolled: 1-line block ×5, first 2 shown]
	s_waitcnt lgkmcnt(0)
	v_mfma_f32_16x16x16_f16 a[4:7], v[24:25], v[36:37], a[4:7]
	ds_read_b64 v[24:25], v88 offset:128
	v_mfma_f32_16x16x16_f16 a[8:11], v[34:35], v[36:37], a[8:11]
	v_mfma_f32_16x16x16_f16 a[0:3], v[46:47], v[36:37], a[0:3]
	v_mfma_f32_16x16x16_f16 a[12:15], v[56:57], v[36:37], a[12:15]
	s_waitcnt lgkmcnt(0)
	v_mfma_f32_16x16x16_f16 a[4:7], v[22:23], v[24:25], a[4:7]
	ds_read_b64 v[22:23], v88 offset:160
	v_mfma_f32_16x16x16_f16 a[8:11], v[32:33], v[24:25], a[8:11]
	v_mfma_f32_16x16x16_f16 a[0:3], v[44:45], v[24:25], a[0:3]
	v_mfma_f32_16x16x16_f16 a[12:15], v[52:53], v[24:25], a[12:15]
	;; [unrolled: 6-line block ×4, first 2 shown]
	s_waitcnt lgkmcnt(0)
	v_mfma_f32_16x16x16_f16 a[12:15], v[8:9], v[10:11], a[4:7]
	v_mfma_f32_16x16x16_f16 a[8:11], v[12:13], v[10:11], a[8:11]
	;; [unrolled: 1-line block ×4, first 2 shown]
	s_andn2_b64 exec, exec, s[16:17]
	s_cbranch_execnz .LBB107_4
; %bb.5:
	s_or_b64 exec, exec, s[16:17]
.LBB107_6:
	s_or_b64 exec, exec, s[24:25]
	v_lshl_add_u32 v0, v84, 2, 0
	v_mul_u32_u24_e32 v1, 0x308, v85
	v_and_b32_e32 v2, 0x3f0, v83
	v_add3_u32 v0, v0, v1, v2
	v_accvgpr_read_b32 v1, a13
	v_accvgpr_read_b32 v2, a12
	s_waitcnt lgkmcnt(0)
	s_barrier
	ds_write2_b32 v0, v2, v1 offset1:1
	v_accvgpr_read_b32 v1, a15
	v_accvgpr_read_b32 v2, a14
	ds_write2_b32 v0, v2, v1 offset0:2 offset1:3
	v_accvgpr_read_b32 v1, a9
	v_accvgpr_read_b32 v2, a8
	s_mul_hi_i32 s1, s15, s4
	s_mul_i32 s0, s15, s4
	ds_write2_b32 v0, v2, v1 offset0:16 offset1:17
	v_accvgpr_read_b32 v1, a11
	v_accvgpr_read_b32 v2, a10
	s_lshl_b64 s[0:1], s[0:1], 2
	ds_write2_b32 v0, v2, v1 offset0:18 offset1:19
	v_accvgpr_read_b32 v1, a5
	v_accvgpr_read_b32 v2, a4
	s_mul_i32 s4, s11, s3
	s_add_u32 s3, s6, s0
	ds_write2_b32 v0, v2, v1 offset0:32 offset1:33
	v_accvgpr_read_b32 v1, a7
	v_accvgpr_read_b32 v2, a6
	s_addc_u32 s6, s7, s1
	s_ashr_i32 s5, s4, 31
	ds_write2_b32 v0, v2, v1 offset0:34 offset1:35
	v_accvgpr_read_b32 v1, a1
	v_accvgpr_read_b32 v2, a0
	s_lshl_b64 s[0:1], s[4:5], 2
	ds_write2_b32 v0, v2, v1 offset0:48 offset1:49
	v_accvgpr_read_b32 v1, a3
	v_accvgpr_read_b32 v2, a2
	s_add_u32 s0, s3, s0
	s_movk_i32 s3, 0x308
	ds_write2_b32 v0, v2, v1 offset0:50 offset1:51
	v_lshl_add_u32 v1, v83, 2, 0
	v_mad_u32_u24 v8, v82, s3, v1
	s_waitcnt lgkmcnt(0)
	s_barrier
	ds_read2st64_b32 v[2:3], v8 offset1:1
	ds_read_b32 v4, v8 offset:512
	ds_read_b32 v9, v8 offset:2840
	;; [unrolled: 1-line block ×4, first 2 shown]
	s_waitcnt lgkmcnt(4)
	v_add_f32_e32 v2, 0, v2
	v_add_f32_e32 v2, v2, v3
	s_waitcnt lgkmcnt(3)
	v_add_f32_e32 v12, v2, v4
	v_add_u32_e32 v2, 24, v8
	ds_read2st64_b32 v[4:5], v2 offset0:9 offset1:10
	v_add_u32_e32 v0, s2, v83
	v_mad_u64_u32 v[2:3], s[2:3], v82, s18, v[0:1]
	s_addc_u32 s1, s6, s1
	s_waitcnt lgkmcnt(0)
	v_add_f32_e32 v4, 0, v4
	v_add_f32_e32 v4, v4, v5
	;; [unrolled: 1-line block ×3, first 2 shown]
	v_add_u32_e32 v4, 48, v8
	ds_read2st64_b32 v[4:5], v4 offset0:18 offset1:19
	v_mov_b32_e32 v3, 0
	s_mul_i32 s2, s18, 3
	v_lshl_add_u64 v[6:7], v[2:3], 2, s[0:1]
	v_add_u32_e32 v2, s2, v2
	global_store_dword v[6:7], v12, off
	v_lshl_add_u64 v[6:7], v[2:3], 2, s[0:1]
	s_waitcnt lgkmcnt(0)
	v_add_f32_e32 v4, 0, v4
	global_store_dword v[6:7], v9, off
	v_add_f32_e32 v6, v4, v5
	v_add_u32_e32 v4, 0x48, v8
	ds_read2st64_b32 v[4:5], v4 offset0:27 offset1:28
	v_add_u32_e32 v2, s2, v2
	v_add_f32_e32 v8, v6, v10
	v_lshl_add_u64 v[6:7], v[2:3], 2, s[0:1]
	v_add_u32_e32 v2, s2, v2
	s_waitcnt lgkmcnt(0)
	v_add_f32_e32 v4, 0, v4
	v_add_f32_e32 v4, v4, v5
	global_store_dword v[6:7], v8, off
	v_add_f32_e32 v6, v4, v11
	v_lshl_add_u64 v[4:5], v[2:3], 2, s[0:1]
	v_cmp_eq_u32_e32 vcc, 0, v82
	global_store_dword v[4:5], v6, off
	s_and_saveexec_b64 s[2:3], vcc
	s_cbranch_execz .LBB107_8
; %bb.7:
	v_add_u32_e32 v2, 0x60, v1
	ds_read2st64_b32 v[4:5], v2 offset0:36 offset1:37
	ds_read_b32 v2, v1 offset:9824
	v_mad_u64_u32 v[0:1], s[2:3], s18, 12, v[0:1]
	v_mov_b32_e32 v1, v3
	s_waitcnt lgkmcnt(1)
	v_add_f32_e32 v3, 0, v4
	v_add_f32_e32 v3, v3, v5
	s_waitcnt lgkmcnt(0)
	v_add_f32_e32 v2, v3, v2
	v_lshl_add_u64 v[0:1], v[0:1], 2, s[0:1]
	global_store_dword v[0:1], v2, off
.LBB107_8:
	s_endpgm
	.section	.rodata,"a",@progbits
	.p2align	6, 0x0
	.amdhsa_kernel _ZL9mul_mat_fI7__half2Li64ELi13ELi3ELb0EEvPKT_PKfPKiPfiiiiiiiiiiiiiiii
		.amdhsa_group_segment_fixed_size 0
		.amdhsa_private_segment_fixed_size 0
		.amdhsa_kernarg_size 96
		.amdhsa_user_sgpr_count 2
		.amdhsa_user_sgpr_dispatch_ptr 0
		.amdhsa_user_sgpr_queue_ptr 0
		.amdhsa_user_sgpr_kernarg_segment_ptr 1
		.amdhsa_user_sgpr_dispatch_id 0
		.amdhsa_user_sgpr_kernarg_preload_length 0
		.amdhsa_user_sgpr_kernarg_preload_offset 0
		.amdhsa_user_sgpr_private_segment_size 0
		.amdhsa_uses_dynamic_stack 0
		.amdhsa_enable_private_segment 0
		.amdhsa_system_sgpr_workgroup_id_x 1
		.amdhsa_system_sgpr_workgroup_id_y 1
		.amdhsa_system_sgpr_workgroup_id_z 1
		.amdhsa_system_sgpr_workgroup_info 0
		.amdhsa_system_vgpr_workitem_id 1
		.amdhsa_next_free_vgpr 132
		.amdhsa_next_free_sgpr 97
		.amdhsa_accum_offset 112
		.amdhsa_reserve_vcc 1
		.amdhsa_float_round_mode_32 0
		.amdhsa_float_round_mode_16_64 0
		.amdhsa_float_denorm_mode_32 3
		.amdhsa_float_denorm_mode_16_64 3
		.amdhsa_dx10_clamp 1
		.amdhsa_ieee_mode 1
		.amdhsa_fp16_overflow 0
		.amdhsa_tg_split 0
		.amdhsa_exception_fp_ieee_invalid_op 0
		.amdhsa_exception_fp_denorm_src 0
		.amdhsa_exception_fp_ieee_div_zero 0
		.amdhsa_exception_fp_ieee_overflow 0
		.amdhsa_exception_fp_ieee_underflow 0
		.amdhsa_exception_fp_ieee_inexact 0
		.amdhsa_exception_int_div_zero 0
	.end_amdhsa_kernel
	.section	.text._ZL9mul_mat_fI7__half2Li64ELi13ELi3ELb0EEvPKT_PKfPKiPfiiiiiiiiiiiiiiii,"axG",@progbits,_ZL9mul_mat_fI7__half2Li64ELi13ELi3ELb0EEvPKT_PKfPKiPfiiiiiiiiiiiiiiii,comdat
.Lfunc_end107:
	.size	_ZL9mul_mat_fI7__half2Li64ELi13ELi3ELb0EEvPKT_PKfPKiPfiiiiiiiiiiiiiiii, .Lfunc_end107-_ZL9mul_mat_fI7__half2Li64ELi13ELi3ELb0EEvPKT_PKfPKiPfiiiiiiiiiiiiiiii
                                        ; -- End function
	.set _ZL9mul_mat_fI7__half2Li64ELi13ELi3ELb0EEvPKT_PKfPKiPfiiiiiiiiiiiiiiii.num_vgpr, 112
	.set _ZL9mul_mat_fI7__half2Li64ELi13ELi3ELb0EEvPKT_PKfPKiPfiiiiiiiiiiiiiiii.num_agpr, 20
	.set _ZL9mul_mat_fI7__half2Li64ELi13ELi3ELb0EEvPKT_PKfPKiPfiiiiiiiiiiiiiiii.numbered_sgpr, 97
	.set _ZL9mul_mat_fI7__half2Li64ELi13ELi3ELb0EEvPKT_PKfPKiPfiiiiiiiiiiiiiiii.num_named_barrier, 0
	.set _ZL9mul_mat_fI7__half2Li64ELi13ELi3ELb0EEvPKT_PKfPKiPfiiiiiiiiiiiiiiii.private_seg_size, 0
	.set _ZL9mul_mat_fI7__half2Li64ELi13ELi3ELb0EEvPKT_PKfPKiPfiiiiiiiiiiiiiiii.uses_vcc, 1
	.set _ZL9mul_mat_fI7__half2Li64ELi13ELi3ELb0EEvPKT_PKfPKiPfiiiiiiiiiiiiiiii.uses_flat_scratch, 0
	.set _ZL9mul_mat_fI7__half2Li64ELi13ELi3ELb0EEvPKT_PKfPKiPfiiiiiiiiiiiiiiii.has_dyn_sized_stack, 0
	.set _ZL9mul_mat_fI7__half2Li64ELi13ELi3ELb0EEvPKT_PKfPKiPfiiiiiiiiiiiiiiii.has_recursion, 0
	.set _ZL9mul_mat_fI7__half2Li64ELi13ELi3ELb0EEvPKT_PKfPKiPfiiiiiiiiiiiiiiii.has_indirect_call, 0
	.section	.AMDGPU.csdata,"",@progbits
; Kernel info:
; codeLenInByte = 5312
; TotalNumSgprs: 103
; NumVgprs: 112
; NumAgprs: 20
; TotalNumVgprs: 132
; ScratchSize: 0
; MemoryBound: 0
; FloatMode: 240
; IeeeMode: 1
; LDSByteSize: 0 bytes/workgroup (compile time only)
; SGPRBlocks: 12
; VGPRBlocks: 16
; NumSGPRsForWavesPerEU: 103
; NumVGPRsForWavesPerEU: 132
; AccumOffset: 112
; Occupancy: 3
; WaveLimiterHint : 0
; COMPUTE_PGM_RSRC2:SCRATCH_EN: 0
; COMPUTE_PGM_RSRC2:USER_SGPR: 2
; COMPUTE_PGM_RSRC2:TRAP_HANDLER: 0
; COMPUTE_PGM_RSRC2:TGID_X_EN: 1
; COMPUTE_PGM_RSRC2:TGID_Y_EN: 1
; COMPUTE_PGM_RSRC2:TGID_Z_EN: 1
; COMPUTE_PGM_RSRC2:TIDIG_COMP_CNT: 1
; COMPUTE_PGM_RSRC3_GFX90A:ACCUM_OFFSET: 27
; COMPUTE_PGM_RSRC3_GFX90A:TG_SPLIT: 0
	.section	.text._ZL13mul_mat_f_idsI7__half2Li64ELi13ELi4EEvPKT_PKfPKiS7_S7_Pfiiiiiiiiiiiiii15HIP_vector_typeIjLj3EESA_,"axG",@progbits,_ZL13mul_mat_f_idsI7__half2Li64ELi13ELi4EEvPKT_PKfPKiS7_S7_Pfiiiiiiiiiiiiii15HIP_vector_typeIjLj3EESA_,comdat
	.globl	_ZL13mul_mat_f_idsI7__half2Li64ELi13ELi4EEvPKT_PKfPKiS7_S7_Pfiiiiiiiiiiiiii15HIP_vector_typeIjLj3EESA_ ; -- Begin function _ZL13mul_mat_f_idsI7__half2Li64ELi13ELi4EEvPKT_PKfPKiS7_S7_Pfiiiiiiiiiiiiii15HIP_vector_typeIjLj3EESA_
	.p2align	8
	.type	_ZL13mul_mat_f_idsI7__half2Li64ELi13ELi4EEvPKT_PKfPKiS7_S7_Pfiiiiiiiiiiiiii15HIP_vector_typeIjLj3EESA_,@function
_ZL13mul_mat_f_idsI7__half2Li64ELi13ELi4EEvPKT_PKfPKiS7_S7_Pfiiiiiiiiiiiiii15HIP_vector_typeIjLj3EESA_: ; @_ZL13mul_mat_f_idsI7__half2Li64ELi13ELi4EEvPKT_PKfPKiS7_S7_Pfiiiiiiiiiiiiii15HIP_vector_typeIjLj3EESA_
; %bb.0:
	s_load_dwordx2 s[6:7], s[0:1], 0x20
	s_mov_b32 s34, s3
	s_ashr_i32 s35, s3, 31
	s_lshl_b64 s[8:9], s[34:35], 2
	s_waitcnt lgkmcnt(0)
	s_add_u32 s6, s6, s8
	s_addc_u32 s7, s7, s9
	s_load_dwordx2 s[30:31], s[6:7], 0x0
	s_waitcnt lgkmcnt(0)
	s_sub_i32 s26, s31, s30
	s_add_i32 s3, s26, 12
	s_mul_hi_i32 s3, s3, 0x4ec4ec4f
	s_lshr_b32 s5, s3, 31
	s_ashr_i32 s3, s3, 2
	s_add_i32 s3, s3, s5
	s_cmp_ge_i32 s4, s3
	s_cbranch_scc1 .LBB108_59
; %bb.1:
	v_bfe_u32 v2, v0, 10, 10
	v_lshlrev_b32_e32 v70, 6, v2
	v_and_b32_e32 v3, 0x3ff, v0
	s_load_dwordx4 s[12:15], s[0:1], 0x30
	s_load_dwordx2 s[20:21], s[0:1], 0x40
	s_load_dwordx4 s[8:11], s[0:1], 0x4c
	s_load_dwordx4 s[16:19], s[0:1], 0x68
	s_load_dwordx2 s[24:25], s[0:1], 0x78
	v_add_u32_e32 v72, v70, v3
	s_ashr_i32 s31, s30, 31
	s_waitcnt lgkmcnt(0)
	v_cmp_le_i32_e32 vcc, s12, v72
	v_and_b32_e32 v71, 15, v3
	s_and_saveexec_b64 s[6:7], vcc
	s_xor_b64 s[6:7], exec, s[6:7]
; %bb.2:
	v_and_b32_e32 v71, 15, v3
                                        ; implicit-def: $vgpr72
; %bb.3:
	s_or_saveexec_b64 s[36:37], s[6:7]
	s_load_dwordx2 s[22:23], s[0:1], 0x18
	s_load_dwordx2 s[6:7], s[0:1], 0x28
                                        ; implicit-def: $vgpr102 : SGPR spill to VGPR lane
	s_lshl_b32 s11, s2, 6
	s_mul_i32 s28, s4, 13
	v_mov_b32_e32 v1, 0
	v_accvgpr_write_b32 a4, 0
	s_waitcnt lgkmcnt(0)
	v_writelane_b32 v102, s6, 0
	v_accvgpr_write_b32 a5, 0
	v_accvgpr_write_b32 a6, 0
	;; [unrolled: 1-line block ×15, first 2 shown]
	v_writelane_b32 v102, s7, 1
	s_xor_b64 exec, exec, s[36:37]
	s_cbranch_execz .LBB108_46
; %bb.4:
	s_load_dwordx4 s[4:7], s[0:1], 0x0
	s_load_dwordx2 s[2:3], s[0:1], 0x10
	v_writelane_b32 v102, s36, 2
	s_mul_i32 s0, s8, s34
	s_ashr_i32 s1, s0, 31
	v_writelane_b32 v102, s37, 3
	v_writelane_b32 v102, s22, 4
	s_lshl_b64 s[64:65], s[0:1], 2
	s_waitcnt lgkmcnt(0)
	s_add_u32 s0, s4, s64
	v_writelane_b32 v102, s23, 5
	s_mul_i32 s22, s15, s11
	v_writelane_b32 v102, s24, 6
	s_addc_u32 s1, s5, s65
	s_ashr_i32 s23, s22, 31
	v_writelane_b32 v102, s25, 7
	s_lshl_b64 s[66:67], s[22:23], 2
	v_writelane_b32 v102, s11, 8
	s_add_u32 s0, s0, s66
	s_addc_u32 s1, s1, s67
	v_writelane_b32 v102, s30, 9
	s_lshl_b64 s[22:23], s[30:31], 2
	s_add_u32 s8, s2, s22
	s_addc_u32 s11, s3, s23
	s_movk_i32 s2, 0x1080
	s_cmp_lt_i32 s28, s26
	v_writelane_b32 v102, s31, 10
	v_mad_u32_u24 v0, v2, s2, 0
	s_cselect_b64 s[2:3], -1, 0
	v_writelane_b32 v102, s2, 11
	s_ashr_i32 s29, s28, 31
	s_mov_b32 s22, s15
	v_writelane_b32 v102, s3, 12
	s_lshl_b64 s[2:3], s[28:29], 2
	s_add_u32 s36, s8, s2
	s_addc_u32 s37, s11, s3
	s_add_i32 s2, s28, 1
	s_cmp_lt_i32 s2, s26
	s_cselect_b64 s[2:3], -1, 0
	v_writelane_b32 v102, s2, 13
	v_lshrrev_b32_e32 v6, 1, v3
	v_lshlrev_b32_e32 v4, 2, v3
	v_writelane_b32 v102, s3, 14
	s_add_i32 s2, s28, 2
	s_cmp_lt_i32 s2, s26
	s_cselect_b64 s[2:3], -1, 0
	v_writelane_b32 v102, s2, 15
	v_mul_u32_u24_e32 v5, 0x108, v71
	v_and_b32_e32 v6, 0x1f8, v6
	v_writelane_b32 v102, s3, 16
	s_add_i32 s2, s28, 3
	s_cmp_lt_i32 s2, s26
	s_cselect_b64 s[2:3], -1, 0
	v_writelane_b32 v102, s2, 17
	v_add_u32_e32 v73, v0, v4
	v_add3_u32 v74, v0, v5, v6
	v_writelane_b32 v102, s3, 18
	s_add_i32 s2, s28, 4
	s_cmp_lt_i32 s2, s26
	s_cselect_b64 s[2:3], -1, 0
	v_writelane_b32 v102, s2, 19
	v_lshlrev_b32_e32 v0, 8, v2
	v_mov_b32_e32 v5, v1
	v_writelane_b32 v102, s3, 20
	s_add_i32 s2, s28, 5
	s_cmp_lt_i32 s2, s26
	s_cselect_b64 s[2:3], -1, 0
	v_writelane_b32 v102, s2, 21
	s_mul_i32 s8, s15, 3
	s_mul_i32 s69, s15, 5
	v_writelane_b32 v102, s3, 22
	s_add_i32 s2, s28, 6
	s_cmp_lt_i32 s2, s26
	s_cselect_b64 s[48:49], -1, 0
	s_add_i32 s2, s28, 7
	s_cmp_lt_i32 s2, s26
	s_cselect_b64 s[50:51], -1, 0
	;; [unrolled: 3-line block ×5, first 2 shown]
	s_add_i32 s2, s28, 11
	s_cmp_lt_i32 s2, s26
	s_mov_b32 s2, s28
	v_writelane_b32 v102, s2, 23
	s_cselect_b64 s[58:59], -1, 0
	s_mul_i32 s70, s15, 6
	v_writelane_b32 v102, s3, 24
	s_add_i32 s2, s28, 12
	s_cmp_lt_i32 s2, s26
	s_cselect_b64 s[60:61], -1, 0
	s_ashr_i32 s23, s15, 31
	s_add_i32 s3, s15, s15
	s_lshl_b32 s68, s15, 2
	s_lshl_b32 s72, s15, 3
	;; [unrolled: 1-line block ×4, first 2 shown]
	s_lshl_b64 s[62:63], s[22:23], 2
	s_add_u32 s22, s64, s66
	s_addc_u32 s23, s65, s67
	v_lshl_add_u64 v[6:7], s[22:23], 0, v[0:1]
	v_lshl_add_u64 v[4:5], v[6:7], 0, v[4:5]
	v_writelane_b32 v102, s26, 25
	s_mul_i32 s71, s15, 7
	s_mul_i32 s73, s15, 9
	;; [unrolled: 1-line block ×20, first 2 shown]
	v_accvgpr_write_b32 a15, 0
	v_accvgpr_write_b32 a14, 0
	;; [unrolled: 1-line block ×16, first 2 shown]
	v_lshl_add_u64 v[4:5], s[4:5], 0, v[4:5]
	s_mul_i32 s90, s15, 29
	s_mul_i32 s91, s15, 30
	;; [unrolled: 1-line block ×34, first 2 shown]
	s_mov_b32 s46, 0x5040100
	s_mov_b64 s[4:5], 0
	s_branch .LBB108_6
.LBB108_5:                              ;   in Loop: Header=BB108_6 Depth=1
	v_perm_b32 v0, v0, v75, s46
	v_perm_b32 v75, v77, v78, s46
	ds_write2_b32 v73, v0, v75 offset1:66
	v_perm_b32 v0, v79, v76, s46
	v_perm_b32 v75, v81, v82, s46
	ds_write2_b32 v73, v0, v75 offset0:132 offset1:198
	v_perm_b32 v0, v83, v80, s46
	v_perm_b32 v75, v85, v86, s46
	v_add_u32_e32 v76, 0x400, v73
	ds_write2_b32 v76, v0, v75 offset0:8 offset1:74
	v_perm_b32 v0, v87, v84, s46
	v_perm_b32 v75, v89, v90, s46
	ds_write2_b32 v76, v0, v75 offset0:140 offset1:206
	v_perm_b32 v0, v91, v88, s46
	v_perm_b32 v75, v93, v94, s46
	v_add_u32_e32 v76, 0x800, v73
	ds_write2_b32 v76, v0, v75 offset0:16 offset1:82
	v_perm_b32 v0, v95, v92, s46
	v_perm_b32 v75, v97, v98, s46
	ds_write2_b32 v76, v0, v75 offset0:148 offset1:214
	v_perm_b32 v0, v99, v96, s46
	v_add_u32_e32 v75, 0xc00, v73
	ds_write2_b32 v75, v0, v1 offset0:24 offset1:90
	ds_write2_b32 v75, v1, v1 offset0:156 offset1:222
	ds_read2_b64 v[76:79], v74 offset1:4
	s_waitcnt lgkmcnt(0)
	v_mfma_f32_16x16x16_f16 a[4:7], v[12:13], v[76:77], a[4:7]
	v_add_u32_e32 v72, 0x100, v72
	s_mov_b64 vcc, 0x400
	v_lshl_add_u64 v[4:5], v[4:5], 0, vcc
	v_mfma_f32_16x16x16_f16 a[0:3], v[38:39], v[76:77], a[0:3]
	v_cmp_le_i32_e32 vcc, s12, v72
	s_or_b64 s[4:5], vcc, s[4:5]
	v_mfma_f32_16x16x16_f16 a[8:11], v[52:53], v[76:77], a[8:11]
	v_mfma_f32_16x16x16_f16 a[12:15], v[68:69], v[76:77], a[12:15]
	;; [unrolled: 1-line block ×3, first 2 shown]
	ds_read2_b64 v[10:13], v74 offset0:8 offset1:12
	v_mfma_f32_16x16x16_f16 a[0:3], v[36:37], v[78:79], a[0:3]
	v_mfma_f32_16x16x16_f16 a[8:11], v[50:51], v[78:79], a[8:11]
	;; [unrolled: 1-line block ×3, first 2 shown]
	s_waitcnt lgkmcnt(0)
	v_mfma_f32_16x16x16_f16 a[4:7], v[8:9], v[10:11], a[4:7]
	v_mfma_f32_16x16x16_f16 a[0:3], v[32:33], v[10:11], a[0:3]
	;; [unrolled: 1-line block ×5, first 2 shown]
	ds_read2_b64 v[6:9], v74 offset0:16 offset1:20
	v_mfma_f32_16x16x16_f16 a[0:3], v[30:31], v[12:13], a[0:3]
	v_mfma_f32_16x16x16_f16 a[8:11], v[46:47], v[12:13], a[8:11]
	;; [unrolled: 1-line block ×3, first 2 shown]
	s_waitcnt lgkmcnt(0)
	v_mfma_f32_16x16x16_f16 a[4:7], v[20:21], v[6:7], a[4:7]
	v_mfma_f32_16x16x16_f16 a[0:3], v[28:29], v[6:7], a[0:3]
	;; [unrolled: 1-line block ×8, first 2 shown]
	ds_read2_b64 v[6:9], v74 offset0:24 offset1:28
	s_waitcnt lgkmcnt(0)
	v_mfma_f32_16x16x16_f16 a[4:7], v[16:17], v[6:7], a[4:7]
	v_mfma_f32_16x16x16_f16 a[0:3], v[24:25], v[6:7], a[0:3]
	;; [unrolled: 1-line block ×8, first 2 shown]
	s_andn2_b64 exec, exec, s[4:5]
	s_cbranch_execz .LBB108_45
.LBB108_6:                              ; =>This Inner Loop Header: Depth=1
	v_lshl_add_u64 v[6:7], v[4:5], 0, s[62:63]
	global_load_dword v0, v[4:5], off
	global_load_dword v22, v[6:7], off
	v_add_u32_e32 v6, s3, v72
	v_add_u32_e32 v10, s68, v72
	;; [unrolled: 1-line block ×4, first 2 shown]
	v_ashrrev_i32_e32 v7, 31, v6
	v_add_u32_e32 v8, s8, v72
	v_ashrrev_i32_e32 v11, 31, v10
	v_ashrrev_i32_e32 v13, 31, v12
	v_add_u32_e32 v14, s70, v72
	v_add_u32_e32 v16, s71, v72
	v_ashrrev_i32_e32 v19, 31, v18
	v_add_u32_e32 v20, s73, v72
	v_lshl_add_u64 v[6:7], v[6:7], 2, s[0:1]
	v_ashrrev_i32_e32 v9, 31, v8
	v_lshl_add_u64 v[10:11], v[10:11], 2, s[0:1]
	v_lshl_add_u64 v[12:13], v[12:13], 2, s[0:1]
	v_ashrrev_i32_e32 v15, 31, v14
	v_ashrrev_i32_e32 v17, 31, v16
	v_lshl_add_u64 v[18:19], v[18:19], 2, s[0:1]
	v_ashrrev_i32_e32 v21, 31, v20
	v_lshl_add_u64 v[8:9], v[8:9], 2, s[0:1]
	v_lshl_add_u64 v[14:15], v[14:15], 2, s[0:1]
	;; [unrolled: 1-line block ×4, first 2 shown]
	global_load_dword v23, v[6:7], off
	global_load_dword v24, v[8:9], off
	;; [unrolled: 1-line block ×6, first 2 shown]
	s_nop 0
	global_load_dword v18, v[18:19], off
	s_nop 0
	global_load_dword v19, v[20:21], off
	v_add_u32_e32 v6, s74, v72
	v_add_u32_e32 v10, s76, v72
	;; [unrolled: 1-line block ×3, first 2 shown]
	v_ashrrev_i32_e32 v7, 31, v6
	v_add_u32_e32 v8, s75, v72
	v_ashrrev_i32_e32 v11, 31, v10
	v_ashrrev_i32_e32 v13, 31, v12
	v_add_u32_e32 v14, s78, v72
	v_add_u32_e32 v16, s79, v72
	v_lshl_add_u64 v[6:7], v[6:7], 2, s[0:1]
	v_ashrrev_i32_e32 v9, 31, v8
	v_lshl_add_u64 v[10:11], v[10:11], 2, s[0:1]
	v_lshl_add_u64 v[12:13], v[12:13], 2, s[0:1]
	v_ashrrev_i32_e32 v15, 31, v14
	v_ashrrev_i32_e32 v17, 31, v16
	v_lshl_add_u64 v[8:9], v[8:9], 2, s[0:1]
	v_lshl_add_u64 v[14:15], v[14:15], 2, s[0:1]
	;; [unrolled: 1-line block ×3, first 2 shown]
	global_load_dword v20, v[6:7], off
	global_load_dword v21, v[8:9], off
	s_nop 0
	global_load_dword v10, v[10:11], off
	s_nop 0
	;; [unrolled: 2-line block ×3, first 2 shown]
	global_load_dword v12, v[14:15], off
	global_load_dword v13, v[16:17], off
	v_add_u32_e32 v6, s80, v72
	v_add_u32_e32 v8, s81, v72
	v_ashrrev_i32_e32 v7, 31, v6
	v_ashrrev_i32_e32 v9, 31, v8
	v_lshl_add_u64 v[6:7], v[6:7], 2, s[0:1]
	v_add_u32_e32 v14, s82, v72
	v_lshl_add_u64 v[8:9], v[8:9], 2, s[0:1]
	global_load_dword v30, v[6:7], off
	global_load_dword v31, v[8:9], off
	v_ashrrev_i32_e32 v15, 31, v14
	v_add_u32_e32 v16, s83, v72
	v_lshl_add_u64 v[14:15], v[14:15], 2, s[0:1]
	v_ashrrev_i32_e32 v17, 31, v16
	v_lshl_add_u64 v[16:17], v[16:17], 2, s[0:1]
	v_readlane_b32 vcc_lo, v102, 11
	v_readlane_b32 vcc_hi, v102, 12
	s_andn2_b64 vcc, exec, vcc
	s_waitcnt vmcnt(17)
	ds_write_b32 v73, v0
	s_waitcnt vmcnt(16)
	ds_write_b32 v73, v22 offset:264
	s_waitcnt vmcnt(15)
	ds_write_b32 v73, v23 offset:528
	;; [unrolled: 2-line block ×15, first 2 shown]
	v_add_u32_e32 v18, s84, v72
	v_add_u32_e32 v20, s64, v72
	;; [unrolled: 1-line block ×6, first 2 shown]
	v_ashrrev_i32_e32 v19, 31, v18
	v_ashrrev_i32_e32 v21, 31, v20
	;; [unrolled: 1-line block ×6, first 2 shown]
	ds_read_b64 v[12:13], v74
	ds_read_b64 v[10:11], v74 offset:32
	ds_read_b64 v[8:9], v74 offset:64
	;; [unrolled: 1-line block ×3, first 2 shown]
	v_lshl_add_u64 v[18:19], v[18:19], 2, s[0:1]
	v_lshl_add_u64 v[20:21], v[20:21], 2, s[0:1]
	v_lshl_add_u64 v[22:23], v[22:23], 2, s[0:1]
	v_lshl_add_u64 v[24:25], v[24:25], 2, s[0:1]
	v_lshl_add_u64 v[26:27], v[26:27], 2, s[0:1]
	v_lshl_add_u64 v[28:29], v[28:29], 2, s[0:1]
	global_load_dword v0, v[14:15], off
	global_load_dword v32, v[16:17], off
	global_load_dword v33, v[18:19], off
	global_load_dword v34, v[20:21], off
	global_load_dword v35, v[22:23], off
	global_load_dword v36, v[24:25], off
	global_load_dword v37, v[26:27], off
	global_load_dword v38, v[28:29], off
	v_add_u32_e32 v14, s87, v72
	v_ashrrev_i32_e32 v15, 31, v14
	v_add_u32_e32 v16, s88, v72
	v_add_u32_e32 v18, s89, v72
	v_add_u32_e32 v20, s90, v72
	v_add_u32_e32 v22, s91, v72
	v_add_u32_e32 v24, s92, v72
	v_add_u32_e32 v26, s85, v72
	v_add_u32_e32 v28, s93, v72
	v_lshl_add_u64 v[14:15], v[14:15], 2, s[0:1]
	v_ashrrev_i32_e32 v17, 31, v16
	v_ashrrev_i32_e32 v19, 31, v18
	v_ashrrev_i32_e32 v21, 31, v20
	v_ashrrev_i32_e32 v23, 31, v22
	v_ashrrev_i32_e32 v25, 31, v24
	v_ashrrev_i32_e32 v27, 31, v26
	v_ashrrev_i32_e32 v29, 31, v28
	v_lshl_add_u64 v[16:17], v[16:17], 2, s[0:1]
	v_lshl_add_u64 v[18:19], v[18:19], 2, s[0:1]
	v_lshl_add_u64 v[20:21], v[20:21], 2, s[0:1]
	v_lshl_add_u64 v[22:23], v[22:23], 2, s[0:1]
	v_lshl_add_u64 v[24:25], v[24:25], 2, s[0:1]
	v_lshl_add_u64 v[26:27], v[26:27], 2, s[0:1]
	v_lshl_add_u64 v[28:29], v[28:29], 2, s[0:1]
	global_load_dword v39, v[14:15], off
	global_load_dword v40, v[16:17], off
	global_load_dword v41, v[18:19], off
	global_load_dword v42, v[20:21], off
	global_load_dword v43, v[22:23], off
	global_load_dword v44, v[24:25], off
	global_load_dword v45, v[26:27], off
	global_load_dword v46, v[28:29], off
	v_add_u32_e32 v14, s94, v72
	v_ashrrev_i32_e32 v15, 31, v14
	v_add_u32_e32 v16, s95, v72
	v_add_u32_e32 v18, s96, v72
	v_add_u32_e32 v20, s97, v72
	v_add_u32_e32 v22, s98, v72
	v_add_u32_e32 v24, s99, v72
	v_add_u32_e32 v26, s24, v72
	v_add_u32_e32 v28, s25, v72
	v_lshl_add_u64 v[14:15], v[14:15], 2, s[0:1]
	v_ashrrev_i32_e32 v17, 31, v16
	v_ashrrev_i32_e32 v19, 31, v18
	v_ashrrev_i32_e32 v21, 31, v20
	v_ashrrev_i32_e32 v23, 31, v22
	v_ashrrev_i32_e32 v25, 31, v24
	v_ashrrev_i32_e32 v27, 31, v26
	v_ashrrev_i32_e32 v29, 31, v28
	v_lshl_add_u64 v[16:17], v[16:17], 2, s[0:1]
	;; [unrolled: 32-line block ×4, first 2 shown]
	v_lshl_add_u64 v[18:19], v[18:19], 2, s[0:1]
	v_lshl_add_u64 v[20:21], v[20:21], 2, s[0:1]
	;; [unrolled: 1-line block ×6, first 2 shown]
	global_load_dword v63, v[14:15], off
	global_load_dword v64, v[16:17], off
	;; [unrolled: 1-line block ×8, first 2 shown]
	v_add_u32_e32 v14, s41, v72
	v_ashrrev_i32_e32 v15, 31, v14
	v_add_u32_e32 v16, s42, v72
	v_add_u32_e32 v18, s43, v72
	;; [unrolled: 1-line block ×5, first 2 shown]
	v_lshl_add_u64 v[14:15], v[14:15], 2, s[0:1]
	v_ashrrev_i32_e32 v17, 31, v16
	v_ashrrev_i32_e32 v19, 31, v18
	;; [unrolled: 1-line block ×5, first 2 shown]
	v_lshl_add_u64 v[16:17], v[16:17], 2, s[0:1]
	v_lshl_add_u64 v[18:19], v[18:19], 2, s[0:1]
	;; [unrolled: 1-line block ×5, first 2 shown]
	global_load_dword v76, v[14:15], off
	global_load_dword v77, v[16:17], off
	global_load_dword v78, v[18:19], off
	global_load_dword v79, v[20:21], off
	global_load_dword v80, v[22:23], off
	global_load_dword v81, v[24:25], off
	ds_read_b64 v[20:21], v74 offset:128
	ds_read_b64 v[18:19], v74 offset:160
	ds_read_b64 v[16:17], v74 offset:192
	ds_read_b64 v[14:15], v74 offset:224
	s_waitcnt vmcnt(47)
	ds_write_b32 v73, v30
	s_waitcnt vmcnt(46)
	ds_write_b32 v73, v31 offset:264
	s_waitcnt vmcnt(45)
	ds_write_b32 v73, v0 offset:528
	s_waitcnt vmcnt(44)
	ds_write_b32 v73, v32 offset:792
	s_waitcnt vmcnt(43)
	ds_write_b32 v73, v33 offset:1056
	s_waitcnt vmcnt(42)
	ds_write_b32 v73, v34 offset:1320
	s_waitcnt vmcnt(41)
	ds_write_b32 v73, v35 offset:1584
	s_waitcnt vmcnt(40)
	ds_write_b32 v73, v36 offset:1848
	s_waitcnt vmcnt(39)
	ds_write_b32 v73, v37 offset:2112
	s_waitcnt vmcnt(38)
	ds_write_b32 v73, v38 offset:2376
	s_waitcnt vmcnt(37)
	ds_write_b32 v73, v39 offset:2640
	s_waitcnt vmcnt(36)
	ds_write_b32 v73, v40 offset:2904
	s_waitcnt vmcnt(35)
	ds_write_b32 v73, v41 offset:3168
	s_waitcnt vmcnt(34)
	ds_write_b32 v73, v42 offset:3432
	s_waitcnt vmcnt(33)
	ds_write_b32 v73, v43 offset:3696
	s_waitcnt vmcnt(32)
	ds_write_b32 v73, v44 offset:3960
	ds_read_b64 v[38:39], v74
	ds_read_b64 v[36:37], v74 offset:32
	ds_read_b64 v[32:33], v74 offset:64
	ds_read_b64 v[30:31], v74 offset:96
	ds_read_b64 v[28:29], v74 offset:128
	ds_read_b64 v[26:27], v74 offset:160
	ds_read_b64 v[24:25], v74 offset:192
	ds_read_b64 v[22:23], v74 offset:224
	s_waitcnt vmcnt(31)
	ds_write_b32 v73, v45
	s_waitcnt vmcnt(30)
	ds_write_b32 v73, v46 offset:264
	s_waitcnt vmcnt(29)
	ds_write_b32 v73, v47 offset:528
	s_waitcnt vmcnt(28)
	ds_write_b32 v73, v48 offset:792
	s_waitcnt vmcnt(27)
	ds_write_b32 v73, v49 offset:1056
	s_waitcnt vmcnt(26)
	ds_write_b32 v73, v50 offset:1320
	s_waitcnt vmcnt(25)
	ds_write_b32 v73, v51 offset:1584
	s_waitcnt vmcnt(24)
	ds_write_b32 v73, v52 offset:1848
	s_waitcnt vmcnt(23)
	ds_write_b32 v73, v53 offset:2112
	s_waitcnt vmcnt(22)
	ds_write_b32 v73, v54 offset:2376
	s_waitcnt vmcnt(21)
	ds_write_b32 v73, v55 offset:2640
	s_waitcnt vmcnt(20)
	ds_write_b32 v73, v56 offset:2904
	s_waitcnt vmcnt(19)
	ds_write_b32 v73, v57 offset:3168
	s_waitcnt vmcnt(18)
	ds_write_b32 v73, v58 offset:3432
	s_waitcnt vmcnt(17)
	ds_write_b32 v73, v59 offset:3696
	s_waitcnt vmcnt(16)
	ds_write_b32 v73, v60 offset:3960
	ds_read_b64 v[52:53], v74
	ds_read_b64 v[50:51], v74 offset:32
	ds_read_b64 v[48:49], v74 offset:64
	ds_read_b64 v[46:47], v74 offset:96
	;; [unrolled: 40-line block ×3, first 2 shown]
	ds_read_b64 v[64:65], v74 offset:128
	ds_read_b64 v[60:61], v74 offset:160
	;; [unrolled: 1-line block ×4, first 2 shown]
	v_mov_b32_e32 v75, 0
	v_mov_b32_e32 v0, 0
	s_cbranch_vccnz .LBB108_9
; %bb.7:                                ;   in Loop: Header=BB108_6 Depth=1
	s_load_dword s47, s[36:37], 0x0
	v_mov_b32_e32 v0, 0
	v_mov_b32_e32 v75, 0
	s_waitcnt lgkmcnt(0)
	s_mul_hi_u32 vcc_lo, s47, s16
	s_add_i32 vcc_lo, s47, vcc_lo
	s_lshr_b32 vcc_lo, vcc_lo, s17
	s_cmp_ge_i32 vcc_lo, s13
	s_cbranch_scc1 .LBB108_9
; %bb.8:                                ;   in Loop: Header=BB108_6 Depth=1
	s_mul_i32 vcc_hi, vcc_lo, s18
	s_sub_i32 s47, s47, vcc_hi
	s_mul_i32 vcc_lo, vcc_lo, s20
	s_mul_i32 s47, s47, s9
	v_add_u32_e32 v0, vcc_lo, v72
	v_lshl_add_u32 v76, v0, 1, s47
	v_ashrrev_i32_e32 v77, 31, v76
	v_lshl_add_u64 v[76:77], v[76:77], 2, s[6:7]
	global_load_dwordx2 v[76:77], v[76:77], off
	s_waitcnt vmcnt(0)
	v_cvt_f16_f32_e32 v75, v76
	v_cvt_f16_f32_e32 v0, v77
.LBB108_9:                              ;   in Loop: Header=BB108_6 Depth=1
	v_readlane_b32 vcc_lo, v102, 13
	v_readlane_b32 vcc_hi, v102, 14
	v_mov_b32_e32 v76, 0
	s_andn2_b64 vcc, exec, vcc
	v_mov_b32_e32 v78, 0
	v_mov_b32_e32 v77, 0
	s_cbranch_vccnz .LBB108_12
; %bb.10:                               ;   in Loop: Header=BB108_6 Depth=1
	s_load_dword s47, s[36:37], 0x4
	v_mov_b32_e32 v77, 0
	v_mov_b32_e32 v78, 0
	s_waitcnt lgkmcnt(0)
	s_mul_hi_u32 vcc_lo, s47, s16
	s_add_i32 vcc_lo, s47, vcc_lo
	s_lshr_b32 vcc_lo, vcc_lo, s17
	s_cmp_ge_i32 vcc_lo, s13
	s_cbranch_scc1 .LBB108_12
; %bb.11:                               ;   in Loop: Header=BB108_6 Depth=1
	s_mul_i32 vcc_hi, vcc_lo, s18
	s_sub_i32 s47, s47, vcc_hi
	s_mul_i32 vcc_lo, vcc_lo, s20
	s_mul_i32 s47, s47, s9
	v_add_u32_e32 v77, vcc_lo, v72
	v_lshl_add_u32 v78, v77, 1, s47
	v_ashrrev_i32_e32 v79, 31, v78
	v_lshl_add_u64 v[78:79], v[78:79], 2, s[6:7]
	global_load_dwordx2 v[78:79], v[78:79], off
	s_waitcnt vmcnt(0)
	v_cvt_f16_f32_e32 v78, v78
	v_cvt_f16_f32_e32 v77, v79
.LBB108_12:                             ;   in Loop: Header=BB108_6 Depth=1
	v_readlane_b32 vcc_lo, v102, 15
	v_readlane_b32 vcc_hi, v102, 16
	s_andn2_b64 vcc, exec, vcc
	v_mov_b32_e32 v79, 0
	s_cbranch_vccnz .LBB108_15
; %bb.13:                               ;   in Loop: Header=BB108_6 Depth=1
	s_load_dword s47, s[36:37], 0x8
	v_mov_b32_e32 v79, 0
	v_mov_b32_e32 v76, 0
	s_waitcnt lgkmcnt(0)
	s_mul_hi_u32 vcc_lo, s47, s16
	s_add_i32 vcc_lo, s47, vcc_lo
	s_lshr_b32 vcc_lo, vcc_lo, s17
	s_cmp_ge_i32 vcc_lo, s13
	s_cbranch_scc1 .LBB108_15
; %bb.14:                               ;   in Loop: Header=BB108_6 Depth=1
	s_mul_i32 vcc_hi, vcc_lo, s18
	s_sub_i32 s47, s47, vcc_hi
	s_mul_i32 vcc_lo, vcc_lo, s20
	s_mul_i32 s47, s47, s9
	v_add_u32_e32 v76, vcc_lo, v72
	v_lshl_add_u32 v80, v76, 1, s47
	v_ashrrev_i32_e32 v81, 31, v80
	v_lshl_add_u64 v[80:81], v[80:81], 2, s[6:7]
	global_load_dwordx2 v[80:81], v[80:81], off
	s_waitcnt vmcnt(0)
	v_cvt_f16_f32_e32 v76, v80
	v_cvt_f16_f32_e32 v79, v81
.LBB108_15:                             ;   in Loop: Header=BB108_6 Depth=1
	v_readlane_b32 vcc_lo, v102, 17
	v_readlane_b32 vcc_hi, v102, 18
	v_mov_b32_e32 v80, 0
	s_andn2_b64 vcc, exec, vcc
	v_mov_b32_e32 v82, 0
	v_mov_b32_e32 v81, 0
	s_cbranch_vccnz .LBB108_18
; %bb.16:                               ;   in Loop: Header=BB108_6 Depth=1
	s_load_dword s47, s[36:37], 0xc
	v_mov_b32_e32 v81, 0
	v_mov_b32_e32 v82, 0
	s_waitcnt lgkmcnt(0)
	s_mul_hi_u32 vcc_lo, s47, s16
	s_add_i32 vcc_lo, s47, vcc_lo
	s_lshr_b32 vcc_lo, vcc_lo, s17
	s_cmp_ge_i32 vcc_lo, s13
	s_cbranch_scc1 .LBB108_18
; %bb.17:                               ;   in Loop: Header=BB108_6 Depth=1
	s_mul_i32 vcc_hi, vcc_lo, s18
	s_sub_i32 s47, s47, vcc_hi
	s_mul_i32 vcc_lo, vcc_lo, s20
	s_mul_i32 s47, s47, s9
	v_add_u32_e32 v81, vcc_lo, v72
	v_lshl_add_u32 v82, v81, 1, s47
	v_ashrrev_i32_e32 v83, 31, v82
	v_lshl_add_u64 v[82:83], v[82:83], 2, s[6:7]
	global_load_dwordx2 v[82:83], v[82:83], off
	s_waitcnt vmcnt(0)
	v_cvt_f16_f32_e32 v82, v82
	v_cvt_f16_f32_e32 v81, v83
.LBB108_18:                             ;   in Loop: Header=BB108_6 Depth=1
	v_readlane_b32 vcc_lo, v102, 19
	v_readlane_b32 vcc_hi, v102, 20
	s_andn2_b64 vcc, exec, vcc
	v_mov_b32_e32 v83, 0
	s_cbranch_vccnz .LBB108_21
; %bb.19:                               ;   in Loop: Header=BB108_6 Depth=1
	s_load_dword s47, s[36:37], 0x10
	v_mov_b32_e32 v83, 0
	v_mov_b32_e32 v80, 0
	s_waitcnt lgkmcnt(0)
	s_mul_hi_u32 vcc_lo, s47, s16
	s_add_i32 vcc_lo, s47, vcc_lo
	s_lshr_b32 vcc_lo, vcc_lo, s17
	s_cmp_ge_i32 vcc_lo, s13
	s_cbranch_scc1 .LBB108_21
; %bb.20:                               ;   in Loop: Header=BB108_6 Depth=1
	s_mul_i32 vcc_hi, vcc_lo, s18
	s_sub_i32 s47, s47, vcc_hi
	s_mul_i32 vcc_lo, vcc_lo, s20
	s_mul_i32 s47, s47, s9
	v_add_u32_e32 v80, vcc_lo, v72
	v_lshl_add_u32 v84, v80, 1, s47
	v_ashrrev_i32_e32 v85, 31, v84
	v_lshl_add_u64 v[84:85], v[84:85], 2, s[6:7]
	global_load_dwordx2 v[84:85], v[84:85], off
	s_waitcnt vmcnt(0)
	v_cvt_f16_f32_e32 v80, v84
	v_cvt_f16_f32_e32 v83, v85
.LBB108_21:                             ;   in Loop: Header=BB108_6 Depth=1
	v_readlane_b32 vcc_lo, v102, 21
	v_readlane_b32 vcc_hi, v102, 22
	v_mov_b32_e32 v84, 0
	s_andn2_b64 vcc, exec, vcc
	v_mov_b32_e32 v86, 0
	v_mov_b32_e32 v85, 0
	s_cbranch_vccnz .LBB108_24
; %bb.22:                               ;   in Loop: Header=BB108_6 Depth=1
	s_load_dword s47, s[36:37], 0x14
	v_mov_b32_e32 v85, 0
	v_mov_b32_e32 v86, 0
	s_waitcnt lgkmcnt(0)
	s_mul_hi_u32 vcc_lo, s47, s16
	s_add_i32 vcc_lo, s47, vcc_lo
	s_lshr_b32 vcc_lo, vcc_lo, s17
	s_cmp_ge_i32 vcc_lo, s13
	s_cbranch_scc1 .LBB108_24
; %bb.23:                               ;   in Loop: Header=BB108_6 Depth=1
	s_mul_i32 vcc_hi, vcc_lo, s18
	s_sub_i32 s47, s47, vcc_hi
	s_mul_i32 vcc_lo, vcc_lo, s20
	s_mul_i32 s47, s47, s9
	v_add_u32_e32 v85, vcc_lo, v72
	v_lshl_add_u32 v86, v85, 1, s47
	v_ashrrev_i32_e32 v87, 31, v86
	v_lshl_add_u64 v[86:87], v[86:87], 2, s[6:7]
	global_load_dwordx2 v[86:87], v[86:87], off
	s_waitcnt vmcnt(0)
	v_cvt_f16_f32_e32 v86, v86
	v_cvt_f16_f32_e32 v85, v87
.LBB108_24:                             ;   in Loop: Header=BB108_6 Depth=1
	s_andn2_b64 vcc, exec, s[48:49]
	v_mov_b32_e32 v87, 0
	s_cbranch_vccnz .LBB108_27
; %bb.25:                               ;   in Loop: Header=BB108_6 Depth=1
	s_load_dword s47, s[36:37], 0x18
	v_mov_b32_e32 v87, 0
	v_mov_b32_e32 v84, 0
	s_waitcnt lgkmcnt(0)
	s_mul_hi_u32 vcc_lo, s47, s16
	s_add_i32 vcc_lo, s47, vcc_lo
	s_lshr_b32 vcc_lo, vcc_lo, s17
	s_cmp_ge_i32 vcc_lo, s13
	s_cbranch_scc1 .LBB108_27
; %bb.26:                               ;   in Loop: Header=BB108_6 Depth=1
	s_mul_i32 vcc_hi, vcc_lo, s18
	s_sub_i32 s47, s47, vcc_hi
	s_mul_i32 vcc_lo, vcc_lo, s20
	s_mul_i32 s47, s47, s9
	v_add_u32_e32 v84, vcc_lo, v72
	v_lshl_add_u32 v88, v84, 1, s47
	v_ashrrev_i32_e32 v89, 31, v88
	v_lshl_add_u64 v[88:89], v[88:89], 2, s[6:7]
	global_load_dwordx2 v[88:89], v[88:89], off
	s_waitcnt vmcnt(0)
	v_cvt_f16_f32_e32 v84, v88
	v_cvt_f16_f32_e32 v87, v89
.LBB108_27:                             ;   in Loop: Header=BB108_6 Depth=1
	v_mov_b32_e32 v88, 0
	s_andn2_b64 vcc, exec, s[50:51]
	v_mov_b32_e32 v90, 0
	v_mov_b32_e32 v89, 0
	s_cbranch_vccnz .LBB108_30
; %bb.28:                               ;   in Loop: Header=BB108_6 Depth=1
	s_load_dword s47, s[36:37], 0x1c
	v_mov_b32_e32 v89, 0
	v_mov_b32_e32 v90, 0
	s_waitcnt lgkmcnt(0)
	s_mul_hi_u32 vcc_lo, s47, s16
	s_add_i32 vcc_lo, s47, vcc_lo
	s_lshr_b32 vcc_lo, vcc_lo, s17
	s_cmp_ge_i32 vcc_lo, s13
	s_cbranch_scc1 .LBB108_30
; %bb.29:                               ;   in Loop: Header=BB108_6 Depth=1
	s_mul_i32 vcc_hi, vcc_lo, s18
	s_sub_i32 s47, s47, vcc_hi
	s_mul_i32 vcc_lo, vcc_lo, s20
	s_mul_i32 s47, s47, s9
	v_add_u32_e32 v89, vcc_lo, v72
	v_lshl_add_u32 v90, v89, 1, s47
	v_ashrrev_i32_e32 v91, 31, v90
	v_lshl_add_u64 v[90:91], v[90:91], 2, s[6:7]
	global_load_dwordx2 v[90:91], v[90:91], off
	s_waitcnt vmcnt(0)
	v_cvt_f16_f32_e32 v90, v90
	v_cvt_f16_f32_e32 v89, v91
.LBB108_30:                             ;   in Loop: Header=BB108_6 Depth=1
	s_andn2_b64 vcc, exec, s[52:53]
	v_mov_b32_e32 v91, 0
	s_cbranch_vccnz .LBB108_33
; %bb.31:                               ;   in Loop: Header=BB108_6 Depth=1
	s_load_dword s47, s[36:37], 0x20
	v_mov_b32_e32 v91, 0
	v_mov_b32_e32 v88, 0
	s_waitcnt lgkmcnt(0)
	s_mul_hi_u32 vcc_lo, s47, s16
	s_add_i32 vcc_lo, s47, vcc_lo
	s_lshr_b32 vcc_lo, vcc_lo, s17
	s_cmp_ge_i32 vcc_lo, s13
	s_cbranch_scc1 .LBB108_33
; %bb.32:                               ;   in Loop: Header=BB108_6 Depth=1
	s_mul_i32 vcc_hi, vcc_lo, s18
	s_sub_i32 s47, s47, vcc_hi
	s_mul_i32 vcc_lo, vcc_lo, s20
	s_mul_i32 s47, s47, s9
	v_add_u32_e32 v88, vcc_lo, v72
	v_lshl_add_u32 v92, v88, 1, s47
	v_ashrrev_i32_e32 v93, 31, v92
	v_lshl_add_u64 v[92:93], v[92:93], 2, s[6:7]
	global_load_dwordx2 v[92:93], v[92:93], off
	s_waitcnt vmcnt(0)
	v_cvt_f16_f32_e32 v88, v92
	v_cvt_f16_f32_e32 v91, v93
.LBB108_33:                             ;   in Loop: Header=BB108_6 Depth=1
	v_mov_b32_e32 v92, 0
	s_andn2_b64 vcc, exec, s[54:55]
	;; [unrolled: 56-line block ×3, first 2 shown]
	v_mov_b32_e32 v98, 0
	v_mov_b32_e32 v97, 0
	s_cbranch_vccnz .LBB108_42
; %bb.40:                               ;   in Loop: Header=BB108_6 Depth=1
	s_load_dword s47, s[36:37], 0x2c
	v_mov_b32_e32 v97, 0
	v_mov_b32_e32 v98, 0
	s_waitcnt lgkmcnt(0)
	s_mul_hi_u32 vcc_lo, s47, s16
	s_add_i32 vcc_lo, s47, vcc_lo
	s_lshr_b32 vcc_lo, vcc_lo, s17
	s_cmp_ge_i32 vcc_lo, s13
	s_cbranch_scc1 .LBB108_42
; %bb.41:                               ;   in Loop: Header=BB108_6 Depth=1
	s_mul_i32 vcc_hi, vcc_lo, s18
	s_sub_i32 s47, s47, vcc_hi
	s_mul_i32 vcc_lo, vcc_lo, s20
	s_mul_i32 s47, s47, s9
	v_add_u32_e32 v97, vcc_lo, v72
	v_lshl_add_u32 v98, v97, 1, s47
	v_ashrrev_i32_e32 v99, 31, v98
	v_lshl_add_u64 v[98:99], v[98:99], 2, s[6:7]
	global_load_dwordx2 v[98:99], v[98:99], off
	s_waitcnt vmcnt(0)
	v_cvt_f16_f32_e32 v98, v98
	v_cvt_f16_f32_e32 v97, v99
.LBB108_42:                             ;   in Loop: Header=BB108_6 Depth=1
	s_andn2_b64 vcc, exec, s[60:61]
	v_mov_b32_e32 v99, 0
	s_cbranch_vccnz .LBB108_5
; %bb.43:                               ;   in Loop: Header=BB108_6 Depth=1
	s_load_dword s47, s[36:37], 0x30
	v_mov_b32_e32 v99, 0
	v_mov_b32_e32 v96, 0
	s_waitcnt lgkmcnt(0)
	s_mul_hi_u32 vcc_lo, s47, s16
	s_add_i32 vcc_lo, s47, vcc_lo
	s_lshr_b32 vcc_lo, vcc_lo, s17
	s_cmp_ge_i32 vcc_lo, s13
	s_cbranch_scc1 .LBB108_5
; %bb.44:                               ;   in Loop: Header=BB108_6 Depth=1
	s_mul_i32 vcc_hi, vcc_lo, s18
	s_sub_i32 s47, s47, vcc_hi
	s_mul_i32 vcc_lo, vcc_lo, s20
	s_mul_i32 s47, s47, s9
	v_add_u32_e32 v96, vcc_lo, v72
	v_lshl_add_u32 v100, v96, 1, s47
	v_ashrrev_i32_e32 v101, 31, v100
	v_lshl_add_u64 v[100:101], v[100:101], 2, s[6:7]
	global_load_dwordx2 v[100:101], v[100:101], off
	s_waitcnt vmcnt(0)
	v_cvt_f16_f32_e32 v96, v100
	v_cvt_f16_f32_e32 v99, v101
	s_branch .LBB108_5
.LBB108_45:
	s_or_b64 exec, exec, s[4:5]
	v_readlane_b32 s24, v102, 6
	v_readlane_b32 s30, v102, 9
	v_readlane_b32 s22, v102, 4
	v_readlane_b32 s36, v102, 2
	v_readlane_b32 s25, v102, 7
	v_readlane_b32 s26, v102, 25
	v_readlane_b32 s28, v102, 23
	v_readlane_b32 s31, v102, 10
	v_readlane_b32 s11, v102, 8
	v_readlane_b32 s23, v102, 5
	v_readlane_b32 s37, v102, 3
	v_readlane_b32 s29, v102, 24
.LBB108_46:
	s_or_b64 exec, exec, s[36:37]
	v_lshl_add_u32 v0, v70, 2, 0
	v_mul_u32_u24_e32 v1, 0x408, v71
	v_and_b32_e32 v4, 0x3f0, v3
	v_add3_u32 v0, v0, v1, v4
	v_accvgpr_read_b32 v1, a5
	v_accvgpr_read_b32 v4, a4
	s_barrier
	ds_write2_b32 v0, v4, v1 offset1:1
	v_accvgpr_read_b32 v1, a7
	v_accvgpr_read_b32 v4, a6
	ds_write2_b32 v0, v4, v1 offset0:2 offset1:3
	v_accvgpr_read_b32 v1, a1
	v_accvgpr_read_b32 v4, a0
	ds_write2_b32 v0, v4, v1 offset0:16 offset1:17
	;; [unrolled: 3-line block ×3, first 2 shown]
	v_accvgpr_read_b32 v1, a9
	v_accvgpr_read_b32 v4, a8
	s_lshl_b64 s[0:1], s[30:31], 2
	ds_write2_b32 v0, v4, v1 offset0:32 offset1:33
	v_accvgpr_read_b32 v1, a11
	v_accvgpr_read_b32 v4, a10
	s_add_u32 s4, s22, s0
	ds_write2_b32 v0, v4, v1 offset0:34 offset1:35
	v_accvgpr_read_b32 v1, a13
	v_accvgpr_read_b32 v4, a12
	s_addc_u32 s5, s23, s1
	ds_write2_b32 v0, v4, v1 offset0:48 offset1:49
	v_accvgpr_read_b32 v1, a15
	v_accvgpr_read_b32 v4, a14
	ds_write2_b32 v0, v4, v1 offset0:50 offset1:51
	s_cmp_gt_i32 s14, 0
	v_add_u32_e32 v0, s28, v2
	s_cselect_b64 s[6:7], -1, 0
	v_cmp_gt_i32_e64 s[0:1], s26, v0
	v_cmp_gt_u32_e32 vcc, 13, v2
	s_and_b64 s[0:1], s[6:7], s[0:1]
	v_lshl_add_u32 v5, v3, 2, 0
	v_add_u32_e32 v4, s11, v3
	v_mul_u32_u24_e32 v6, 0x408, v2
	s_and_b64 s[2:3], vcc, s[0:1]
	s_waitcnt lgkmcnt(0)
	s_barrier
	s_and_saveexec_b64 s[0:1], s[2:3]
	s_cbranch_execz .LBB108_49
; %bb.47:
	v_ashrrev_i32_e32 v1, 31, v0
	v_lshl_add_u64 v[8:9], v[0:1], 2, s[4:5]
	global_load_dword v3, v[8:9], off
	s_waitcnt vmcnt(0)
	v_mul_hi_u32 v1, v3, s19
	v_add_u32_e32 v1, v3, v1
	v_lshrrev_b32_e32 v1, s24, v1
	v_cmp_gt_i32_e32 vcc, s13, v1
	s_and_b64 exec, exec, vcc
	s_cbranch_execz .LBB108_49
; %bb.48:
	v_add_u32_e32 v7, v5, v6
	ds_read2st64_b32 v[8:9], v7 offset1:1
	ds_read2st64_b32 v[10:11], v7 offset0:2 offset1:3
	v_mul_lo_u32 v12, v1, s25
	v_sub_u32_e32 v3, v3, v12
	v_mul_lo_u32 v3, v3, s10
	s_waitcnt lgkmcnt(1)
	v_add_f32_e32 v7, 0, v8
	v_add_f32_e32 v7, v7, v9
	v_mul_lo_u32 v1, v1, s21
	v_readlane_b32 s2, v102, 0
	s_waitcnt lgkmcnt(0)
	v_add_f32_e32 v7, v7, v10
	v_add3_u32 v8, v4, v1, v3
	v_mov_b32_e32 v9, 0
	v_readlane_b32 s3, v102, 1
	v_add_f32_e32 v7, v7, v11
	s_nop 0
	v_lshl_add_u64 v[8:9], v[8:9], 2, s[2:3]
	global_store_dword v[8:9], v7, off
.LBB108_49:
	s_or_b64 exec, exec, s[0:1]
	v_add_u32_e32 v1, 4, v0
	v_cmp_gt_i32_e64 s[0:1], s26, v1
	v_cmp_gt_u32_e32 vcc, 9, v2
	s_and_b64 s[0:1], s[6:7], s[0:1]
	s_and_b64 s[2:3], vcc, s[0:1]
	s_and_saveexec_b64 s[0:1], s[2:3]
	s_cbranch_execz .LBB108_52
; %bb.50:
	s_ashr_i32 s29, s28, 31
	v_mov_b32_e32 v3, 0
	v_lshl_add_u64 v[8:9], v[2:3], 0, s[28:29]
	v_lshl_add_u64 v[8:9], v[8:9], 2, s[4:5]
	global_load_dword v7, v[8:9], off offset:16
	s_waitcnt vmcnt(0)
	v_mul_hi_u32 v1, v7, s19
	v_add_u32_e32 v1, v7, v1
	v_lshrrev_b32_e32 v1, s24, v1
	v_cmp_gt_i32_e32 vcc, s13, v1
	s_and_b64 exec, exec, vcc
	s_cbranch_execz .LBB108_52
; %bb.51:
	v_add_u32_e32 v8, v6, v5
	v_add_u32_e32 v10, 32, v8
	ds_read2st64_b32 v[8:9], v10 offset0:16 offset1:17
	ds_read2st64_b32 v[10:11], v10 offset0:18 offset1:19
	v_mul_lo_u32 v12, v1, s25
	v_sub_u32_e32 v7, v7, v12
	v_mul_lo_u32 v7, v7, s10
	s_waitcnt lgkmcnt(1)
	v_add_f32_e32 v8, 0, v8
	v_add_f32_e32 v8, v8, v9
	s_waitcnt lgkmcnt(0)
	v_add_f32_e32 v8, v8, v10
	v_mul_lo_u32 v1, v1, s21
	v_readlane_b32 s2, v102, 0
	v_add_f32_e32 v10, v8, v11
	v_add3_u32 v8, v4, v1, v7
	v_mov_b32_e32 v9, v3
	v_readlane_b32 s3, v102, 1
	s_nop 1
	v_lshl_add_u64 v[8:9], v[8:9], 2, s[2:3]
	global_store_dword v[8:9], v10, off
.LBB108_52:
	s_or_b64 exec, exec, s[0:1]
	v_add_u32_e32 v0, 8, v0
	v_cmp_gt_i32_e64 s[0:1], s26, v0
	v_cmp_gt_u32_e32 vcc, 5, v2
	s_and_b64 s[0:1], s[6:7], s[0:1]
	s_and_b64 s[2:3], vcc, s[0:1]
	s_and_saveexec_b64 s[0:1], s[2:3]
	s_cbranch_execz .LBB108_55
; %bb.53:
	s_ashr_i32 s29, s28, 31
	v_mov_b32_e32 v3, 0
	v_lshl_add_u64 v[0:1], v[2:3], 0, s[28:29]
	v_lshl_add_u64 v[0:1], v[0:1], 2, s[4:5]
	global_load_dword v1, v[0:1], off offset:32
	s_waitcnt vmcnt(0)
	v_mul_hi_u32 v0, v1, s19
	v_add_u32_e32 v0, v1, v0
	v_lshrrev_b32_e32 v0, s24, v0
	v_cmp_gt_i32_e32 vcc, s13, v0
	s_and_b64 exec, exec, vcc
	s_cbranch_execz .LBB108_55
; %bb.54:
	v_add_u32_e32 v6, v5, v6
	v_add_u32_e32 v8, 64, v6
	ds_read2st64_b32 v[6:7], v8 offset0:32 offset1:33
	ds_read2st64_b32 v[8:9], v8 offset0:34 offset1:35
	v_mul_lo_u32 v10, v0, s25
	v_sub_u32_e32 v1, v1, v10
	v_mul_lo_u32 v1, v1, s10
	s_waitcnt lgkmcnt(1)
	v_add_f32_e32 v6, 0, v6
	v_add_f32_e32 v6, v6, v7
	v_mul_lo_u32 v0, v0, s21
	v_readlane_b32 s2, v102, 0
	s_waitcnt lgkmcnt(0)
	v_add_f32_e32 v6, v6, v8
	v_add3_u32 v0, v4, v0, v1
	v_mov_b32_e32 v1, v3
	v_readlane_b32 s3, v102, 1
	v_add_f32_e32 v6, v6, v9
	s_nop 0
	v_lshl_add_u64 v[0:1], v[0:1], 2, s[2:3]
	global_store_dword v[0:1], v6, off
.LBB108_55:
	s_or_b64 exec, exec, s[0:1]
	v_cmp_eq_u32_e32 vcc, 0, v2
	s_and_saveexec_b64 s[0:1], vcc
	s_cbranch_execz .LBB108_59
; %bb.56:
	s_add_i32 s0, s28, 12
	s_cmp_ge_i32 s0, s26
	s_cselect_b64 s[0:1], -1, 0
	s_xor_b64 s[2:3], s[6:7], -1
	s_or_b64 s[0:1], s[2:3], s[0:1]
	s_and_b64 vcc, exec, s[0:1]
	s_cbranch_vccnz .LBB108_59
; %bb.57:
	s_ashr_i32 s29, s28, 31
	s_lshl_b64 s[0:1], s[28:29], 2
	s_add_u32 s0, s4, s0
	s_addc_u32 s1, s5, s1
	s_load_dword s1, s[0:1], 0x30
	s_waitcnt lgkmcnt(0)
	s_mul_hi_u32 s0, s1, s19
	s_add_i32 s0, s1, s0
	s_lshr_b32 s0, s0, s24
	s_cmp_ge_i32 s0, s13
	s_cbranch_scc1 .LBB108_59
; %bb.58:
	v_add_u32_e32 v2, 0x60, v5
	ds_read2st64_b32 v[0:1], v2 offset0:48 offset1:49
	ds_read2st64_b32 v[2:3], v2 offset0:50 offset1:51
	s_mul_i32 s2, s0, s25
	s_sub_i32 s1, s1, s2
	s_mul_i32 s1, s1, s10
	s_waitcnt lgkmcnt(1)
	v_add_f32_e32 v0, 0, v0
	v_add_f32_e32 v0, v0, v1
	s_mul_i32 s0, s0, s21
	s_waitcnt lgkmcnt(0)
	v_add_f32_e32 v0, v0, v2
	s_add_i32 s1, s1, s0
	v_add_f32_e32 v2, v0, v3
	v_add_u32_e32 v0, s1, v4
	v_readlane_b32 s0, v102, 0
	v_mov_b32_e32 v1, 0
	v_readlane_b32 s1, v102, 1
	s_nop 1
	v_lshl_add_u64 v[0:1], v[0:1], 2, s[0:1]
	global_store_dword v[0:1], v2, off
.LBB108_59:
	s_endpgm
	.section	.rodata,"a",@progbits
	.p2align	6, 0x0
	.amdhsa_kernel _ZL13mul_mat_f_idsI7__half2Li64ELi13ELi4EEvPKT_PKfPKiS7_S7_Pfiiiiiiiiiiiiii15HIP_vector_typeIjLj3EESA_
		.amdhsa_group_segment_fixed_size 0
		.amdhsa_private_segment_fixed_size 0
		.amdhsa_kernarg_size 128
		.amdhsa_user_sgpr_count 2
		.amdhsa_user_sgpr_dispatch_ptr 0
		.amdhsa_user_sgpr_queue_ptr 0
		.amdhsa_user_sgpr_kernarg_segment_ptr 1
		.amdhsa_user_sgpr_dispatch_id 0
		.amdhsa_user_sgpr_kernarg_preload_length 0
		.amdhsa_user_sgpr_kernarg_preload_offset 0
		.amdhsa_user_sgpr_private_segment_size 0
		.amdhsa_uses_dynamic_stack 0
		.amdhsa_enable_private_segment 0
		.amdhsa_system_sgpr_workgroup_id_x 1
		.amdhsa_system_sgpr_workgroup_id_y 1
		.amdhsa_system_sgpr_workgroup_id_z 1
		.amdhsa_system_sgpr_workgroup_info 0
		.amdhsa_system_vgpr_workitem_id 1
		.amdhsa_next_free_vgpr 120
		.amdhsa_next_free_sgpr 100
		.amdhsa_accum_offset 104
		.amdhsa_reserve_vcc 1
		.amdhsa_float_round_mode_32 0
		.amdhsa_float_round_mode_16_64 0
		.amdhsa_float_denorm_mode_32 3
		.amdhsa_float_denorm_mode_16_64 3
		.amdhsa_dx10_clamp 1
		.amdhsa_ieee_mode 1
		.amdhsa_fp16_overflow 0
		.amdhsa_tg_split 0
		.amdhsa_exception_fp_ieee_invalid_op 0
		.amdhsa_exception_fp_denorm_src 0
		.amdhsa_exception_fp_ieee_div_zero 0
		.amdhsa_exception_fp_ieee_overflow 0
		.amdhsa_exception_fp_ieee_underflow 0
		.amdhsa_exception_fp_ieee_inexact 0
		.amdhsa_exception_int_div_zero 0
	.end_amdhsa_kernel
	.section	.text._ZL13mul_mat_f_idsI7__half2Li64ELi13ELi4EEvPKT_PKfPKiS7_S7_Pfiiiiiiiiiiiiii15HIP_vector_typeIjLj3EESA_,"axG",@progbits,_ZL13mul_mat_f_idsI7__half2Li64ELi13ELi4EEvPKT_PKfPKiS7_S7_Pfiiiiiiiiiiiiii15HIP_vector_typeIjLj3EESA_,comdat
.Lfunc_end108:
	.size	_ZL13mul_mat_f_idsI7__half2Li64ELi13ELi4EEvPKT_PKfPKiS7_S7_Pfiiiiiiiiiiiiii15HIP_vector_typeIjLj3EESA_, .Lfunc_end108-_ZL13mul_mat_f_idsI7__half2Li64ELi13ELi4EEvPKT_PKfPKiS7_S7_Pfiiiiiiiiiiiiii15HIP_vector_typeIjLj3EESA_
                                        ; -- End function
	.set _ZL13mul_mat_f_idsI7__half2Li64ELi13ELi4EEvPKT_PKfPKiS7_S7_Pfiiiiiiiiiiiiii15HIP_vector_typeIjLj3EESA_.num_vgpr, 103
	.set _ZL13mul_mat_f_idsI7__half2Li64ELi13ELi4EEvPKT_PKfPKiS7_S7_Pfiiiiiiiiiiiiii15HIP_vector_typeIjLj3EESA_.num_agpr, 16
	.set _ZL13mul_mat_f_idsI7__half2Li64ELi13ELi4EEvPKT_PKfPKiS7_S7_Pfiiiiiiiiiiiiii15HIP_vector_typeIjLj3EESA_.numbered_sgpr, 100
	.set _ZL13mul_mat_f_idsI7__half2Li64ELi13ELi4EEvPKT_PKfPKiS7_S7_Pfiiiiiiiiiiiiii15HIP_vector_typeIjLj3EESA_.num_named_barrier, 0
	.set _ZL13mul_mat_f_idsI7__half2Li64ELi13ELi4EEvPKT_PKfPKiS7_S7_Pfiiiiiiiiiiiiii15HIP_vector_typeIjLj3EESA_.private_seg_size, 0
	.set _ZL13mul_mat_f_idsI7__half2Li64ELi13ELi4EEvPKT_PKfPKiS7_S7_Pfiiiiiiiiiiiiii15HIP_vector_typeIjLj3EESA_.uses_vcc, 1
	.set _ZL13mul_mat_f_idsI7__half2Li64ELi13ELi4EEvPKT_PKfPKiS7_S7_Pfiiiiiiiiiiiiii15HIP_vector_typeIjLj3EESA_.uses_flat_scratch, 0
	.set _ZL13mul_mat_f_idsI7__half2Li64ELi13ELi4EEvPKT_PKfPKiS7_S7_Pfiiiiiiiiiiiiii15HIP_vector_typeIjLj3EESA_.has_dyn_sized_stack, 0
	.set _ZL13mul_mat_f_idsI7__half2Li64ELi13ELi4EEvPKT_PKfPKiS7_S7_Pfiiiiiiiiiiiiii15HIP_vector_typeIjLj3EESA_.has_recursion, 0
	.set _ZL13mul_mat_f_idsI7__half2Li64ELi13ELi4EEvPKT_PKfPKiS7_S7_Pfiiiiiiiiiiiiii15HIP_vector_typeIjLj3EESA_.has_indirect_call, 0
	.section	.AMDGPU.csdata,"",@progbits
; Kernel info:
; codeLenInByte = 7228
; TotalNumSgprs: 106
; NumVgprs: 103
; NumAgprs: 16
; TotalNumVgprs: 120
; ScratchSize: 0
; MemoryBound: 0
; FloatMode: 240
; IeeeMode: 1
; LDSByteSize: 0 bytes/workgroup (compile time only)
; SGPRBlocks: 13
; VGPRBlocks: 14
; NumSGPRsForWavesPerEU: 106
; NumVGPRsForWavesPerEU: 120
; AccumOffset: 104
; Occupancy: 4
; WaveLimiterHint : 1
; COMPUTE_PGM_RSRC2:SCRATCH_EN: 0
; COMPUTE_PGM_RSRC2:USER_SGPR: 2
; COMPUTE_PGM_RSRC2:TRAP_HANDLER: 0
; COMPUTE_PGM_RSRC2:TGID_X_EN: 1
; COMPUTE_PGM_RSRC2:TGID_Y_EN: 1
; COMPUTE_PGM_RSRC2:TGID_Z_EN: 1
; COMPUTE_PGM_RSRC2:TIDIG_COMP_CNT: 1
; COMPUTE_PGM_RSRC3_GFX90A:ACCUM_OFFSET: 25
; COMPUTE_PGM_RSRC3_GFX90A:TG_SPLIT: 0
	.section	.text._ZL9mul_mat_fI7__half2Li64ELi13ELi4ELb1EEvPKT_PKfPKiPfiiiiiiiiiiiiiiii,"axG",@progbits,_ZL9mul_mat_fI7__half2Li64ELi13ELi4ELb1EEvPKT_PKfPKiPfiiiiiiiiiiiiiiii,comdat
	.globl	_ZL9mul_mat_fI7__half2Li64ELi13ELi4ELb1EEvPKT_PKfPKiPfiiiiiiiiiiiiiiii ; -- Begin function _ZL9mul_mat_fI7__half2Li64ELi13ELi4ELb1EEvPKT_PKfPKiPfiiiiiiiiiiiiiiii
	.p2align	8
	.type	_ZL9mul_mat_fI7__half2Li64ELi13ELi4ELb1EEvPKT_PKfPKiPfiiiiiiiiiiiiiiii,@function
_ZL9mul_mat_fI7__half2Li64ELi13ELi4ELb1EEvPKT_PKfPKiPfiiiiiiiiiiiiiiii: ; @_ZL9mul_mat_fI7__half2Li64ELi13ELi4ELb1EEvPKT_PKfPKiPfiiiiiiiiiiiiiiii
; %bb.0:
	s_load_dwordx8 s[44:51], s[0:1], 0x20
	s_mov_b32 s22, s4
	v_bfe_u32 v80, v0, 10, 10
	s_waitcnt lgkmcnt(0)
	s_add_i32 s4, s45, 12
	s_mul_hi_i32 s4, s4, 0x4ec4ec4f
	s_lshr_b32 s5, s4, 31
	s_ashr_i32 s4, s4, 2
	s_add_i32 s4, s4, s5
	v_cvt_f32_u32_e32 v1, s4
	s_load_dword s5, s[0:1], 0x64
	s_add_u32 s12, s0, 0x60
	s_addc_u32 s13, s1, 0
	v_rcp_iflag_f32_e32 v1, v1
	s_sub_i32 s6, 0, s4
	s_load_dwordx4 s[52:55], s[0:1], 0x44
	s_load_dwordx2 s[8:9], s[0:1], 0x10
	v_mul_f32_e32 v1, 0x4f7ffffe, v1
	v_cvt_u32_f32_e32 v1, v1
	v_mul_lo_u32 v2, s6, v1
	v_mul_hi_u32 v2, v1, v2
	v_add_u32_e32 v1, v1, v2
	s_waitcnt lgkmcnt(0)
	v_mul_hi_u32 v1, s5, v1
	v_mul_lo_u32 v2, v1, s4
	v_sub_u32_e32 v2, s5, v2
	v_add_u32_e32 v3, 1, v1
	v_subrev_u32_e32 v4, s4, v2
	v_cmp_le_u32_e32 vcc, s4, v2
	s_nop 1
	v_cndmask_b32_e32 v1, v1, v3, vcc
	v_cndmask_b32_e32 v2, v2, v4, vcc
	v_add_u32_e32 v3, 1, v1
	v_cmp_le_u32_e32 vcc, s4, v2
	s_abs_i32 s4, s55
	s_nop 0
	v_cndmask_b32_e32 v1, v1, v3, vcc
	v_cvt_f32_u32_e32 v2, v1
	v_sub_u32_e32 v4, 0, v1
	v_rcp_iflag_f32_e32 v2, v2
	s_nop 0
	v_mul_f32_e32 v2, 0x4f7ffffe, v2
	v_cvt_u32_f32_e32 v3, v2
	v_and_b32_e32 v2, 0x3ff, v0
	v_cmp_eq_u32_e32 vcc, 0, v2
	v_mul_lo_u32 v4, v4, v3
	v_mul_hi_u32 v4, v3, v4
	v_add_u32_e32 v3, v3, v4
	v_mul_hi_u32 v3, s3, v3
	s_and_saveexec_b64 s[6:7], vcc
; %bb.1:
	v_mov_b32_e32 v4, 0x100
	v_lshl_add_u32 v4, v80, 2, v4
	v_mov_b32_e32 v5, -1
	ds_write_b32 v4, v5
; %bb.2:
	s_or_b64 exec, exec, s[6:7]
	v_mul_lo_u32 v4, v3, v1
	v_sub_u32_e32 v4, s3, v4
	v_add_u32_e32 v5, 1, v3
	v_sub_u32_e32 v6, v4, v1
	v_cmp_ge_u32_e64 s[6:7], v4, v1
	v_cvt_f32_u32_e32 v11, s4
	s_nop 0
	v_cndmask_b32_e64 v3, v3, v5, s[6:7]
	v_cndmask_b32_e64 v4, v4, v6, s[6:7]
	v_add_u32_e32 v5, 1, v3
	v_cmp_ge_u32_e64 s[6:7], v4, v1
	s_nop 1
	v_cndmask_b32_e64 v3, v3, v5, s[6:7]
	v_mul_lo_u32 v1, v3, v1
	v_mul_lo_u32 v3, v3, 13
	v_mul_hi_i32 v5, v3, s51
	v_mul_lo_u32 v4, v3, s51
	v_sub_u32_e32 v10, s3, v1
	v_lshlrev_b64 v[4:5], 2, v[4:5]
	v_add_u32_e32 v1, v80, v3
	v_lshl_add_u64 v[4:5], s[8:9], 0, v[4:5]
	v_cmp_gt_i32_e64 s[8:9], s46, v2
	v_cmp_gt_i32_e64 s[24:25], s45, v1
	v_mov_b32_e32 v1, 0
	s_and_saveexec_b64 s[14:15], s[24:25]
	s_cbranch_execz .LBB109_10
; %bb.3:
	v_mov_b32_e32 v1, 0
	s_and_saveexec_b64 s[16:17], s[8:9]
	s_cbranch_execz .LBB109_9
; %bb.4:
	v_mul_lo_u32 v6, v80, s51
	v_ashrrev_i32_e32 v7, 31, v6
	v_mov_b32_e32 v1, 0x100
	v_lshl_add_u64 v[6:7], v[6:7], 2, v[4:5]
	v_lshl_add_u32 v12, v80, 2, v1
	v_mul_lo_u32 v8, v2, s50
	s_lshl_b32 s3, s50, 6
	v_mov_b32_e32 v1, 0
	s_mov_b64 s[18:19], 0
	v_mov_b32_e32 v13, v2
	s_branch .LBB109_6
.LBB109_5:                              ;   in Loop: Header=BB109_6 Depth=1
	s_or_b64 exec, exec, s[20:21]
	v_add_u32_e32 v13, 64, v13
	v_cmp_le_i32_e64 s[10:11], s46, v13
	s_xor_b64 s[6:7], s[6:7], -1
	s_or_b64 s[6:7], s[6:7], s[10:11]
	s_and_b64 s[6:7], exec, s[6:7]
	s_or_b64 s[18:19], s[6:7], s[18:19]
	v_add_u32_e32 v8, s3, v8
	s_andn2_b64 exec, exec, s[18:19]
	s_cbranch_execz .LBB109_8
.LBB109_6:                              ; =>This Inner Loop Header: Depth=1
	v_ashrrev_i32_e32 v9, 31, v8
	v_lshl_add_u64 v[14:15], v[8:9], 2, v[6:7]
	global_load_dword v9, v[14:15], off
	s_waitcnt vmcnt(0)
	v_cmp_ne_u32_e64 s[6:7], v9, v10
	v_cmp_eq_u32_e64 s[10:11], v9, v10
	s_and_saveexec_b64 s[20:21], s[10:11]
	s_cbranch_execz .LBB109_5
; %bb.7:                                ;   in Loop: Header=BB109_6 Depth=1
	v_mov_b32_e32 v1, 1
	ds_write_b32 v12, v13
	s_branch .LBB109_5
.LBB109_8:
	s_or_b64 exec, exec, s[18:19]
.LBB109_9:
	s_or_b64 exec, exec, s[16:17]
.LBB109_10:
	s_or_b64 exec, exec, s[14:15]
	v_rcp_iflag_f32_e32 v6, v11
	s_and_saveexec_b64 s[6:7], vcc
; %bb.11:
	v_mov_b32_e32 v7, 0x100
	v_lshl_add_u32 v7, v80, 2, v7
	v_mov_b32_e32 v8, -1
	ds_write_b32 v7, v8 offset:16
; %bb.12:
	s_or_b64 exec, exec, s[6:7]
	v_add_u32_e32 v81, 4, v80
	v_mul_f32_e32 v11, 0x4f7ffffe, v6
	v_add_u32_e32 v6, v81, v3
	v_cmp_gt_i32_e64 s[6:7], s45, v6
	s_mov_b64 s[14:15], exec
                                        ; implicit-def: $vgpr91 : SGPR spill to VGPR lane
	s_nop 0
	v_writelane_b32 v91, s6, 0
	s_nop 1
	v_writelane_b32 v91, s7, 1
	s_and_b64 s[6:7], s[14:15], s[6:7]
	s_mov_b64 exec, s[6:7]
	s_cbranch_execz .LBB109_20
; %bb.13:
	s_and_saveexec_b64 s[16:17], s[8:9]
	s_cbranch_execz .LBB109_19
; %bb.14:
	v_mul_lo_u32 v6, v81, s51
	v_ashrrev_i32_e32 v7, 31, v6
	v_mov_b32_e32 v8, 0x100
	v_lshl_add_u64 v[6:7], v[6:7], 2, v[4:5]
	v_lshl_add_u32 v12, v80, 2, v8
	v_mul_lo_u32 v8, v2, s50
	s_lshl_b32 s3, s50, 6
	s_mov_b64 s[18:19], 0
	v_mov_b32_e32 v13, v2
	s_branch .LBB109_16
.LBB109_15:                             ;   in Loop: Header=BB109_16 Depth=1
	s_or_b64 exec, exec, s[20:21]
	v_add_u32_e32 v13, 64, v13
	v_cmp_le_i32_e64 s[10:11], s46, v13
	s_xor_b64 s[6:7], s[6:7], -1
	s_or_b64 s[6:7], s[6:7], s[10:11]
	s_and_b64 s[6:7], exec, s[6:7]
	s_or_b64 s[18:19], s[6:7], s[18:19]
	v_add_u32_e32 v8, s3, v8
	s_andn2_b64 exec, exec, s[18:19]
	s_cbranch_execz .LBB109_18
.LBB109_16:                             ; =>This Inner Loop Header: Depth=1
	v_ashrrev_i32_e32 v9, 31, v8
	v_lshl_add_u64 v[14:15], v[8:9], 2, v[6:7]
	global_load_dword v9, v[14:15], off
	s_waitcnt vmcnt(0)
	v_cmp_ne_u32_e64 s[6:7], v9, v10
	v_cmp_eq_u32_e64 s[10:11], v9, v10
	s_and_saveexec_b64 s[20:21], s[10:11]
	s_cbranch_execz .LBB109_15
; %bb.17:                               ;   in Loop: Header=BB109_16 Depth=1
	v_mov_b32_e32 v1, 1
	ds_write_b32 v12, v13 offset:16
	s_branch .LBB109_15
.LBB109_18:
	s_or_b64 exec, exec, s[18:19]
.LBB109_19:
	s_or_b64 exec, exec, s[16:17]
.LBB109_20:
	s_or_b64 exec, exec, s[14:15]
	v_cvt_u32_f32_e32 v11, v11
	s_sub_i32 s3, 0, s4
	s_and_saveexec_b64 s[6:7], vcc
; %bb.21:
	v_mov_b32_e32 v6, 0x100
	v_lshl_add_u32 v6, v80, 2, v6
	v_mov_b32_e32 v7, -1
	ds_write_b32 v6, v7 offset:32
; %bb.22:
	s_or_b64 exec, exec, s[6:7]
	v_add_u32_e32 v82, 8, v80
	v_mul_lo_u32 v12, s3, v11
	v_add_u32_e32 v6, v82, v3
	v_cmp_gt_i32_e64 s[6:7], s45, v6
	s_mov_b64 s[14:15], exec
	s_nop 0
	v_writelane_b32 v91, s6, 2
	s_nop 1
	v_writelane_b32 v91, s7, 3
	s_and_b64 s[6:7], s[14:15], s[6:7]
	s_mov_b64 exec, s[6:7]
	s_cbranch_execz .LBB109_30
; %bb.23:
	s_and_saveexec_b64 s[16:17], s[8:9]
	s_cbranch_execz .LBB109_29
; %bb.24:
	v_mul_lo_u32 v6, v82, s51
	v_ashrrev_i32_e32 v7, 31, v6
	v_mov_b32_e32 v8, 0x100
	v_lshl_add_u64 v[6:7], v[6:7], 2, v[4:5]
	v_lshl_add_u32 v13, v80, 2, v8
	v_mul_lo_u32 v8, v2, s50
	s_lshl_b32 s3, s50, 6
	s_mov_b64 s[18:19], 0
	v_mov_b32_e32 v14, v2
	s_branch .LBB109_26
.LBB109_25:                             ;   in Loop: Header=BB109_26 Depth=1
	s_or_b64 exec, exec, s[20:21]
	v_add_u32_e32 v14, 64, v14
	v_cmp_le_i32_e64 s[10:11], s46, v14
	s_xor_b64 s[6:7], s[6:7], -1
	s_or_b64 s[6:7], s[6:7], s[10:11]
	s_and_b64 s[6:7], exec, s[6:7]
	s_or_b64 s[18:19], s[6:7], s[18:19]
	v_add_u32_e32 v8, s3, v8
	s_andn2_b64 exec, exec, s[18:19]
	s_cbranch_execz .LBB109_28
.LBB109_26:                             ; =>This Inner Loop Header: Depth=1
	v_ashrrev_i32_e32 v9, 31, v8
	v_lshl_add_u64 v[16:17], v[8:9], 2, v[6:7]
	global_load_dword v9, v[16:17], off
	s_waitcnt vmcnt(0)
	v_cmp_ne_u32_e64 s[6:7], v9, v10
	v_cmp_eq_u32_e64 s[10:11], v9, v10
	s_and_saveexec_b64 s[20:21], s[10:11]
	s_cbranch_execz .LBB109_25
; %bb.27:                               ;   in Loop: Header=BB109_26 Depth=1
	v_mov_b32_e32 v1, 1
	ds_write_b32 v13, v14 offset:32
	s_branch .LBB109_25
.LBB109_28:
	s_or_b64 exec, exec, s[18:19]
.LBB109_29:
	s_or_b64 exec, exec, s[16:17]
.LBB109_30:
	s_or_b64 exec, exec, s[14:15]
	v_mul_hi_u32 v6, v11, v12
	s_and_saveexec_b64 s[6:7], vcc
; %bb.31:
	v_mov_b32_e32 v7, 0x100
	v_lshl_add_u32 v7, v80, 2, v7
	v_mov_b32_e32 v8, -1
	ds_write_b32 v7, v8 offset:48
; %bb.32:
	s_or_b64 exec, exec, s[6:7]
	s_load_dwordx4 s[28:31], s[0:1], 0x54
	v_add_u32_e32 v8, v11, v6
	v_add_u32_e32 v6, 12, v80
	s_abs_i32 s3, s22
	v_add_u32_e32 v7, v6, v3
	v_cmp_gt_i32_e64 s[6:7], s45, v7
	s_mov_b64 s[10:11], exec
	s_nop 0
	v_writelane_b32 v91, s6, 4
	s_nop 1
	v_writelane_b32 v91, s7, 5
	s_and_b64 s[6:7], s[10:11], s[6:7]
	s_mov_b64 exec, s[6:7]
	s_cbranch_execz .LBB109_40
; %bb.33:
	s_and_saveexec_b64 s[14:15], s[8:9]
	s_cbranch_execz .LBB109_39
; %bb.34:
	v_mul_lo_u32 v6, v6, s51
	v_ashrrev_i32_e32 v7, 31, v6
	v_lshl_add_u64 v[4:5], v[6:7], 2, v[4:5]
	v_mov_b32_e32 v6, 0x100
	v_lshl_add_u32 v9, v80, 2, v6
	v_mul_lo_u32 v6, v2, s50
	s_lshl_b32 s5, s50, 6
	s_mov_b64 s[16:17], 0
	v_mov_b32_e32 v11, v2
	s_branch .LBB109_36
.LBB109_35:                             ;   in Loop: Header=BB109_36 Depth=1
	s_or_b64 exec, exec, s[18:19]
	v_add_u32_e32 v11, 64, v11
	v_cmp_le_i32_e64 s[8:9], s46, v11
	s_xor_b64 s[6:7], vcc, -1
	s_or_b64 s[6:7], s[6:7], s[8:9]
	s_and_b64 s[6:7], exec, s[6:7]
	s_or_b64 s[16:17], s[6:7], s[16:17]
	v_add_u32_e32 v6, s5, v6
	s_andn2_b64 exec, exec, s[16:17]
	s_cbranch_execz .LBB109_38
.LBB109_36:                             ; =>This Inner Loop Header: Depth=1
	v_ashrrev_i32_e32 v7, 31, v6
	v_lshl_add_u64 v[12:13], v[6:7], 2, v[4:5]
	global_load_dword v7, v[12:13], off
	s_waitcnt vmcnt(0)
	v_cmp_ne_u32_e32 vcc, v7, v10
	v_cmp_eq_u32_e64 s[8:9], v7, v10
	s_and_saveexec_b64 s[18:19], s[8:9]
	s_cbranch_execz .LBB109_35
; %bb.37:                               ;   in Loop: Header=BB109_36 Depth=1
	v_mov_b32_e32 v1, 1
	ds_write_b32 v9, v11 offset:48
	s_branch .LBB109_35
.LBB109_38:
	s_or_b64 exec, exec, s[16:17]
.LBB109_39:
	s_or_b64 exec, exec, s[14:15]
.LBB109_40:
	s_or_b64 exec, exec, s[10:11]
	s_load_dwordx2 s[6:7], s[12:13], 0xc
	s_load_dwordx2 s[10:11], s[0:1], 0x8
	;; [unrolled: 1-line block ×3, first 2 shown]
	v_or_b32_dpp v1, v1, v1 row_shl:1 row_mask:0xf bank_mask:0xf bound_ctrl:1
	v_mul_hi_u32 v4, s3, v8
	s_waitcnt lgkmcnt(0)
	s_and_b32 s5, s7, 0xffff
	s_lshr_b32 s7, s6, 16
	v_writelane_b32 v91, s8, 6
	s_and_b32 s6, s6, 0xffff
	v_or_b32_dpp v1, v1, v1 row_shl:2 row_mask:0xf bank_mask:0xf bound_ctrl:1
	v_writelane_b32 v91, s9, 7
	s_mul_i32 s8, s7, s6
	v_or_b32_dpp v1, v1, v1 row_shl:4 row_mask:0xf bank_mask:0xf bound_ctrl:1
	s_bfe_i32 s8, s8, 0x180000
	s_mul_i32 s5, s8, s5
	v_or_b32_dpp v1, v1, v1 row_shl:8 row_mask:0xf bank_mask:0xf bound_ctrl:1
	s_add_i32 s8, s5, 63
	s_bitcmp1_b32 exec_hi, 0
	v_mov_b32_dpp v5, v1 wave_shl:1 row_mask:0xf bank_mask:0xf bound_ctrl:1
                                        ; kill: killed $sgpr12 killed $sgpr13
	s_nop 1
	v_or_b32_dpp v1, v5, v1 row_mirror row_mask:0xf bank_mask:0xf bound_ctrl:1
	s_nop 0
	v_readlane_b32 s5, v1, 32
	s_cselect_b32 s5, s5, 0
	v_readlane_b32 s9, v1, 0
	s_or_b32 s5, s5, s9
	s_andn2_b32 s8, s8, 63
	s_cmp_lg_u32 s8, 64
	v_mov_b32_e32 v1, s5
	s_cbranch_scc0 .LBB109_47
; %bb.41:
	v_bfe_u32 v0, v0, 20, 10
	v_mbcnt_lo_u32_b32 v1, -1, 0
	v_mad_u32_u24 v0, v0, s7, v80
	v_mbcnt_hi_u32_b32 v5, -1, v1
	v_mad_u64_u32 v[0:1], s[6:7], v0, s6, v[2:3]
	v_lshrrev_b32_e32 v1, 6, v0
	v_or_b32_e32 v1, v5, v1
	v_cmp_eq_u32_e32 vcc, 0, v1
	s_and_saveexec_b64 s[8:9], vcc
; %bb.42:
	v_mov_b32_e32 v1, 0
	v_mov_b32_e32 v6, s5
	ds_write_b32 v1, v6
; %bb.43:
	s_or_b64 exec, exec, s[8:9]
	v_cmp_eq_u32_e32 vcc, 0, v5
	v_cmp_lt_u32_e64 s[8:9], 63, v0
	s_and_b64 s[6:7], s[8:9], vcc
	s_waitcnt lgkmcnt(0)
	s_barrier
	s_and_saveexec_b64 s[8:9], s[6:7]
	s_cbranch_execz .LBB109_46
; %bb.44:
	v_mbcnt_lo_u32_b32 v0, exec_lo, 0
	v_mbcnt_hi_u32_b32 v0, exec_hi, v0
	v_cmp_eq_u32_e32 vcc, 0, v0
	s_and_b64 exec, exec, vcc
; %bb.45:
	v_mov_b32_e32 v0, 0
	v_mov_b32_e32 v1, s5
	ds_or_b32 v0, v1
.LBB109_46:
	s_or_b64 exec, exec, s[8:9]
	v_mov_b32_e32 v0, 0
	s_waitcnt lgkmcnt(0)
	s_barrier
	ds_read_b32 v1, v0
	s_waitcnt lgkmcnt(0)
	s_barrier
.LBB109_47:
	s_load_dwordx2 s[8:9], s[0:1], 0x0
	v_cmp_ne_u32_e32 vcc, 0, v1
	s_ashr_i32 s5, s22, 31
	s_ashr_i32 s6, s55, 31
	s_cbranch_vccz .LBB109_121
; %bb.48:
	v_lshlrev_b32_e32 v83, 6, v80
	v_add_u32_e32 v85, v83, v2
	v_cmp_le_i32_e32 vcc, s44, v85
	v_and_b32_e32 v84, 15, v2
	s_and_saveexec_b64 s[0:1], vcc
	s_xor_b64 s[0:1], exec, s[0:1]
; %bb.49:
	v_and_b32_e32 v84, 15, v2
                                        ; implicit-def: $vgpr85
                                        ; implicit-def: $vgpr4
                                        ; implicit-def: $vgpr10
; %bb.50:
	s_or_saveexec_b64 s[0:1], s[0:1]
	s_lshl_b32 s7, s2, 6
	v_mov_b32_e32 v1, 0
	v_accvgpr_write_b32 a0, 0
	v_accvgpr_write_b32 a1, 0
	v_accvgpr_write_b32 a2, 0
	v_accvgpr_write_b32 a3, 0
	v_accvgpr_write_b32 a4, 0
	v_accvgpr_write_b32 a5, 0
	v_accvgpr_write_b32 a6, 0
	v_accvgpr_write_b32 a7, 0
	v_accvgpr_write_b32 a8, 0
	v_accvgpr_write_b32 a9, 0
	v_accvgpr_write_b32 a10, 0
	v_accvgpr_write_b32 a11, 0
	v_accvgpr_write_b32 a12, 0
	v_accvgpr_write_b32 a13, 0
	v_accvgpr_write_b32 a14, 0
	v_accvgpr_write_b32 a15, 0
	v_writelane_b32 v91, s0, 8
	s_nop 1
	v_writelane_b32 v91, s1, 9
	s_xor_b64 exec, exec, s[0:1]
	s_cbranch_execz .LBB109_106
; %bb.51:
	v_mul_lo_u32 v0, v4, s4
	v_sub_u32_e32 v0, s3, v0
	v_add_u32_e32 v5, 1, v4
	v_subrev_u32_e32 v6, s4, v0
	v_cmp_le_u32_e32 vcc, s4, v0
	s_xor_b32 s0, s5, s6
	v_writelane_b32 v91, s24, 10
	v_cndmask_b32_e32 v4, v4, v5, vcc
	v_cndmask_b32_e32 v0, v0, v6, vcc
	v_add_u32_e32 v5, 1, v4
	v_cmp_le_u32_e32 vcc, s4, v0
	v_writelane_b32 v91, s25, 11
	v_writelane_b32 v91, s7, 12
	v_cndmask_b32_e32 v0, v4, v5, vcc
	v_xor_b32_e32 v0, s0, v0
	v_subrev_u32_e32 v0, s0, v0
	s_mul_i32 s0, s47, s7
	s_ashr_i32 s1, s0, 31
	s_lshl_b64 s[2:3], s[0:1], 2
	s_movk_i32 s0, 0x1080
	v_mov_b32_e32 v86, 0x100
	v_writelane_b32 v91, s22, 13
	v_mul_hi_i32 v5, v0, s28
	v_mul_lo_u32 v4, v0, s28
	v_mul_lo_u32 v6, v10, s52
	v_mad_u32_u24 v0, v80, s0, v86
	s_mul_hi_i32 s1, s29, s22
	v_writelane_b32 v91, s28, 14
	s_mul_i32 s0, s29, s22
	v_ashrrev_i32_e32 v7, 31, v6
	s_lshl_b64 s[0:1], s[0:1], 2
	v_lshlrev_b64 v[10:11], 2, v[6:7]
	v_writelane_b32 v91, s29, 15
	v_mul_hi_i32 v7, s48, v3
	v_mul_lo_u32 v6, s48, v3
	s_add_u32 s0, s10, s0
	v_writelane_b32 v91, s30, 16
	v_lshlrev_b64 v[6:7], 3, v[6:7]
	s_addc_u32 s1, s11, s1
	v_writelane_b32 v91, s31, 17
	v_lshl_add_u64 v[6:7], s[0:1], 0, v[6:7]
	s_lshl_b32 s0, s48, 3
	v_writelane_b32 v91, s0, 18
	s_mul_i32 s0, s48, 6
	v_lshlrev_b64 v[8:9], 2, v[4:5]
	v_writelane_b32 v91, s0, 19
	s_lshl_b32 s0, s48, 4
	s_waitcnt lgkmcnt(0)
	v_lshl_add_u64 v[4:5], s[8:9], 0, v[8:9]
	v_writelane_b32 v91, s0, 20
	s_mul_i32 s0, s48, 10
	v_lshl_add_u64 v[4:5], v[4:5], 0, v[10:11]
	v_writelane_b32 v91, s0, 21
	s_mul_i32 s0, s48, 12
	s_ashr_i32 s11, s47, 31
	s_mov_b32 s10, s47
	v_lshl_add_u64 v[4:5], v[4:5], 0, s[2:3]
	v_lshrrev_b32_e32 v13, 1, v2
	v_writelane_b32 v91, s0, 22
	v_lshl_add_u64 v[8:9], v[8:9], 0, s[2:3]
	s_lshl_b64 s[2:3], s[10:11], 2
	s_mul_i32 s10, s48, 24
	v_mul_u32_u24_e32 v12, 0x108, v84
	v_and_b32_e32 v13, 0x1f8, v13
	v_writelane_b32 v91, s10, 23
	s_mul_i32 s10, s48, 22
	v_lshl_add_u32 v87, v2, 2, v0
	v_add3_u32 v88, v0, v12, v13
	v_lshl_add_u64 v[8:9], v[8:9], 0, v[10:11]
	v_lshlrev_b32_e32 v0, 1, v2
	v_writelane_b32 v91, s10, 24
	s_mul_i32 s10, s48, 20
	v_add_u32_e32 v12, 1, v3
	v_add_u32_e32 v13, 2, v3
	s_lshl_b32 s46, s48, 2
	v_add_u32_e32 v14, 3, v3
	v_add_u32_e32 v15, 4, v3
	;; [unrolled: 1-line block ×10, first 2 shown]
	v_lshl_add_u64 v[8:9], s[8:9], 0, v[8:9]
	v_lshl_add_u32 v89, v80, 7, v0
	v_lshlrev_b32_e32 v0, 2, v85
	v_writelane_b32 v91, s10, 25
	s_mul_i32 s10, s48, 18
	s_add_i32 s57, s47, s47
	s_mul_i32 s59, s47, 3
	s_lshl_b32 s60, s47, 2
	s_mul_i32 s61, s47, 5
	s_mul_i32 s62, s47, 6
	;; [unrolled: 1-line block ×3, first 2 shown]
	s_lshl_b32 s64, s47, 3
	s_mul_i32 s65, s47, 9
	s_mul_i32 s66, s47, 10
	;; [unrolled: 1-line block ×7, first 2 shown]
	s_lshl_b32 s72, s47, 4
	s_mul_i32 s73, s47, 17
	s_mul_i32 s74, s47, 18
	;; [unrolled: 1-line block ×15, first 2 shown]
	s_lshl_b32 s88, s47, 5
	s_mul_i32 s89, s47, 33
	s_mul_i32 s90, s47, 34
	;; [unrolled: 1-line block ×17, first 2 shown]
	v_cmp_gt_i32_e64 s[8:9], s45, v3
	s_mul_i32 s37, s47, 50
	s_mul_i32 s40, s47, 51
	v_accvgpr_write_b32 a15, 0
	v_accvgpr_write_b32 a14, 0
	;; [unrolled: 1-line block ×16, first 2 shown]
	v_lshl_add_u64 v[8:9], v[8:9], 0, v[0:1]
	s_mul_i32 s41, s47, 52
	s_mul_i32 s42, s47, 53
	;; [unrolled: 1-line block ×12, first 2 shown]
	v_writelane_b32 v91, s10, 26
	s_mul_i32 s56, s48, 14
	s_lshl_b32 s48, s48, 1
	v_cmp_gt_i32_e64 s[10:11], s45, v12
	v_cmp_gt_i32_e64 s[12:13], s45, v13
	;; [unrolled: 1-line block ×12, first 2 shown]
	s_mov_b32 s45, s46
	s_mov_b64 s[46:47], 0
	s_branch .LBB109_54
.LBB109_52:                             ;   in Loop: Header=BB109_54 Depth=1
	v_mul_lo_u32 v0, v0, s53
	v_readlane_b32 vcc_lo, v91, 23
	s_nop 1
	v_add_u32_e32 v0, vcc_lo, v0
	v_add_u32_e32 v74, v0, v89
	v_ashrrev_i32_e32 v75, 31, v74
	v_lshl_add_u64 v[74:75], v[74:75], 2, v[6:7]
	global_load_dwordx2 v[74:75], v[74:75], off
.LBB109_53:                             ;   in Loop: Header=BB109_54 Depth=1
	s_waitcnt vmcnt(0)
	v_cvt_pk_f16_f32 v0, v74, v75
	v_add_u32_e32 v74, 0xc00, v87
	ds_write2_b32 v74, v0, v1 offset0:40 offset1:106
	ds_write2_b32 v74, v1, v1 offset0:172 offset1:238
	ds_read2_b64 v[74:77], v88 offset0:8 offset1:12
	v_add_u32_e32 v85, 0x100, v85
	s_mov_b64 vcc, 0x400
	v_lshl_add_u64 v[8:9], v[8:9], 0, vcc
	s_waitcnt lgkmcnt(0)
	v_mfma_f32_16x16x16_f16 a[12:15], v[16:17], v[74:75], a[12:15]
	v_cmp_le_i32_e32 vcc, s44, v85
	v_add_u32_e32 v89, 0x200, v89
	s_or_b64 s[46:47], vcc, s[46:47]
	v_mfma_f32_16x16x16_f16 a[8:11], v[42:43], v[74:75], a[8:11]
	v_mfma_f32_16x16x16_f16 a[4:7], v[56:57], v[74:75], a[4:7]
	;; [unrolled: 1-line block ×4, first 2 shown]
	ds_read2_b64 v[14:17], v88 offset0:16 offset1:20
	v_mfma_f32_16x16x16_f16 a[8:11], v[40:41], v[76:77], a[8:11]
	v_mfma_f32_16x16x16_f16 a[4:7], v[54:55], v[76:77], a[4:7]
	v_mfma_f32_16x16x16_f16 a[0:3], v[70:71], v[76:77], a[0:3]
	s_waitcnt lgkmcnt(0)
	v_mfma_f32_16x16x16_f16 a[12:15], v[12:13], v[14:15], a[12:15]
	v_mfma_f32_16x16x16_f16 a[8:11], v[36:37], v[14:15], a[8:11]
	;; [unrolled: 1-line block ×5, first 2 shown]
	ds_read2_b64 v[10:13], v88 offset0:24 offset1:28
	v_mfma_f32_16x16x16_f16 a[8:11], v[34:35], v[16:17], a[8:11]
	v_mfma_f32_16x16x16_f16 a[4:7], v[50:51], v[16:17], a[4:7]
	v_mfma_f32_16x16x16_f16 a[0:3], v[62:63], v[16:17], a[0:3]
	s_waitcnt lgkmcnt(0)
	v_mfma_f32_16x16x16_f16 a[12:15], v[24:25], v[10:11], a[12:15]
	v_mfma_f32_16x16x16_f16 a[8:11], v[32:33], v[10:11], a[8:11]
	;; [unrolled: 1-line block ×8, first 2 shown]
	ds_read2_b64 v[10:13], v88 offset0:32 offset1:36
	s_waitcnt lgkmcnt(0)
	v_mfma_f32_16x16x16_f16 a[12:15], v[20:21], v[10:11], a[12:15]
	v_mfma_f32_16x16x16_f16 a[8:11], v[28:29], v[10:11], a[8:11]
	v_mfma_f32_16x16x16_f16 a[4:7], v[44:45], v[10:11], a[4:7]
	v_mfma_f32_16x16x16_f16 a[0:3], v[60:61], v[10:11], a[0:3]
	v_mfma_f32_16x16x16_f16 a[12:15], v[18:19], v[12:13], a[12:15]
	v_mfma_f32_16x16x16_f16 a[8:11], v[26:27], v[12:13], a[8:11]
	v_mfma_f32_16x16x16_f16 a[4:7], v[38:39], v[12:13], a[4:7]
	v_mfma_f32_16x16x16_f16 a[0:3], v[58:59], v[12:13], a[0:3]
	s_andn2_b64 exec, exec, s[46:47]
	s_cbranch_execz .LBB109_105
.LBB109_54:                             ; =>This Inner Loop Header: Depth=1
	v_lshl_add_u64 v[10:11], v[8:9], 0, s[2:3]
	global_load_dword v0, v[8:9], off
	global_load_dword v26, v[10:11], off
	v_add_u32_e32 v10, s57, v85
	v_add_u32_e32 v14, s60, v85
	;; [unrolled: 1-line block ×4, first 2 shown]
	v_ashrrev_i32_e32 v11, 31, v10
	v_add_u32_e32 v12, s59, v85
	v_ashrrev_i32_e32 v15, 31, v14
	v_ashrrev_i32_e32 v17, 31, v16
	v_add_u32_e32 v18, s62, v85
	v_add_u32_e32 v20, s63, v85
	v_ashrrev_i32_e32 v23, 31, v22
	v_add_u32_e32 v24, s65, v85
	v_lshl_add_u64 v[10:11], v[10:11], 2, v[4:5]
	v_ashrrev_i32_e32 v13, 31, v12
	v_lshl_add_u64 v[14:15], v[14:15], 2, v[4:5]
	v_lshl_add_u64 v[16:17], v[16:17], 2, v[4:5]
	v_ashrrev_i32_e32 v19, 31, v18
	v_ashrrev_i32_e32 v21, 31, v20
	v_lshl_add_u64 v[22:23], v[22:23], 2, v[4:5]
	v_ashrrev_i32_e32 v25, 31, v24
	v_lshl_add_u64 v[12:13], v[12:13], 2, v[4:5]
	v_lshl_add_u64 v[18:19], v[18:19], 2, v[4:5]
	;; [unrolled: 1-line block ×4, first 2 shown]
	global_load_dword v27, v[10:11], off
	global_load_dword v28, v[12:13], off
	;; [unrolled: 1-line block ×6, first 2 shown]
	s_nop 0
	global_load_dword v22, v[22:23], off
	s_nop 0
	global_load_dword v23, v[24:25], off
	v_add_u32_e32 v10, s66, v85
	v_add_u32_e32 v14, s68, v85
	;; [unrolled: 1-line block ×3, first 2 shown]
	v_ashrrev_i32_e32 v11, 31, v10
	v_add_u32_e32 v12, s67, v85
	v_ashrrev_i32_e32 v15, 31, v14
	v_ashrrev_i32_e32 v17, 31, v16
	v_add_u32_e32 v18, s70, v85
	v_add_u32_e32 v20, s71, v85
	v_lshl_add_u64 v[10:11], v[10:11], 2, v[4:5]
	v_ashrrev_i32_e32 v13, 31, v12
	v_lshl_add_u64 v[14:15], v[14:15], 2, v[4:5]
	v_lshl_add_u64 v[16:17], v[16:17], 2, v[4:5]
	v_ashrrev_i32_e32 v19, 31, v18
	v_ashrrev_i32_e32 v21, 31, v20
	v_lshl_add_u64 v[12:13], v[12:13], 2, v[4:5]
	v_lshl_add_u64 v[18:19], v[18:19], 2, v[4:5]
	v_lshl_add_u64 v[20:21], v[20:21], 2, v[4:5]
	global_load_dword v24, v[10:11], off
	global_load_dword v25, v[12:13], off
	s_nop 0
	global_load_dword v14, v[14:15], off
	s_nop 0
	;; [unrolled: 2-line block ×3, first 2 shown]
	global_load_dword v16, v[18:19], off
	global_load_dword v17, v[20:21], off
	v_add_u32_e32 v10, s72, v85
	v_add_u32_e32 v12, s73, v85
	v_ashrrev_i32_e32 v11, 31, v10
	v_ashrrev_i32_e32 v13, 31, v12
	v_lshl_add_u64 v[10:11], v[10:11], 2, v[4:5]
	v_add_u32_e32 v18, s74, v85
	v_lshl_add_u64 v[12:13], v[12:13], 2, v[4:5]
	global_load_dword v34, v[10:11], off
	global_load_dword v35, v[12:13], off
	v_ashrrev_i32_e32 v19, 31, v18
	v_add_u32_e32 v20, s75, v85
	v_lshl_add_u64 v[18:19], v[18:19], 2, v[4:5]
	v_ashrrev_i32_e32 v21, 31, v20
	v_lshl_add_u64 v[20:21], v[20:21], 2, v[4:5]
	s_andn2_b64 vcc, exec, s[8:9]
	s_waitcnt vmcnt(17)
	ds_write_b32 v87, v0 offset:64
	s_waitcnt vmcnt(16)
	ds_write_b32 v87, v26 offset:328
	;; [unrolled: 2-line block ×16, first 2 shown]
	v_add_u32_e32 v22, s76, v85
	v_add_u32_e32 v24, s77, v85
	;; [unrolled: 1-line block ×6, first 2 shown]
	v_ashrrev_i32_e32 v23, 31, v22
	v_ashrrev_i32_e32 v25, 31, v24
	;; [unrolled: 1-line block ×6, first 2 shown]
	ds_read_b64 v[16:17], v88 offset:64
	ds_read_b64 v[14:15], v88 offset:96
	;; [unrolled: 1-line block ×4, first 2 shown]
	v_lshl_add_u64 v[22:23], v[22:23], 2, v[4:5]
	v_lshl_add_u64 v[24:25], v[24:25], 2, v[4:5]
	v_lshl_add_u64 v[26:27], v[26:27], 2, v[4:5]
	v_lshl_add_u64 v[28:29], v[28:29], 2, v[4:5]
	v_lshl_add_u64 v[30:31], v[30:31], 2, v[4:5]
	v_lshl_add_u64 v[32:33], v[32:33], 2, v[4:5]
	global_load_dword v0, v[18:19], off
	global_load_dword v36, v[20:21], off
	global_load_dword v37, v[22:23], off
	global_load_dword v38, v[24:25], off
	global_load_dword v39, v[26:27], off
	global_load_dword v40, v[28:29], off
	global_load_dword v41, v[30:31], off
	global_load_dword v42, v[32:33], off
	v_add_u32_e32 v18, s82, v85
	v_ashrrev_i32_e32 v19, 31, v18
	v_add_u32_e32 v20, s83, v85
	v_add_u32_e32 v22, s84, v85
	v_add_u32_e32 v24, s85, v85
	v_add_u32_e32 v26, s86, v85
	v_add_u32_e32 v28, s87, v85
	v_add_u32_e32 v30, s88, v85
	v_add_u32_e32 v32, s89, v85
	v_lshl_add_u64 v[18:19], v[18:19], 2, v[4:5]
	v_ashrrev_i32_e32 v21, 31, v20
	v_ashrrev_i32_e32 v23, 31, v22
	v_ashrrev_i32_e32 v25, 31, v24
	v_ashrrev_i32_e32 v27, 31, v26
	v_ashrrev_i32_e32 v29, 31, v28
	v_ashrrev_i32_e32 v31, 31, v30
	v_ashrrev_i32_e32 v33, 31, v32
	v_lshl_add_u64 v[20:21], v[20:21], 2, v[4:5]
	v_lshl_add_u64 v[22:23], v[22:23], 2, v[4:5]
	v_lshl_add_u64 v[24:25], v[24:25], 2, v[4:5]
	v_lshl_add_u64 v[26:27], v[26:27], 2, v[4:5]
	v_lshl_add_u64 v[28:29], v[28:29], 2, v[4:5]
	v_lshl_add_u64 v[30:31], v[30:31], 2, v[4:5]
	v_lshl_add_u64 v[32:33], v[32:33], 2, v[4:5]
	global_load_dword v43, v[18:19], off
	global_load_dword v44, v[20:21], off
	global_load_dword v45, v[22:23], off
	global_load_dword v46, v[24:25], off
	global_load_dword v47, v[26:27], off
	global_load_dword v48, v[28:29], off
	global_load_dword v49, v[30:31], off
	global_load_dword v50, v[32:33], off
	v_add_u32_e32 v18, s90, v85
	v_ashrrev_i32_e32 v19, 31, v18
	v_add_u32_e32 v20, s91, v85
	v_add_u32_e32 v22, s92, v85
	v_add_u32_e32 v24, s93, v85
	v_add_u32_e32 v26, s94, v85
	v_add_u32_e32 v28, s95, v85
	v_add_u32_e32 v30, s96, v85
	v_add_u32_e32 v32, s97, v85
	v_lshl_add_u64 v[18:19], v[18:19], 2, v[4:5]
	v_ashrrev_i32_e32 v21, 31, v20
	v_ashrrev_i32_e32 v23, 31, v22
	v_ashrrev_i32_e32 v25, 31, v24
	v_ashrrev_i32_e32 v27, 31, v26
	v_ashrrev_i32_e32 v29, 31, v28
	v_ashrrev_i32_e32 v31, 31, v30
	v_ashrrev_i32_e32 v33, 31, v32
	v_lshl_add_u64 v[20:21], v[20:21], 2, v[4:5]
	;; [unrolled: 32-line block ×4, first 2 shown]
	v_lshl_add_u64 v[22:23], v[22:23], 2, v[4:5]
	v_lshl_add_u64 v[24:25], v[24:25], 2, v[4:5]
	;; [unrolled: 1-line block ×6, first 2 shown]
	global_load_dword v67, v[18:19], off
	global_load_dword v68, v[20:21], off
	;; [unrolled: 1-line block ×8, first 2 shown]
	v_add_u32_e32 v18, s33, v85
	v_ashrrev_i32_e32 v19, 31, v18
	v_add_u32_e32 v20, s4, v85
	v_add_u32_e32 v22, s50, v85
	;; [unrolled: 1-line block ×5, first 2 shown]
	v_lshl_add_u64 v[18:19], v[18:19], 2, v[4:5]
	v_ashrrev_i32_e32 v21, 31, v20
	v_ashrrev_i32_e32 v23, 31, v22
	;; [unrolled: 1-line block ×5, first 2 shown]
	v_lshl_add_u64 v[20:21], v[20:21], 2, v[4:5]
	v_lshl_add_u64 v[22:23], v[22:23], 2, v[4:5]
	;; [unrolled: 1-line block ×5, first 2 shown]
	global_load_dword v75, v[18:19], off
	global_load_dword v76, v[20:21], off
	;; [unrolled: 1-line block ×6, first 2 shown]
	ds_read_b64 v[24:25], v88 offset:192
	ds_read_b64 v[22:23], v88 offset:224
	ds_read_b64 v[20:21], v88 offset:256
	ds_read_b64 v[18:19], v88 offset:288
	s_waitcnt vmcnt(47)
	ds_write_b32 v87, v34 offset:64
	s_waitcnt vmcnt(46)
	ds_write_b32 v87, v35 offset:328
	s_waitcnt vmcnt(45)
	ds_write_b32 v87, v0 offset:592
	s_waitcnt vmcnt(44)
	ds_write_b32 v87, v36 offset:856
	s_waitcnt vmcnt(43)
	ds_write_b32 v87, v37 offset:1120
	s_waitcnt vmcnt(42)
	ds_write_b32 v87, v38 offset:1384
	s_waitcnt vmcnt(41)
	ds_write_b32 v87, v39 offset:1648
	s_waitcnt vmcnt(40)
	ds_write_b32 v87, v40 offset:1912
	s_waitcnt vmcnt(39)
	ds_write_b32 v87, v41 offset:2176
	s_waitcnt vmcnt(38)
	ds_write_b32 v87, v42 offset:2440
	s_waitcnt vmcnt(37)
	ds_write_b32 v87, v43 offset:2704
	s_waitcnt vmcnt(36)
	ds_write_b32 v87, v44 offset:2968
	s_waitcnt vmcnt(35)
	ds_write_b32 v87, v45 offset:3232
	s_waitcnt vmcnt(34)
	ds_write_b32 v87, v46 offset:3496
	s_waitcnt vmcnt(33)
	ds_write_b32 v87, v47 offset:3760
	s_waitcnt vmcnt(32)
	ds_write_b32 v87, v48 offset:4024
	ds_read_b64 v[42:43], v88 offset:64
	ds_read_b64 v[40:41], v88 offset:96
	ds_read_b64 v[36:37], v88 offset:128
	ds_read_b64 v[34:35], v88 offset:160
	ds_read_b64 v[32:33], v88 offset:192
	ds_read_b64 v[30:31], v88 offset:224
	ds_read_b64 v[28:29], v88 offset:256
	ds_read_b64 v[26:27], v88 offset:288
	s_waitcnt vmcnt(31)
	ds_write_b32 v87, v49 offset:64
	s_waitcnt vmcnt(30)
	ds_write_b32 v87, v50 offset:328
	s_waitcnt vmcnt(29)
	ds_write_b32 v87, v51 offset:592
	s_waitcnt vmcnt(28)
	ds_write_b32 v87, v52 offset:856
	s_waitcnt vmcnt(27)
	ds_write_b32 v87, v53 offset:1120
	s_waitcnt vmcnt(26)
	ds_write_b32 v87, v54 offset:1384
	s_waitcnt vmcnt(25)
	ds_write_b32 v87, v55 offset:1648
	s_waitcnt vmcnt(24)
	ds_write_b32 v87, v56 offset:1912
	s_waitcnt vmcnt(23)
	ds_write_b32 v87, v57 offset:2176
	s_waitcnt vmcnt(22)
	ds_write_b32 v87, v58 offset:2440
	s_waitcnt vmcnt(21)
	ds_write_b32 v87, v59 offset:2704
	s_waitcnt vmcnt(20)
	ds_write_b32 v87, v60 offset:2968
	s_waitcnt vmcnt(19)
	ds_write_b32 v87, v61 offset:3232
	s_waitcnt vmcnt(18)
	ds_write_b32 v87, v62 offset:3496
	s_waitcnt vmcnt(17)
	ds_write_b32 v87, v63 offset:3760
	s_waitcnt vmcnt(16)
	ds_write_b32 v87, v64 offset:4024
	ds_read_b64 v[56:57], v88 offset:64
	ds_read_b64 v[54:55], v88 offset:96
	ds_read_b64 v[52:53], v88 offset:128
	ds_read_b64 v[50:51], v88 offset:160
	;; [unrolled: 40-line block ×3, first 2 shown]
	ds_read_b64 v[68:69], v88 offset:192
	ds_read_b64 v[64:65], v88 offset:224
	;; [unrolled: 1-line block ×4, first 2 shown]
	v_mov_b32_e32 v76, 0
	v_mov_b32_e32 v77, 0
	;; [unrolled: 1-line block ×3, first 2 shown]
	s_cbranch_vccnz .LBB109_58
; %bb.55:                               ;   in Loop: Header=BB109_54 Depth=1
	ds_read_b32 v0, v86
	s_waitcnt lgkmcnt(0)
	v_cmp_gt_i32_e32 vcc, 0, v0
	s_cbranch_vccnz .LBB109_57
; %bb.56:                               ;   in Loop: Header=BB109_54 Depth=1
	v_mul_lo_u32 v0, v0, s53
	v_add_u32_e32 v76, v89, v0
	v_ashrrev_i32_e32 v77, 31, v76
	v_lshl_add_u64 v[76:77], v[76:77], 2, v[6:7]
	global_load_dwordx2 v[76:77], v[76:77], off
	s_branch .LBB109_58
.LBB109_57:                             ;   in Loop: Header=BB109_54 Depth=1
	v_mov_b32_e32 v76, 0
	v_mov_b32_e32 v77, 0
.LBB109_58:                             ;   in Loop: Header=BB109_54 Depth=1
	s_waitcnt vmcnt(0)
	v_cvt_pk_f16_f32 v0, v76, v77
	s_andn2_b64 vcc, exec, s[10:11]
	v_mov_b32_e32 v76, 0
	v_mov_b32_e32 v77, 0
	ds_write_b32 v87, v0 offset:64
	s_cbranch_vccnz .LBB109_62
; %bb.59:                               ;   in Loop: Header=BB109_54 Depth=1
	ds_read_b32 v0, v86 offset:4
	s_waitcnt lgkmcnt(0)
	v_cmp_gt_i32_e32 vcc, 0, v0
	s_cbranch_vccnz .LBB109_61
; %bb.60:                               ;   in Loop: Header=BB109_54 Depth=1
	v_mul_lo_u32 v0, v0, s53
	v_add_u32_e32 v0, s48, v0
	v_add_u32_e32 v76, v0, v89
	v_ashrrev_i32_e32 v77, 31, v76
	v_lshl_add_u64 v[76:77], v[76:77], 2, v[6:7]
	global_load_dwordx2 v[76:77], v[76:77], off
	s_branch .LBB109_62
.LBB109_61:                             ;   in Loop: Header=BB109_54 Depth=1
	v_mov_b32_e32 v76, 0
	v_mov_b32_e32 v77, 0
.LBB109_62:                             ;   in Loop: Header=BB109_54 Depth=1
	s_waitcnt vmcnt(0)
	v_cvt_pk_f16_f32 v0, v76, v77
	v_mov_b32_e32 v76, 0
	s_andn2_b64 vcc, exec, s[12:13]
	v_mov_b32_e32 v75, 0
	ds_write_b32 v87, v0 offset:328
	s_cbranch_vccnz .LBB109_66
; %bb.63:                               ;   in Loop: Header=BB109_54 Depth=1
	ds_read_b32 v0, v86 offset:8
	s_waitcnt lgkmcnt(0)
	v_cmp_gt_i32_e32 vcc, 0, v0
	s_cbranch_vccnz .LBB109_65
; %bb.64:                               ;   in Loop: Header=BB109_54 Depth=1
	v_mul_lo_u32 v0, v0, s53
	v_add_u32_e32 v0, s45, v0
	v_add_u32_e32 v74, v0, v89
	v_ashrrev_i32_e32 v75, 31, v74
	v_lshl_add_u64 v[74:75], v[74:75], 2, v[6:7]
	global_load_dwordx2 v[74:75], v[74:75], off
	s_branch .LBB109_66
.LBB109_65:                             ;   in Loop: Header=BB109_54 Depth=1
	v_mov_b32_e32 v74, 0
	v_mov_b32_e32 v75, 0
.LBB109_66:                             ;   in Loop: Header=BB109_54 Depth=1
	s_waitcnt vmcnt(0)
	v_cvt_pk_f16_f32 v0, v74, v75
	s_andn2_b64 vcc, exec, s[14:15]
	v_mov_b32_e32 v74, 0
	v_mov_b32_e32 v75, 0
	ds_write_b32 v87, v0 offset:592
	s_cbranch_vccnz .LBB109_70
; %bb.67:                               ;   in Loop: Header=BB109_54 Depth=1
	ds_read_b32 v0, v86 offset:12
	s_waitcnt lgkmcnt(0)
	v_cmp_gt_i32_e32 vcc, 0, v0
	s_cbranch_vccnz .LBB109_69
; %bb.68:                               ;   in Loop: Header=BB109_54 Depth=1
	v_mul_lo_u32 v0, v0, s53
	v_readlane_b32 vcc_lo, v91, 19
	s_nop 1
	v_add_u32_e32 v0, vcc_lo, v0
	v_add_u32_e32 v74, v0, v89
	v_ashrrev_i32_e32 v75, 31, v74
	v_lshl_add_u64 v[74:75], v[74:75], 2, v[6:7]
	global_load_dwordx2 v[74:75], v[74:75], off
	s_branch .LBB109_70
.LBB109_69:                             ;   in Loop: Header=BB109_54 Depth=1
	v_mov_b32_e32 v74, 0
	v_mov_b32_e32 v75, 0
.LBB109_70:                             ;   in Loop: Header=BB109_54 Depth=1
	s_waitcnt vmcnt(0)
	v_cvt_pk_f16_f32 v0, v74, v75
	v_mov_b32_e32 v74, 0
	s_andn2_b64 vcc, exec, s[16:17]
	v_mov_b32_e32 v77, 0
	ds_write_b32 v87, v0 offset:856
	s_cbranch_vccnz .LBB109_74
; %bb.71:                               ;   in Loop: Header=BB109_54 Depth=1
	ds_read_b32 v0, v86 offset:16
	s_waitcnt lgkmcnt(0)
	v_cmp_gt_i32_e32 vcc, 0, v0
	s_cbranch_vccnz .LBB109_73
; %bb.72:                               ;   in Loop: Header=BB109_54 Depth=1
	v_mul_lo_u32 v0, v0, s53
	v_readlane_b32 vcc_lo, v91, 18
	s_nop 1
	v_add_u32_e32 v0, vcc_lo, v0
	v_add_u32_e32 v76, v0, v89
	v_ashrrev_i32_e32 v77, 31, v76
	v_lshl_add_u64 v[76:77], v[76:77], 2, v[6:7]
	global_load_dwordx2 v[76:77], v[76:77], off
	s_branch .LBB109_74
.LBB109_73:                             ;   in Loop: Header=BB109_54 Depth=1
	v_mov_b32_e32 v76, 0
	v_mov_b32_e32 v77, 0
.LBB109_74:                             ;   in Loop: Header=BB109_54 Depth=1
	s_waitcnt vmcnt(0)
	v_cvt_pk_f16_f32 v0, v76, v77
	s_andn2_b64 vcc, exec, s[18:19]
	v_mov_b32_e32 v76, 0
	v_mov_b32_e32 v77, 0
	ds_write_b32 v87, v0 offset:1120
	s_cbranch_vccnz .LBB109_78
; %bb.75:                               ;   in Loop: Header=BB109_54 Depth=1
	ds_read_b32 v0, v86 offset:20
	s_waitcnt lgkmcnt(0)
	v_cmp_gt_i32_e32 vcc, 0, v0
	s_cbranch_vccnz .LBB109_77
; %bb.76:                               ;   in Loop: Header=BB109_54 Depth=1
	v_mul_lo_u32 v0, v0, s53
	v_readlane_b32 vcc_lo, v91, 21
	s_nop 1
	v_add_u32_e32 v0, vcc_lo, v0
	v_add_u32_e32 v76, v0, v89
	v_ashrrev_i32_e32 v77, 31, v76
	v_lshl_add_u64 v[76:77], v[76:77], 2, v[6:7]
	global_load_dwordx2 v[76:77], v[76:77], off
	s_branch .LBB109_78
.LBB109_77:                             ;   in Loop: Header=BB109_54 Depth=1
	v_mov_b32_e32 v76, 0
	v_mov_b32_e32 v77, 0
.LBB109_78:                             ;   in Loop: Header=BB109_54 Depth=1
	s_waitcnt vmcnt(0)
	v_cvt_pk_f16_f32 v0, v76, v77
	v_mov_b32_e32 v78, 0
	s_andn2_b64 vcc, exec, s[20:21]
	v_mov_b32_e32 v75, 0
	ds_write_b32 v87, v0 offset:1384
	s_cbranch_vccnz .LBB109_82
; %bb.79:                               ;   in Loop: Header=BB109_54 Depth=1
	ds_read_b32 v0, v86 offset:24
	s_waitcnt lgkmcnt(0)
	v_cmp_gt_i32_e32 vcc, 0, v0
	s_cbranch_vccnz .LBB109_81
; %bb.80:                               ;   in Loop: Header=BB109_54 Depth=1
	v_mul_lo_u32 v0, v0, s53
	v_readlane_b32 vcc_lo, v91, 22
	s_nop 1
	v_add_u32_e32 v0, vcc_lo, v0
	v_add_u32_e32 v74, v0, v89
	v_ashrrev_i32_e32 v75, 31, v74
	v_lshl_add_u64 v[74:75], v[74:75], 2, v[6:7]
	global_load_dwordx2 v[74:75], v[74:75], off
	s_branch .LBB109_82
.LBB109_81:                             ;   in Loop: Header=BB109_54 Depth=1
	v_mov_b32_e32 v74, 0
	v_mov_b32_e32 v75, 0
.LBB109_82:                             ;   in Loop: Header=BB109_54 Depth=1
	s_waitcnt vmcnt(0)
	v_cvt_pk_f16_f32 v0, v74, v75
	s_andn2_b64 vcc, exec, s[22:23]
	v_mov_b32_e32 v74, 0
	v_mov_b32_e32 v75, 0
	ds_write_b32 v87, v0 offset:1648
	s_cbranch_vccnz .LBB109_86
; %bb.83:                               ;   in Loop: Header=BB109_54 Depth=1
	ds_read_b32 v0, v86 offset:28
	s_waitcnt lgkmcnt(0)
	v_cmp_gt_i32_e32 vcc, 0, v0
	s_cbranch_vccnz .LBB109_85
; %bb.84:                               ;   in Loop: Header=BB109_54 Depth=1
	v_mul_lo_u32 v0, v0, s53
	v_add_u32_e32 v0, s56, v0
	v_add_u32_e32 v74, v0, v89
	v_ashrrev_i32_e32 v75, 31, v74
	v_lshl_add_u64 v[74:75], v[74:75], 2, v[6:7]
	global_load_dwordx2 v[74:75], v[74:75], off
	s_branch .LBB109_86
.LBB109_85:                             ;   in Loop: Header=BB109_54 Depth=1
	v_mov_b32_e32 v74, 0
	v_mov_b32_e32 v75, 0
.LBB109_86:                             ;   in Loop: Header=BB109_54 Depth=1
	s_waitcnt vmcnt(0)
	v_cvt_pk_f16_f32 v0, v74, v75
	v_mov_b32_e32 v76, 0
	s_andn2_b64 vcc, exec, s[24:25]
	v_mov_b32_e32 v79, 0
	ds_write_b32 v87, v0 offset:1912
	s_cbranch_vccnz .LBB109_90
; %bb.87:                               ;   in Loop: Header=BB109_54 Depth=1
	ds_read_b32 v0, v86 offset:32
	s_waitcnt lgkmcnt(0)
	v_cmp_gt_i32_e32 vcc, 0, v0
	s_cbranch_vccnz .LBB109_89
; %bb.88:                               ;   in Loop: Header=BB109_54 Depth=1
	v_mul_lo_u32 v0, v0, s53
	v_readlane_b32 vcc_lo, v91, 20
	s_nop 1
	v_add_u32_e32 v0, vcc_lo, v0
	v_add_u32_e32 v74, v0, v89
	v_ashrrev_i32_e32 v75, 31, v74
	v_lshl_add_u64 v[74:75], v[74:75], 2, v[6:7]
	global_load_dwordx2 v[78:79], v[74:75], off
	s_branch .LBB109_90
.LBB109_89:                             ;   in Loop: Header=BB109_54 Depth=1
	v_mov_b32_e32 v78, 0
	v_mov_b32_e32 v79, 0
.LBB109_90:                             ;   in Loop: Header=BB109_54 Depth=1
	s_waitcnt vmcnt(0)
	v_cvt_pk_f16_f32 v0, v78, v79
	s_andn2_b64 vcc, exec, s[26:27]
	v_mov_b32_e32 v74, 0
	v_mov_b32_e32 v75, 0
	ds_write_b32 v87, v0 offset:2176
	s_cbranch_vccnz .LBB109_94
; %bb.91:                               ;   in Loop: Header=BB109_54 Depth=1
	ds_read_b32 v0, v86 offset:36
	s_waitcnt lgkmcnt(0)
	v_cmp_gt_i32_e32 vcc, 0, v0
	s_cbranch_vccnz .LBB109_93
; %bb.92:                               ;   in Loop: Header=BB109_54 Depth=1
	v_mul_lo_u32 v0, v0, s53
	v_readlane_b32 vcc_lo, v91, 26
	s_nop 1
	v_add_u32_e32 v0, vcc_lo, v0
	v_add_u32_e32 v74, v0, v89
	v_ashrrev_i32_e32 v75, 31, v74
	v_lshl_add_u64 v[74:75], v[74:75], 2, v[6:7]
	global_load_dwordx2 v[74:75], v[74:75], off
	s_branch .LBB109_94
.LBB109_93:                             ;   in Loop: Header=BB109_54 Depth=1
	v_mov_b32_e32 v74, 0
	v_mov_b32_e32 v75, 0
.LBB109_94:                             ;   in Loop: Header=BB109_54 Depth=1
	s_waitcnt vmcnt(0)
	v_cvt_pk_f16_f32 v0, v74, v75
	v_mov_b32_e32 v74, 0
	s_andn2_b64 vcc, exec, s[28:29]
	v_mov_b32_e32 v77, 0
	ds_write_b32 v87, v0 offset:2440
	s_cbranch_vccnz .LBB109_98
; %bb.95:                               ;   in Loop: Header=BB109_54 Depth=1
	ds_read_b32 v0, v86 offset:40
	s_waitcnt lgkmcnt(0)
	v_cmp_gt_i32_e32 vcc, 0, v0
	s_cbranch_vccnz .LBB109_97
; %bb.96:                               ;   in Loop: Header=BB109_54 Depth=1
	v_mul_lo_u32 v0, v0, s53
	v_readlane_b32 vcc_lo, v91, 25
	s_nop 1
	v_add_u32_e32 v0, vcc_lo, v0
	v_add_u32_e32 v76, v0, v89
	v_ashrrev_i32_e32 v77, 31, v76
	v_lshl_add_u64 v[76:77], v[76:77], 2, v[6:7]
	global_load_dwordx2 v[76:77], v[76:77], off
	s_branch .LBB109_98
.LBB109_97:                             ;   in Loop: Header=BB109_54 Depth=1
	v_mov_b32_e32 v76, 0
	v_mov_b32_e32 v77, 0
.LBB109_98:                             ;   in Loop: Header=BB109_54 Depth=1
	s_waitcnt vmcnt(0)
	v_cvt_pk_f16_f32 v0, v76, v77
	s_andn2_b64 vcc, exec, s[30:31]
	v_mov_b32_e32 v76, 0
	v_mov_b32_e32 v77, 0
	ds_write_b32 v87, v0 offset:2704
	s_cbranch_vccnz .LBB109_102
; %bb.99:                               ;   in Loop: Header=BB109_54 Depth=1
	ds_read_b32 v0, v86 offset:44
	s_waitcnt lgkmcnt(0)
	v_cmp_gt_i32_e32 vcc, 0, v0
	s_cbranch_vccnz .LBB109_101
; %bb.100:                              ;   in Loop: Header=BB109_54 Depth=1
	v_mul_lo_u32 v0, v0, s53
	v_readlane_b32 vcc_lo, v91, 24
	s_nop 1
	v_add_u32_e32 v0, vcc_lo, v0
	v_add_u32_e32 v76, v0, v89
	v_ashrrev_i32_e32 v77, 31, v76
	v_lshl_add_u64 v[76:77], v[76:77], 2, v[6:7]
	global_load_dwordx2 v[76:77], v[76:77], off
	s_branch .LBB109_102
.LBB109_101:                            ;   in Loop: Header=BB109_54 Depth=1
	v_mov_b32_e32 v76, 0
	v_mov_b32_e32 v77, 0
.LBB109_102:                            ;   in Loop: Header=BB109_54 Depth=1
	s_waitcnt vmcnt(0)
	v_cvt_pk_f16_f32 v0, v76, v77
	s_andn2_b64 vcc, exec, s[34:35]
	v_mov_b32_e32 v75, 0
	ds_write_b32 v87, v0 offset:2968
	s_cbranch_vccnz .LBB109_53
; %bb.103:                              ;   in Loop: Header=BB109_54 Depth=1
	ds_read_b32 v0, v86 offset:48
	s_waitcnt lgkmcnt(0)
	v_cmp_gt_i32_e32 vcc, 0, v0
	s_cbranch_vccz .LBB109_52
; %bb.104:                              ;   in Loop: Header=BB109_54 Depth=1
	v_mov_b32_e32 v74, 0
	v_mov_b32_e32 v75, 0
	s_branch .LBB109_53
.LBB109_105:
	s_or_b64 exec, exec, s[46:47]
	v_readlane_b32 s24, v91, 10
	v_readlane_b32 s28, v91, 14
	;; [unrolled: 1-line block ×8, first 2 shown]
.LBB109_106:
	v_readlane_b32 s0, v91, 8
	v_readlane_b32 s1, v91, 9
	s_or_b64 exec, exec, s[0:1]
	v_mov_b32_e32 v1, 0x100
	v_lshl_add_u32 v0, v83, 2, v1
	v_mul_u32_u24_e32 v4, 0x408, v84
	v_and_b32_e32 v5, 0x3f0, v2
	v_add3_u32 v4, v0, v4, v5
	v_accvgpr_read_b32 v5, a13
	v_accvgpr_read_b32 v6, a12
	s_waitcnt lgkmcnt(0)
	s_barrier
	ds_write2_b32 v4, v6, v5 offset0:16 offset1:17
	v_accvgpr_read_b32 v5, a15
	v_accvgpr_read_b32 v6, a14
	ds_write2_b32 v4, v6, v5 offset0:18 offset1:19
	v_accvgpr_read_b32 v5, a9
	v_accvgpr_read_b32 v6, a8
	;; [unrolled: 3-line block ×5, first 2 shown]
	s_movk_i32 s0, 0x408
	ds_write2_b32 v4, v6, v5 offset0:50 offset1:51
	v_accvgpr_read_b32 v5, a1
	v_accvgpr_read_b32 v6, a0
	v_lshl_add_u32 v8, v2, 2, v1
	ds_write2_b32 v4, v6, v5 offset0:64 offset1:65
	v_accvgpr_read_b32 v5, a3
	v_accvgpr_read_b32 v6, a2
	v_mad_u32_u24 v1, v80, s0, v8
	ds_write2_b32 v4, v6, v5 offset0:66 offset1:67
	s_waitcnt lgkmcnt(0)
	s_barrier
	ds_read2_b32 v[6:7], v1 offset0:16 offset1:80
	ds_read2_b32 v[4:5], v1 offset0:144 offset1:208
	v_cmp_gt_u32_e32 vcc, 13, v80
	v_mov_b32_e32 v10, -1
	s_and_saveexec_b64 s[0:1], vcc
; %bb.107:
	s_movk_i32 s2, 0xff04
	v_mad_i32_i24 v0, v80, s2, v0
	ds_read_b32 v10, v0
; %bb.108:
	s_or_b64 exec, exec, s[0:1]
	s_mul_hi_i32 s1, s30, s22
	s_mul_i32 s0, s30, s22
	s_lshl_b64 s[0:1], s[0:1], 2
	v_readlane_b32 s2, v91, 6
	v_mul_hi_i32 v1, v3, s49
	v_mul_lo_u32 v0, v3, s49
	v_readlane_b32 s3, v91, 7
	s_add_u32 s0, s2, s0
	s_addc_u32 s1, s3, s1
	v_lshlrev_b64 v[0:1], 2, v[0:1]
	s_waitcnt lgkmcnt(0)
	v_cmp_lt_i32_e32 vcc, -1, v10
	v_mul_u32_u24_e32 v11, 0x408, v80
	v_add_u32_e32 v9, s7, v2
	v_lshl_add_u64 v[0:1], s[0:1], 0, v[0:1]
	s_and_b64 s[2:3], vcc, s[24:25]
	s_and_saveexec_b64 s[0:1], s[2:3]
	s_cbranch_execz .LBB109_110
; %bb.109:
	v_add_f32_e32 v2, 0, v6
	v_add_f32_e32 v2, v2, v7
	;; [unrolled: 1-line block ×4, first 2 shown]
	v_mul_lo_u32 v2, v10, s54
	v_mul_lo_u32 v3, v80, s49
	v_add3_u32 v2, v9, v3, v2
	v_mov_b32_e32 v3, 0
	v_lshl_add_u64 v[2:3], v[2:3], 2, v[0:1]
	global_store_dword v[2:3], v4, off
.LBB109_110:
	s_or_b64 exec, exec, s[0:1]
	v_add_u32_e32 v6, v11, v8
	v_add_u32_e32 v2, 0x60, v6
	ds_read2st64_b32 v[4:5], v2 offset0:16 offset1:17
	ds_read2st64_b32 v[2:3], v2 offset0:18 offset1:19
	v_cmp_gt_u32_e32 vcc, 9, v80
	v_mov_b32_e32 v7, -1
	s_and_saveexec_b64 s[0:1], vcc
; %bb.111:
	v_mov_b32_e32 v7, 0x100
	v_lshl_add_u32 v7, v80, 2, v7
	ds_read_b32 v7, v7 offset:16
; %bb.112:
	s_or_b64 exec, exec, s[0:1]
	v_readlane_b32 s0, v91, 0
	s_waitcnt lgkmcnt(0)
	v_cmp_lt_i32_e32 vcc, -1, v7
	v_readlane_b32 s1, v91, 1
	s_and_b64 s[2:3], vcc, s[0:1]
	s_and_saveexec_b64 s[0:1], s[2:3]
	s_cbranch_execz .LBB109_114
; %bb.113:
	v_add_f32_e32 v4, 0, v4
	v_add_f32_e32 v4, v4, v5
	;; [unrolled: 1-line block ×4, first 2 shown]
	v_mul_lo_u32 v2, v7, s54
	v_mul_lo_u32 v3, v81, s49
	v_add3_u32 v2, v9, v3, v2
	v_mov_b32_e32 v3, 0
	v_lshl_add_u64 v[2:3], v[2:3], 2, v[0:1]
	global_store_dword v[2:3], v4, off
.LBB109_114:
	s_or_b64 exec, exec, s[0:1]
	v_add_u32_e32 v2, 0x80, v6
	ds_read2st64_b32 v[4:5], v2 offset0:32 offset1:33
	ds_read2st64_b32 v[2:3], v2 offset0:34 offset1:35
	v_cmp_gt_u32_e32 vcc, 5, v80
	v_mov_b32_e32 v6, -1
	s_and_saveexec_b64 s[0:1], vcc
; %bb.115:
	v_mov_b32_e32 v6, 0x100
	v_lshl_add_u32 v6, v80, 2, v6
	ds_read_b32 v6, v6 offset:32
; %bb.116:
	s_or_b64 exec, exec, s[0:1]
	v_readlane_b32 s0, v91, 2
	s_waitcnt lgkmcnt(0)
	v_cmp_lt_i32_e32 vcc, -1, v6
	v_readlane_b32 s1, v91, 3
	s_and_b64 s[2:3], vcc, s[0:1]
	s_and_saveexec_b64 s[0:1], s[2:3]
	s_cbranch_execz .LBB109_118
; %bb.117:
	v_add_f32_e32 v4, 0, v4
	v_add_f32_e32 v4, v4, v5
	;; [unrolled: 1-line block ×4, first 2 shown]
	v_mul_lo_u32 v2, v6, s54
	v_mul_lo_u32 v3, v82, s49
	v_add3_u32 v2, v9, v3, v2
	v_mov_b32_e32 v3, 0
	v_lshl_add_u64 v[2:3], v[2:3], 2, v[0:1]
	global_store_dword v[2:3], v4, off
.LBB109_118:
	s_or_b64 exec, exec, s[0:1]
	v_cmp_eq_u32_e32 vcc, 0, v80
	s_and_saveexec_b64 s[0:1], vcc
	s_cbranch_execz .LBB109_121
; %bb.119:
	v_mov_b32_e32 v2, 0x100
	ds_read_b32 v2, v2 offset:48
	v_readlane_b32 s2, v91, 4
	v_readlane_b32 s3, v91, 5
	s_waitcnt lgkmcnt(0)
	v_readfirstlane_b32 s0, v2
	s_cmp_gt_i32 s0, -1
	s_cselect_b64 s[0:1], -1, 0
	s_and_b64 s[0:1], s[0:1], s[2:3]
	s_and_b64 exec, exec, s[0:1]
	s_cbranch_execz .LBB109_121
; %bb.120:
	v_add_u32_e32 v3, 0xa0, v8
	ds_read2st64_b32 v[4:5], v3 offset0:48 offset1:49
	v_mul_lo_u32 v6, v2, s54
	ds_read2st64_b32 v[2:3], v3 offset0:50 offset1:51
	s_mul_i32 s0, s49, 12
	v_add_u32_e32 v6, s0, v6
	s_waitcnt lgkmcnt(1)
	v_add_f32_e32 v4, 0, v4
	v_add_f32_e32 v4, v4, v5
	s_waitcnt lgkmcnt(0)
	v_add_f32_e32 v2, v4, v2
	v_add_f32_e32 v4, v2, v3
	v_add_u32_e32 v2, v6, v9
	v_mov_b32_e32 v3, 0
	v_lshl_add_u64 v[0:1], v[2:3], 2, v[0:1]
	global_store_dword v[0:1], v4, off
.LBB109_121:
	s_endpgm
	.section	.rodata,"a",@progbits
	.p2align	6, 0x0
	.amdhsa_kernel _ZL9mul_mat_fI7__half2Li64ELi13ELi4ELb1EEvPKT_PKfPKiPfiiiiiiiiiiiiiiii
		.amdhsa_group_segment_fixed_size 256
		.amdhsa_private_segment_fixed_size 0
		.amdhsa_kernarg_size 352
		.amdhsa_user_sgpr_count 2
		.amdhsa_user_sgpr_dispatch_ptr 0
		.amdhsa_user_sgpr_queue_ptr 0
		.amdhsa_user_sgpr_kernarg_segment_ptr 1
		.amdhsa_user_sgpr_dispatch_id 0
		.amdhsa_user_sgpr_kernarg_preload_length 0
		.amdhsa_user_sgpr_kernarg_preload_offset 0
		.amdhsa_user_sgpr_private_segment_size 0
		.amdhsa_uses_dynamic_stack 0
		.amdhsa_enable_private_segment 0
		.amdhsa_system_sgpr_workgroup_id_x 1
		.amdhsa_system_sgpr_workgroup_id_y 1
		.amdhsa_system_sgpr_workgroup_id_z 1
		.amdhsa_system_sgpr_workgroup_info 0
		.amdhsa_system_vgpr_workitem_id 2
		.amdhsa_next_free_vgpr 108
		.amdhsa_next_free_sgpr 100
		.amdhsa_accum_offset 92
		.amdhsa_reserve_vcc 1
		.amdhsa_float_round_mode_32 0
		.amdhsa_float_round_mode_16_64 0
		.amdhsa_float_denorm_mode_32 3
		.amdhsa_float_denorm_mode_16_64 3
		.amdhsa_dx10_clamp 1
		.amdhsa_ieee_mode 1
		.amdhsa_fp16_overflow 0
		.amdhsa_tg_split 0
		.amdhsa_exception_fp_ieee_invalid_op 0
		.amdhsa_exception_fp_denorm_src 0
		.amdhsa_exception_fp_ieee_div_zero 0
		.amdhsa_exception_fp_ieee_overflow 0
		.amdhsa_exception_fp_ieee_underflow 0
		.amdhsa_exception_fp_ieee_inexact 0
		.amdhsa_exception_int_div_zero 0
	.end_amdhsa_kernel
	.section	.text._ZL9mul_mat_fI7__half2Li64ELi13ELi4ELb1EEvPKT_PKfPKiPfiiiiiiiiiiiiiiii,"axG",@progbits,_ZL9mul_mat_fI7__half2Li64ELi13ELi4ELb1EEvPKT_PKfPKiPfiiiiiiiiiiiiiiii,comdat
.Lfunc_end109:
	.size	_ZL9mul_mat_fI7__half2Li64ELi13ELi4ELb1EEvPKT_PKfPKiPfiiiiiiiiiiiiiiii, .Lfunc_end109-_ZL9mul_mat_fI7__half2Li64ELi13ELi4ELb1EEvPKT_PKfPKiPfiiiiiiiiiiiiiiii
                                        ; -- End function
	.set _ZL9mul_mat_fI7__half2Li64ELi13ELi4ELb1EEvPKT_PKfPKiPfiiiiiiiiiiiiiiii.num_vgpr, 92
	.set _ZL9mul_mat_fI7__half2Li64ELi13ELi4ELb1EEvPKT_PKfPKiPfiiiiiiiiiiiiiiii.num_agpr, 16
	.set _ZL9mul_mat_fI7__half2Li64ELi13ELi4ELb1EEvPKT_PKfPKiPfiiiiiiiiiiiiiiii.numbered_sgpr, 100
	.set _ZL9mul_mat_fI7__half2Li64ELi13ELi4ELb1EEvPKT_PKfPKiPfiiiiiiiiiiiiiiii.num_named_barrier, 0
	.set _ZL9mul_mat_fI7__half2Li64ELi13ELi4ELb1EEvPKT_PKfPKiPfiiiiiiiiiiiiiiii.private_seg_size, 0
	.set _ZL9mul_mat_fI7__half2Li64ELi13ELi4ELb1EEvPKT_PKfPKiPfiiiiiiiiiiiiiiii.uses_vcc, 1
	.set _ZL9mul_mat_fI7__half2Li64ELi13ELi4ELb1EEvPKT_PKfPKiPfiiiiiiiiiiiiiiii.uses_flat_scratch, 0
	.set _ZL9mul_mat_fI7__half2Li64ELi13ELi4ELb1EEvPKT_PKfPKiPfiiiiiiiiiiiiiiii.has_dyn_sized_stack, 0
	.set _ZL9mul_mat_fI7__half2Li64ELi13ELi4ELb1EEvPKT_PKfPKiPfiiiiiiiiiiiiiiii.has_recursion, 0
	.set _ZL9mul_mat_fI7__half2Li64ELi13ELi4ELb1EEvPKT_PKfPKiPfiiiiiiiiiiiiiiii.has_indirect_call, 0
	.section	.AMDGPU.csdata,"",@progbits
; Kernel info:
; codeLenInByte = 8616
; TotalNumSgprs: 106
; NumVgprs: 92
; NumAgprs: 16
; TotalNumVgprs: 108
; ScratchSize: 0
; MemoryBound: 0
; FloatMode: 240
; IeeeMode: 1
; LDSByteSize: 256 bytes/workgroup (compile time only)
; SGPRBlocks: 13
; VGPRBlocks: 13
; NumSGPRsForWavesPerEU: 106
; NumVGPRsForWavesPerEU: 108
; AccumOffset: 92
; Occupancy: 4
; WaveLimiterHint : 0
; COMPUTE_PGM_RSRC2:SCRATCH_EN: 0
; COMPUTE_PGM_RSRC2:USER_SGPR: 2
; COMPUTE_PGM_RSRC2:TRAP_HANDLER: 0
; COMPUTE_PGM_RSRC2:TGID_X_EN: 1
; COMPUTE_PGM_RSRC2:TGID_Y_EN: 1
; COMPUTE_PGM_RSRC2:TGID_Z_EN: 1
; COMPUTE_PGM_RSRC2:TIDIG_COMP_CNT: 2
; COMPUTE_PGM_RSRC3_GFX90A:ACCUM_OFFSET: 22
; COMPUTE_PGM_RSRC3_GFX90A:TG_SPLIT: 0
	.section	.text._ZL9mul_mat_fI7__half2Li64ELi13ELi4ELb0EEvPKT_PKfPKiPfiiiiiiiiiiiiiiii,"axG",@progbits,_ZL9mul_mat_fI7__half2Li64ELi13ELi4ELb0EEvPKT_PKfPKiPfiiiiiiiiiiiiiiii,comdat
	.globl	_ZL9mul_mat_fI7__half2Li64ELi13ELi4ELb0EEvPKT_PKfPKiPfiiiiiiiiiiiiiiii ; -- Begin function _ZL9mul_mat_fI7__half2Li64ELi13ELi4ELb0EEvPKT_PKfPKiPfiiiiiiiiiiiiiiii
	.p2align	8
	.type	_ZL9mul_mat_fI7__half2Li64ELi13ELi4ELb0EEvPKT_PKfPKiPfiiiiiiiiiiiiiiii,@function
_ZL9mul_mat_fI7__half2Li64ELi13ELi4ELb0EEvPKT_PKfPKiPfiiiiiiiiiiiiiiii: ; @_ZL9mul_mat_fI7__half2Li64ELi13ELi4ELb0EEvPKT_PKfPKiPfiiiiiiiiiiiiiiii
; %bb.0:
	s_load_dword s5, s[0:1], 0x20
	s_load_dwordx4 s[16:19], s[0:1], 0x2c
	v_bfe_u32 v82, v0, 10, 10
	v_lshlrev_b32_e32 v84, 6, v82
	v_and_b32_e32 v83, 0x3ff, v0
	v_add_u32_e32 v86, v84, v83
	s_waitcnt lgkmcnt(0)
	s_ashr_i32 s19, s4, 31
	v_cmp_le_i32_e32 vcc, s5, v86
	v_and_b32_e32 v85, 15, v83
	s_and_saveexec_b64 s[6:7], vcc
	s_xor_b64 s[6:7], exec, s[6:7]
; %bb.1:
	v_and_b32_e32 v85, 15, v83
                                        ; implicit-def: $vgpr86
; %bb.2:
	s_or_saveexec_b64 s[24:25], s[6:7]
	s_load_dwordx8 s[8:15], s[0:1], 0x40
	s_load_dwordx2 s[6:7], s[0:1], 0x18
	s_lshl_b32 s2, s2, 6
	v_mov_b32_e32 v1, 0
	v_accvgpr_write_b32 a0, 0
	v_accvgpr_write_b32 a1, 0
	;; [unrolled: 1-line block ×16, first 2 shown]
	s_xor_b64 exec, exec, s[24:25]
	s_cbranch_execz .LBB110_6
; %bb.3:
	s_waitcnt lgkmcnt(0)
	s_abs_i32 s26, s8
	v_cvt_f32_u32_e32 v0, s26
	s_abs_i32 s27, s12
	v_cvt_f32_u32_e32 v2, s27
	s_sub_i32 s20, 0, s26
	v_rcp_iflag_f32_e32 v0, v0
	s_abs_i32 s28, s3
	v_rcp_iflag_f32_e32 v2, v2
	s_sub_i32 s21, 0, s27
	v_mul_f32_e32 v0, 0x4f7ffffe, v0
	v_cvt_u32_f32_e32 v0, v0
	v_mul_f32_e32 v2, 0x4f7ffffe, v2
	v_cvt_u32_f32_e32 v2, v2
	s_abs_i32 s29, s4
	v_mul_lo_u32 v3, s20, v0
	v_mul_hi_u32 v3, v0, v3
	v_add_u32_e32 v0, v0, v3
	v_mul_hi_u32 v0, s28, v0
	v_mul_lo_u32 v4, s21, v2
	v_mul_lo_u32 v3, v0, s26
	v_mul_hi_u32 v4, v2, v4
	v_sub_u32_e32 v3, s28, v3
	v_add_u32_e32 v2, v2, v4
	v_subrev_u32_e32 v5, s26, v3
	v_cmp_le_u32_e32 vcc, s26, v3
	v_mul_hi_u32 v2, s29, v2
	v_add_u32_e32 v4, 1, v0
	v_cndmask_b32_e32 v3, v3, v5, vcc
	v_cndmask_b32_e32 v0, v0, v4, vcc
	v_cmp_le_u32_e32 vcc, s26, v3
	v_mul_lo_u32 v3, v2, s27
	s_load_dwordx4 s[20:23], s[0:1], 0x0
	s_ashr_i32 s0, s3, 31
	s_ashr_i32 s1, s8, 31
	v_add_u32_e32 v4, 1, v0
	v_sub_u32_e32 v3, s29, v3
	s_xor_b32 s0, s0, s1
	v_cndmask_b32_e32 v0, v0, v4, vcc
	v_add_u32_e32 v4, 1, v2
	v_subrev_u32_e32 v5, s27, v3
	v_cmp_le_u32_e32 vcc, s27, v3
	v_xor_b32_e32 v0, s0, v0
	s_ashr_i32 s8, s12, 31
	v_cndmask_b32_e32 v2, v2, v4, vcc
	v_cndmask_b32_e32 v3, v3, v5, vcc
	v_subrev_u32_e32 v0, s0, v0
	v_add_u32_e32 v4, 1, v2
	v_cmp_le_u32_e32 vcc, s27, v3
	s_xor_b32 s0, s19, s8
	s_mul_i32 s8, s14, s4
	v_cndmask_b32_e32 v2, v2, v4, vcc
	v_mul_lo_u32 v4, v0, s9
	s_mul_hi_i32 s9, s14, s4
	v_xor_b32_e32 v2, s0, v2
	s_lshl_b64 s[26:27], s[8:9], 2
	v_subrev_u32_e32 v2, s0, v2
	s_mul_i32 s0, s16, s2
	s_mul_i32 s28, s10, s3
	s_waitcnt lgkmcnt(0)
	s_add_u32 s8, s22, s26
	v_mul_hi_i32 v3, v2, s13
	v_mul_lo_u32 v2, v2, s13
	s_addc_u32 s9, s23, s27
	s_ashr_i32 s1, s0, 31
	s_ashr_i32 s29, s28, 31
	v_ashrrev_i32_e32 v5, 31, v4
	v_lshlrev_b64 v[6:7], 2, v[2:3]
	s_lshl_b64 s[12:13], s[0:1], 2
	s_lshl_b64 s[28:29], s[28:29], 2
	v_lshl_add_u64 v[2:3], s[20:21], 0, v[6:7]
	v_lshlrev_b64 v[4:5], 2, v[4:5]
	s_add_u32 s0, s8, s28
	s_movk_i32 s8, 0x1080
	v_lshrrev_b32_e32 v10, 1, v83
	v_lshl_add_u64 v[2:3], v[2:3], 0, v[4:5]
	v_mad_u32_u24 v0, v82, s8, 0
	v_lshlrev_b32_e32 v8, 2, v83
	v_mul_u32_u24_e32 v9, 0x108, v85
	v_and_b32_e32 v10, 0x1f8, v10
	v_lshl_add_u64 v[4:5], v[4:5], 0, s[12:13]
	s_addc_u32 s1, s9, s29
	v_add_u32_e32 v87, v0, v8
	v_add3_u32 v88, v0, v9, v10
	s_ashr_i32 s9, s16, 31
	s_mov_b32 s8, s16
	s_ashr_i32 s31, s17, 31
	s_mov_b32 s30, s17
	v_lshlrev_b32_e32 v0, 8, v82
	v_lshl_add_u64 v[4:5], v[4:5], 0, v[6:7]
	v_lshl_add_u64 v[2:3], v[2:3], 0, s[12:13]
	s_add_i32 s10, s16, s16
	s_add_i32 s14, s17, s17
	s_lshl_b32 s33, s17, 2
	s_lshl_b32 s37, s17, 3
	;; [unrolled: 1-line block ×6, first 2 shown]
	s_lshl_b64 s[8:9], s[8:9], 2
	s_lshl_b64 s[12:13], s[30:31], 3
	v_lshl_add_u64 v[4:5], v[4:5], 0, v[0:1]
	v_lshlrev_b32_e32 v0, 9, v82
	s_add_u32 s22, s22, s28
	v_mov_b32_e32 v9, v1
	v_lshl_add_u64 v[6:7], s[26:27], 0, v[0:1]
	v_lshlrev_b32_e32 v0, 3, v83
	s_addc_u32 s23, s23, s29
	v_lshl_add_u64 v[4:5], v[4:5], 0, v[8:9]
	v_lshl_add_u64 v[6:7], v[6:7], 0, v[0:1]
	s_mul_i32 s19, s17, 3
	s_mul_i32 s34, s17, 5
	;; [unrolled: 1-line block ×39, first 2 shown]
	v_lshl_add_u64 v[4:5], s[20:21], 0, v[4:5]
	s_mul_i32 s30, s16, 38
	s_mul_i32 s31, s16, 39
	;; [unrolled: 1-line block ×6, first 2 shown]
	v_lshl_add_u64 v[6:7], s[22:23], 0, v[6:7]
	s_mul_i32 s77, s16, 44
	s_mul_i32 s78, s16, 45
	v_accvgpr_write_b32 a15, 0
	v_accvgpr_write_b32 a14, 0
	;; [unrolled: 1-line block ×16, first 2 shown]
	s_mul_i32 s79, s16, 46
	s_mul_i32 s80, s16, 47
	;; [unrolled: 1-line block ×18, first 2 shown]
	s_mov_b64 s[16:17], 0
	s_mov_b64 s[20:21], 0x400
	;; [unrolled: 1-line block ×3, first 2 shown]
.LBB110_4:                              ; =>This Inner Loop Header: Depth=1
	v_add_u32_e32 v80, s10, v86
	v_add_u32_e32 v10, s42, v86
	;; [unrolled: 1-line block ×3, first 2 shown]
	v_lshl_add_u64 v[8:9], v[4:5], 0, s[8:9]
	v_add_u32_e32 v12, s44, v86
	v_add_u32_e32 v76, s45, v86
	v_ashrrev_i32_e32 v81, 31, v80
	v_ashrrev_i32_e32 v11, 31, v10
	;; [unrolled: 1-line block ×3, first 2 shown]
	v_add_u32_e32 v14, s46, v86
	v_add_u32_e32 v74, s47, v86
	global_load_dword v89, v[8:9], off
	v_lshl_add_u64 v[8:9], v[80:81], 2, v[2:3]
	v_lshl_add_u64 v[10:11], v[10:11], 2, v[2:3]
	;; [unrolled: 1-line block ×3, first 2 shown]
	v_ashrrev_i32_e32 v13, 31, v12
	v_ashrrev_i32_e32 v77, 31, v76
	v_add_u32_e32 v18, s48, v86
	v_add_u32_e32 v72, s49, v86
	global_load_dword v80, v[8:9], off
	global_load_dword v79, v[10:11], off
	;; [unrolled: 1-line block ×3, first 2 shown]
	v_lshl_add_u64 v[12:13], v[12:13], 2, v[2:3]
	v_lshl_add_u64 v[90:91], v[76:77], 2, v[2:3]
	v_ashrrev_i32_e32 v15, 31, v14
	v_ashrrev_i32_e32 v75, 31, v74
	v_add_u32_e32 v40, s50, v86
	v_add_u32_e32 v70, s51, v86
	global_load_dword v77, v[12:13], off
	global_load_dword v76, v[90:91], off
	v_lshl_add_u64 v[14:15], v[14:15], 2, v[2:3]
	v_lshl_add_u64 v[90:91], v[74:75], 2, v[2:3]
	v_ashrrev_i32_e32 v19, 31, v18
	v_ashrrev_i32_e32 v73, 31, v72
	v_add_u32_e32 v44, s52, v86
	v_add_u32_e32 v68, s53, v86
	global_load_dword v75, v[14:15], off
	global_load_dword v74, v[90:91], off
	;; [unrolled: 8-line block ×10, first 2 shown]
	v_lshl_add_u64 v[42:43], v[42:43], 2, v[2:3]
	v_lshl_add_u64 v[90:91], v[46:47], 2, v[2:3]
	v_ashrrev_i32_e32 v31, 31, v30
	v_ashrrev_i32_e32 v39, 31, v38
	v_add_u32_e32 v16, s70, v86
	v_add_u32_e32 v32, s71, v86
	;; [unrolled: 1-line block ×8, first 2 shown]
	global_load_dword v46, v[42:43], off
	global_load_dword v47, v[90:91], off
	v_lshl_add_u64 v[30:31], v[30:31], 2, v[2:3]
	v_lshl_add_u64 v[90:91], v[38:39], 2, v[2:3]
	v_ashrrev_i32_e32 v21, 31, v20
	v_ashrrev_i32_e32 v29, 31, v28
	v_add_u32_e32 v36, s28, v86
	v_add_u32_e32 v12, s75, v86
	;; [unrolled: 1-line block ×3, first 2 shown]
	global_load_dword v38, v[30:31], off
	global_load_dword v39, v[90:91], off
	v_lshl_add_u64 v[20:21], v[20:21], 2, v[2:3]
	v_lshl_add_u64 v[90:91], v[28:29], 2, v[2:3]
	v_ashrrev_i32_e32 v17, 31, v16
	v_ashrrev_i32_e32 v33, 31, v32
	;; [unrolled: 1-line block ×8, first 2 shown]
	v_add_u32_e32 v18, s26, v86
	v_add_u32_e32 v40, s27, v86
	global_load_dword v28, v[20:21], off
	global_load_dword v29, v[90:91], off
	v_lshl_add_u64 v[16:17], v[16:17], 2, v[2:3]
	v_lshl_add_u64 v[90:91], v[32:33], 2, v[2:3]
	v_lshl_add_u64 v[22:23], v[22:23], 2, v[2:3]
	v_lshl_add_u64 v[34:35], v[34:35], 2, v[2:3]
	v_ashrrev_i32_e32 v37, 31, v36
	v_lshl_add_u64 v[24:25], v[24:25], 2, v[2:3]
	v_lshl_add_u64 v[26:27], v[26:27], 2, v[2:3]
	v_lshl_add_u64 v[8:9], v[8:9], 2, v[2:3]
	v_lshl_add_u64 v[10:11], v[10:11], 2, v[2:3]
	v_ashrrev_i32_e32 v13, 31, v12
	v_ashrrev_i32_e32 v15, 31, v14
	v_add_u32_e32 v44, s77, v86
	v_add_u32_e32 v52, s78, v86
	global_load_dword v32, v[16:17], off
	global_load_dword v69, v[90:91], off
	;; [unrolled: 1-line block ×3, first 2 shown]
	s_nop 0
	global_load_dword v90, v[34:35], off
	v_lshl_add_u64 v[34:35], v[36:37], 2, v[2:3]
	global_load_dword v91, v[24:25], off
	global_load_dword v92, v[34:35], off
	s_nop 0
	global_load_dword v26, v[26:27], off
	s_nop 0
	global_load_dword v33, v[4:5], off
	global_load_dword v27, v[8:9], off
	;; [unrolled: 1-line block ×3, first 2 shown]
	s_nop 0
	global_load_dwordx2 v[8:9], v[6:7], off
	v_lshl_add_u64 v[10:11], v[12:13], 2, v[2:3]
	v_lshl_add_u64 v[12:13], v[14:15], 2, v[2:3]
	v_ashrrev_i32_e32 v19, 31, v18
	v_ashrrev_i32_e32 v41, 31, v40
	v_add_u32_e32 v56, s79, v86
	v_add_u32_e32 v60, s80, v86
	global_load_dword v94, v[10:11], off
	global_load_dword v95, v[12:13], off
	v_lshl_add_u64 v[12:13], v[18:19], 2, v[2:3]
	v_lshl_add_u64 v[14:15], v[40:41], 2, v[2:3]
	v_ashrrev_i32_e32 v45, 31, v44
	v_ashrrev_i32_e32 v53, 31, v52
	v_add_u32_e32 v54, s81, v86
	v_add_u32_e32 v48, s82, v86
	global_load_dword v96, v[12:13], off
	global_load_dword v97, v[14:15], off
	v_lshl_add_u64 v[14:15], v[44:45], 2, v[2:3]
	v_lshl_add_u64 v[18:19], v[52:53], 2, v[2:3]
	v_ashrrev_i32_e32 v57, 31, v56
	v_ashrrev_i32_e32 v61, 31, v60
	v_add_u32_e32 v42, s83, v86
	v_add_u32_e32 v30, s84, v86
	;; [unrolled: 1-line block ×4, first 2 shown]
	global_load_dword v44, v[14:15], off
	global_load_dword v45, v[18:19], off
	v_lshl_add_u64 v[18:19], v[56:57], 2, v[2:3]
	v_lshl_add_u64 v[34:35], v[60:61], 2, v[2:3]
	v_ashrrev_i32_e32 v55, 31, v54
	v_ashrrev_i32_e32 v49, 31, v48
	v_add_u32_e32 v22, s87, v86
	v_add_u32_e32 v10, s89, v86
	;; [unrolled: 1-line block ×3, first 2 shown]
	global_load_dword v52, v[18:19], off
	global_load_dword v53, v[34:35], off
	v_lshl_add_u64 v[34:35], v[54:55], 2, v[2:3]
	v_lshl_add_u64 v[36:37], v[48:49], 2, v[2:3]
	v_ashrrev_i32_e32 v43, 31, v42
	v_ashrrev_i32_e32 v31, 31, v30
	;; [unrolled: 1-line block ×4, first 2 shown]
	v_add_u32_e32 v24, s88, v86
	v_add_u32_e32 v14, s91, v86
	;; [unrolled: 1-line block ×3, first 2 shown]
	global_load_dword v56, v[34:35], off
	global_load_dword v57, v[36:37], off
	v_lshl_add_u64 v[36:37], v[42:43], 2, v[2:3]
	v_lshl_add_u64 v[30:31], v[30:31], 2, v[2:3]
	;; [unrolled: 1-line block ×4, first 2 shown]
	v_ashrrev_i32_e32 v23, 31, v22
	v_ashrrev_i32_e32 v11, 31, v10
	;; [unrolled: 1-line block ×3, first 2 shown]
	v_add_u32_e32 v34, s93, v86
	global_load_dword v42, v[36:37], off
	global_load_dword v43, v[30:31], off
	v_add_u32_e32 v30, s94, v86
	global_load_dword v98, v[20:21], off
	global_load_dword v99, v[16:17], off
	v_add_u32_e32 v16, s95, v86
	v_ashrrev_i32_e32 v25, 31, v24
	v_lshl_add_u64 v[20:21], v[22:23], 2, v[2:3]
	v_lshl_add_u64 v[10:11], v[10:11], 2, v[2:3]
	;; [unrolled: 1-line block ×3, first 2 shown]
	v_ashrrev_i32_e32 v15, 31, v14
	v_ashrrev_i32_e32 v19, 31, v18
	v_lshl_add_u64 v[22:23], v[24:25], 2, v[2:3]
	global_load_dword v100, v[20:21], off
	global_load_dword v101, v[22:23], off
	v_add_u32_e32 v20, s96, v86
	global_load_dword v102, v[10:11], off
	global_load_dword v103, v[12:13], off
	v_lshl_add_u64 v[12:13], v[14:15], 2, v[2:3]
	v_lshl_add_u64 v[14:15], v[18:19], 2, v[2:3]
	v_ashrrev_i32_e32 v35, 31, v34
	v_ashrrev_i32_e32 v31, 31, v30
	v_ashrrev_i32_e32 v17, 31, v16
	v_lshl_add_u64 v[10:11], v[6:7], 0, s[12:13]
	global_load_dword v104, v[12:13], off
	global_load_dword v105, v[14:15], off
	v_lshl_add_u64 v[14:15], v[34:35], 2, v[2:3]
	v_lshl_add_u64 v[18:19], v[30:31], 2, v[2:3]
	v_ashrrev_i32_e32 v21, 31, v20
	v_lshl_add_u64 v[16:17], v[16:17], 2, v[2:3]
	global_load_dword v106, v[14:15], off
	global_load_dword v107, v[18:19], off
	v_lshl_add_u64 v[18:19], v[20:21], 2, v[2:3]
	global_load_dword v108, v[16:17], off
	global_load_dword v109, v[18:19], off
	v_add_u32_e32 v12, s14, v86
	global_load_dwordx2 v[10:11], v[10:11], off
	v_add_u32_e32 v14, s19, v86
	v_add_u32_e32 v16, s33, v86
	s_waitcnt vmcnt(25)
	v_cvt_pk_f16_f32 v110, v8, v9
	v_add_u32_e32 v8, s34, v86
	ds_write_b32 v87, v89 offset:264
	v_add_u32_e32 v18, s36, v86
	v_add_u32_e32 v20, s37, v86
	v_add_u32_e32 v22, s38, v86
	v_add_u32_e32 v24, s39, v86
	v_add_u32_e32 v30, s40, v86
	v_add_u32_e32 v34, s41, v86
	v_ashrrev_i32_e32 v13, 31, v12
	v_ashrrev_i32_e32 v15, 31, v14
	;; [unrolled: 1-line block ×10, first 2 shown]
	ds_write_b32 v87, v33
	ds_write_b32 v87, v80 offset:528
	ds_write_b32 v87, v79 offset:792
	;; [unrolled: 1-line block ×12, first 2 shown]
	v_lshl_add_u64 v[12:13], v[12:13], 3, s[0:1]
	v_lshl_add_u64 v[14:15], v[14:15], 3, s[0:1]
	;; [unrolled: 1-line block ×10, first 2 shown]
	v_accvgpr_mov_b32 a17, a3
	v_accvgpr_mov_b32 a16, a2
	v_lshl_add_u64 v[4:5], v[4:5], 0, s[20:21]
	v_lshl_add_u64 v[6:7], v[6:7], 0, s[22:23]
	s_waitcnt vmcnt(0)
	v_cvt_pk_f16_f32 v89, v10, v11
	v_add_u32_e32 v10, s35, v86
	v_ashrrev_i32_e32 v11, 31, v10
	v_lshl_add_u64 v[10:11], v[10:11], 3, s[0:1]
	global_load_dwordx2 v[12:13], v[12:13], off
	s_nop 0
	global_load_dwordx2 v[14:15], v[14:15], off
	s_nop 0
	;; [unrolled: 2-line block ×10, first 2 shown]
	global_load_dwordx2 v[34:35], v[34:35], off
	ds_write_b32 v87, v0 offset:3696
	ds_write_b32 v87, v67 offset:3960
	v_add_u32_e32 v86, 0x100, v86
	v_cmp_le_i32_e32 vcc, s5, v86
	s_or_b64 s[16:17], vcc, s[16:17]
	s_waitcnt vmcnt(10)
	v_cvt_pk_f16_f32 v0, v12, v13
	s_waitcnt vmcnt(9)
	v_cvt_pk_f16_f32 v72, v14, v15
	;; [unrolled: 2-line block ×9, first 2 shown]
	ds_read_b64 v[54:55], v88
	ds_read_b64 v[40:41], v88 offset:32
	ds_read_b64 v[36:37], v88 offset:64
	;; [unrolled: 1-line block ×7, first 2 shown]
	ds_write_b32 v87, v66
	ds_write_b32 v87, v64 offset:264
	ds_write_b32 v87, v65 offset:528
	;; [unrolled: 1-line block ×15, first 2 shown]
	s_waitcnt vmcnt(0)
	v_cvt_pk_f16_f32 v111, v34, v35
	ds_read_b64 v[62:63], v88
	ds_read_b64 v[50:51], v88 offset:32
	ds_read_b64 v[48:49], v88 offset:64
	;; [unrolled: 1-line block ×7, first 2 shown]
	ds_write_b32 v87, v69
	ds_write_b32 v87, v81 offset:264
	ds_write_b32 v87, v90 offset:528
	;; [unrolled: 1-line block ×15, first 2 shown]
	v_cvt_pk_f16_f32 v80, v30, v31
	ds_read_b64 v[68:69], v88
	ds_read_b64 v[60:61], v88 offset:32
	ds_read_b64 v[58:59], v88 offset:64
	;; [unrolled: 1-line block ×7, first 2 shown]
	ds_write_b32 v87, v56
	ds_write_b32 v87, v57 offset:264
	ds_write_b32 v87, v42 offset:528
	;; [unrolled: 1-line block ×15, first 2 shown]
	ds_read_b64 v[70:71], v88
	ds_read_b64 v[66:67], v88 offset:32
	ds_read_b64 v[64:65], v88 offset:64
	;; [unrolled: 1-line block ×7, first 2 shown]
	ds_write_b32 v87, v110
	ds_write_b32 v87, v89 offset:264
	ds_write_b32 v87, v0 offset:528
	;; [unrolled: 1-line block ×15, first 2 shown]
	ds_read_b64 v[72:73], v88
	v_accvgpr_read_b32 v91, a9
	v_accvgpr_read_b32 v90, a8
	;; [unrolled: 1-line block ×4, first 2 shown]
	v_accvgpr_mov_b32 a6, a12
	v_accvgpr_mov_b32 a7, a13
	;; [unrolled: 1-line block ×4, first 2 shown]
	v_accvgpr_read_b32 v94, a4
	v_accvgpr_read_b32 v95, a5
	s_waitcnt lgkmcnt(0)
	v_mfma_f32_16x16x16_f16 a[6:9], v[54:55], v[72:73], a[6:9]
	ds_read_b64 v[54:55], v88 offset:32
	v_accvgpr_write_b32 a2, v94
	v_accvgpr_read_b32 v93, a11
	v_accvgpr_read_b32 v92, a10
	v_accvgpr_write_b32 a10, v90
	v_accvgpr_write_b32 a3, v95
	;; [unrolled: 1-line block ×4, first 2 shown]
	s_waitcnt lgkmcnt(0)
	v_mfma_f32_16x16x16_f16 a[6:9], v[40:41], v[54:55], a[6:9]
	ds_read_b64 v[40:41], v88 offset:64
	v_accvgpr_write_b32 a11, v91
	v_accvgpr_write_b32 a12, v92
	;; [unrolled: 1-line block ×3, first 2 shown]
	v_mfma_f32_16x16x16_f16 a[2:5], v[68:69], v[72:73], a[2:5]
	v_accvgpr_mov_b32 a15, a1
	v_accvgpr_mov_b32 a14, a0
	v_mfma_f32_16x16x16_f16 a[10:13], v[62:63], v[72:73], a[10:13]
	s_nop 0
	v_mfma_f32_16x16x16_f16 a[14:17], v[70:71], v[72:73], a[14:17]
	v_mfma_f32_16x16x16_f16 a[0:3], v[60:61], v[54:55], a[2:5]
	s_waitcnt lgkmcnt(0)
	v_mfma_f32_16x16x16_f16 a[4:7], v[36:37], v[40:41], a[6:9]
	ds_read_b64 v[36:37], v88 offset:96
	v_mfma_f32_16x16x16_f16 a[10:13], v[50:51], v[54:55], a[10:13]
	v_mfma_f32_16x16x16_f16 a[14:17], v[66:67], v[54:55], a[14:17]
	;; [unrolled: 1-line block ×5, first 2 shown]
	s_waitcnt lgkmcnt(0)
	v_mfma_f32_16x16x16_f16 a[4:7], v[24:25], v[36:37], a[4:7]
	ds_read_b64 v[24:25], v88 offset:128
	v_mfma_f32_16x16x16_f16 a[8:11], v[34:35], v[36:37], a[8:11]
	v_mfma_f32_16x16x16_f16 a[0:3], v[46:47], v[36:37], a[0:3]
	v_mfma_f32_16x16x16_f16 a[12:15], v[56:57], v[36:37], a[12:15]
	s_waitcnt lgkmcnt(0)
	v_mfma_f32_16x16x16_f16 a[4:7], v[22:23], v[24:25], a[4:7]
	ds_read_b64 v[22:23], v88 offset:160
	v_mfma_f32_16x16x16_f16 a[8:11], v[32:33], v[24:25], a[8:11]
	v_mfma_f32_16x16x16_f16 a[0:3], v[44:45], v[24:25], a[0:3]
	v_mfma_f32_16x16x16_f16 a[12:15], v[52:53], v[24:25], a[12:15]
	s_waitcnt lgkmcnt(0)
	v_mfma_f32_16x16x16_f16 a[4:7], v[14:15], v[22:23], a[4:7]
	ds_read_b64 v[14:15], v88 offset:192
	v_mfma_f32_16x16x16_f16 a[8:11], v[20:21], v[22:23], a[8:11]
	v_mfma_f32_16x16x16_f16 a[0:3], v[30:31], v[22:23], a[0:3]
	v_mfma_f32_16x16x16_f16 a[12:15], v[42:43], v[22:23], a[12:15]
	s_waitcnt lgkmcnt(0)
	v_mfma_f32_16x16x16_f16 a[4:7], v[10:11], v[14:15], a[4:7]
	ds_read_b64 v[10:11], v88 offset:224
	v_mfma_f32_16x16x16_f16 a[8:11], v[16:17], v[14:15], a[8:11]
	v_mfma_f32_16x16x16_f16 a[0:3], v[28:29], v[14:15], a[0:3]
	v_mfma_f32_16x16x16_f16 a[16:19], v[38:39], v[14:15], a[12:15]
	s_waitcnt lgkmcnt(0)
	v_mfma_f32_16x16x16_f16 a[12:15], v[8:9], v[10:11], a[4:7]
	v_mfma_f32_16x16x16_f16 a[8:11], v[12:13], v[10:11], a[8:11]
	;; [unrolled: 1-line block ×4, first 2 shown]
	s_andn2_b64 exec, exec, s[16:17]
	s_cbranch_execnz .LBB110_4
; %bb.5:
	s_or_b64 exec, exec, s[16:17]
.LBB110_6:
	s_or_b64 exec, exec, s[24:25]
	v_lshl_add_u32 v0, v84, 2, 0
	v_mul_u32_u24_e32 v1, 0x408, v85
	v_and_b32_e32 v2, 0x3f0, v83
	v_add3_u32 v0, v0, v1, v2
	v_accvgpr_read_b32 v1, a13
	v_accvgpr_read_b32 v2, a12
	s_waitcnt lgkmcnt(0)
	s_barrier
	ds_write2_b32 v0, v2, v1 offset1:1
	v_accvgpr_read_b32 v1, a15
	v_accvgpr_read_b32 v2, a14
	ds_write2_b32 v0, v2, v1 offset0:2 offset1:3
	v_accvgpr_read_b32 v1, a9
	v_accvgpr_read_b32 v2, a8
	ds_write2_b32 v0, v2, v1 offset0:16 offset1:17
	v_accvgpr_read_b32 v1, a11
	v_accvgpr_read_b32 v2, a10
	s_mul_hi_i32 s1, s15, s4
	s_mul_i32 s0, s15, s4
	ds_write2_b32 v0, v2, v1 offset0:18 offset1:19
	v_accvgpr_read_b32 v1, a5
	v_accvgpr_read_b32 v2, a4
	s_lshl_b64 s[0:1], s[0:1], 2
	ds_write2_b32 v0, v2, v1 offset0:32 offset1:33
	v_accvgpr_read_b32 v1, a7
	v_accvgpr_read_b32 v2, a6
	s_mul_i32 s4, s11, s3
	s_add_u32 s3, s6, s0
	ds_write2_b32 v0, v2, v1 offset0:34 offset1:35
	v_accvgpr_read_b32 v1, a1
	v_accvgpr_read_b32 v2, a0
	s_addc_u32 s6, s7, s1
	s_ashr_i32 s5, s4, 31
	ds_write2_b32 v0, v2, v1 offset0:48 offset1:49
	v_accvgpr_read_b32 v1, a3
	v_accvgpr_read_b32 v2, a2
	s_lshl_b64 s[0:1], s[4:5], 2
	s_movk_i32 s4, 0x408
	ds_write2_b32 v0, v2, v1 offset0:50 offset1:51
	v_lshl_add_u32 v1, v83, 2, 0
	v_mad_u32_u24 v10, v82, s4, v1
	s_waitcnt lgkmcnt(0)
	s_barrier
	ds_read2st64_b32 v[2:3], v10 offset1:1
	ds_read2st64_b32 v[4:5], v10 offset0:2 offset1:3
	v_add_u32_e32 v6, 32, v10
	v_add_u32_e32 v0, s2, v83
	s_add_u32 s0, s3, s0
	s_waitcnt lgkmcnt(1)
	v_add_f32_e32 v2, 0, v2
	v_add_f32_e32 v2, v2, v3
	s_waitcnt lgkmcnt(0)
	v_add_f32_e32 v2, v2, v4
	v_add_f32_e32 v11, v2, v5
	ds_read2st64_b32 v[4:5], v6 offset0:16 offset1:17
	ds_read2st64_b32 v[6:7], v6 offset0:18 offset1:19
	v_mad_u64_u32 v[2:3], s[2:3], v82, s18, v[0:1]
	s_addc_u32 s1, s6, s1
	s_waitcnt lgkmcnt(1)
	v_add_f32_e32 v4, 0, v4
	v_mov_b32_e32 v3, 0
	v_add_f32_e32 v4, v4, v5
	v_lshl_add_u64 v[8:9], v[2:3], 2, s[0:1]
	s_waitcnt lgkmcnt(0)
	v_add_f32_e32 v4, v4, v6
	v_add_u32_e32 v6, 64, v10
	global_store_dword v[8:9], v11, off
	v_add_f32_e32 v11, v4, v7
	ds_read2st64_b32 v[4:5], v6 offset0:32 offset1:33
	ds_read2st64_b32 v[6:7], v6 offset0:34 offset1:35
	s_lshl_b32 s2, s18, 2
	v_add_u32_e32 v2, s2, v2
	v_lshl_add_u64 v[8:9], v[2:3], 2, s[0:1]
	s_waitcnt lgkmcnt(1)
	v_add_f32_e32 v4, 0, v4
	v_add_f32_e32 v4, v4, v5
	s_waitcnt lgkmcnt(0)
	v_add_f32_e32 v4, v4, v6
	v_add_u32_e32 v2, s2, v2
	v_add_f32_e32 v6, v4, v7
	v_lshl_add_u64 v[4:5], v[2:3], 2, s[0:1]
	v_cmp_eq_u32_e32 vcc, 0, v82
	global_store_dword v[8:9], v11, off
	global_store_dword v[4:5], v6, off
	s_and_saveexec_b64 s[2:3], vcc
	s_cbranch_execz .LBB110_8
; %bb.7:
	v_add_u32_e32 v1, 0x60, v1
	ds_read2st64_b32 v[4:5], v1 offset0:48 offset1:49
	ds_read2st64_b32 v[6:7], v1 offset0:50 offset1:51
	v_mad_u64_u32 v[0:1], s[2:3], s18, 12, v[0:1]
	v_mov_b32_e32 v1, v3
	s_waitcnt lgkmcnt(1)
	v_add_f32_e32 v2, 0, v4
	v_add_f32_e32 v2, v2, v5
	s_waitcnt lgkmcnt(0)
	v_add_f32_e32 v2, v2, v6
	v_add_f32_e32 v2, v2, v7
	v_lshl_add_u64 v[0:1], v[0:1], 2, s[0:1]
	global_store_dword v[0:1], v2, off
.LBB110_8:
	s_endpgm
	.section	.rodata,"a",@progbits
	.p2align	6, 0x0
	.amdhsa_kernel _ZL9mul_mat_fI7__half2Li64ELi13ELi4ELb0EEvPKT_PKfPKiPfiiiiiiiiiiiiiiii
		.amdhsa_group_segment_fixed_size 0
		.amdhsa_private_segment_fixed_size 0
		.amdhsa_kernarg_size 96
		.amdhsa_user_sgpr_count 2
		.amdhsa_user_sgpr_dispatch_ptr 0
		.amdhsa_user_sgpr_queue_ptr 0
		.amdhsa_user_sgpr_kernarg_segment_ptr 1
		.amdhsa_user_sgpr_dispatch_id 0
		.amdhsa_user_sgpr_kernarg_preload_length 0
		.amdhsa_user_sgpr_kernarg_preload_offset 0
		.amdhsa_user_sgpr_private_segment_size 0
		.amdhsa_uses_dynamic_stack 0
		.amdhsa_enable_private_segment 0
		.amdhsa_system_sgpr_workgroup_id_x 1
		.amdhsa_system_sgpr_workgroup_id_y 1
		.amdhsa_system_sgpr_workgroup_id_z 1
		.amdhsa_system_sgpr_workgroup_info 0
		.amdhsa_system_vgpr_workitem_id 1
		.amdhsa_next_free_vgpr 132
		.amdhsa_next_free_sgpr 97
		.amdhsa_accum_offset 112
		.amdhsa_reserve_vcc 1
		.amdhsa_float_round_mode_32 0
		.amdhsa_float_round_mode_16_64 0
		.amdhsa_float_denorm_mode_32 3
		.amdhsa_float_denorm_mode_16_64 3
		.amdhsa_dx10_clamp 1
		.amdhsa_ieee_mode 1
		.amdhsa_fp16_overflow 0
		.amdhsa_tg_split 0
		.amdhsa_exception_fp_ieee_invalid_op 0
		.amdhsa_exception_fp_denorm_src 0
		.amdhsa_exception_fp_ieee_div_zero 0
		.amdhsa_exception_fp_ieee_overflow 0
		.amdhsa_exception_fp_ieee_underflow 0
		.amdhsa_exception_fp_ieee_inexact 0
		.amdhsa_exception_int_div_zero 0
	.end_amdhsa_kernel
	.section	.text._ZL9mul_mat_fI7__half2Li64ELi13ELi4ELb0EEvPKT_PKfPKiPfiiiiiiiiiiiiiiii,"axG",@progbits,_ZL9mul_mat_fI7__half2Li64ELi13ELi4ELb0EEvPKT_PKfPKiPfiiiiiiiiiiiiiiii,comdat
.Lfunc_end110:
	.size	_ZL9mul_mat_fI7__half2Li64ELi13ELi4ELb0EEvPKT_PKfPKiPfiiiiiiiiiiiiiiii, .Lfunc_end110-_ZL9mul_mat_fI7__half2Li64ELi13ELi4ELb0EEvPKT_PKfPKiPfiiiiiiiiiiiiiiii
                                        ; -- End function
	.set _ZL9mul_mat_fI7__half2Li64ELi13ELi4ELb0EEvPKT_PKfPKiPfiiiiiiiiiiiiiiii.num_vgpr, 112
	.set _ZL9mul_mat_fI7__half2Li64ELi13ELi4ELb0EEvPKT_PKfPKiPfiiiiiiiiiiiiiiii.num_agpr, 20
	.set _ZL9mul_mat_fI7__half2Li64ELi13ELi4ELb0EEvPKT_PKfPKiPfiiiiiiiiiiiiiiii.numbered_sgpr, 97
	.set _ZL9mul_mat_fI7__half2Li64ELi13ELi4ELb0EEvPKT_PKfPKiPfiiiiiiiiiiiiiiii.num_named_barrier, 0
	.set _ZL9mul_mat_fI7__half2Li64ELi13ELi4ELb0EEvPKT_PKfPKiPfiiiiiiiiiiiiiiii.private_seg_size, 0
	.set _ZL9mul_mat_fI7__half2Li64ELi13ELi4ELb0EEvPKT_PKfPKiPfiiiiiiiiiiiiiiii.uses_vcc, 1
	.set _ZL9mul_mat_fI7__half2Li64ELi13ELi4ELb0EEvPKT_PKfPKiPfiiiiiiiiiiiiiiii.uses_flat_scratch, 0
	.set _ZL9mul_mat_fI7__half2Li64ELi13ELi4ELb0EEvPKT_PKfPKiPfiiiiiiiiiiiiiiii.has_dyn_sized_stack, 0
	.set _ZL9mul_mat_fI7__half2Li64ELi13ELi4ELb0EEvPKT_PKfPKiPfiiiiiiiiiiiiiiii.has_recursion, 0
	.set _ZL9mul_mat_fI7__half2Li64ELi13ELi4ELb0EEvPKT_PKfPKiPfiiiiiiiiiiiiiiii.has_indirect_call, 0
	.section	.AMDGPU.csdata,"",@progbits
; Kernel info:
; codeLenInByte = 5276
; TotalNumSgprs: 103
; NumVgprs: 112
; NumAgprs: 20
; TotalNumVgprs: 132
; ScratchSize: 0
; MemoryBound: 0
; FloatMode: 240
; IeeeMode: 1
; LDSByteSize: 0 bytes/workgroup (compile time only)
; SGPRBlocks: 12
; VGPRBlocks: 16
; NumSGPRsForWavesPerEU: 103
; NumVGPRsForWavesPerEU: 132
; AccumOffset: 112
; Occupancy: 3
; WaveLimiterHint : 0
; COMPUTE_PGM_RSRC2:SCRATCH_EN: 0
; COMPUTE_PGM_RSRC2:USER_SGPR: 2
; COMPUTE_PGM_RSRC2:TRAP_HANDLER: 0
; COMPUTE_PGM_RSRC2:TGID_X_EN: 1
; COMPUTE_PGM_RSRC2:TGID_Y_EN: 1
; COMPUTE_PGM_RSRC2:TGID_Z_EN: 1
; COMPUTE_PGM_RSRC2:TIDIG_COMP_CNT: 1
; COMPUTE_PGM_RSRC3_GFX90A:ACCUM_OFFSET: 27
; COMPUTE_PGM_RSRC3_GFX90A:TG_SPLIT: 0
	.section	.text._ZL13mul_mat_f_idsI7__half2Li64ELi13ELi5EEvPKT_PKfPKiS7_S7_Pfiiiiiiiiiiiiii15HIP_vector_typeIjLj3EESA_,"axG",@progbits,_ZL13mul_mat_f_idsI7__half2Li64ELi13ELi5EEvPKT_PKfPKiS7_S7_Pfiiiiiiiiiiiiii15HIP_vector_typeIjLj3EESA_,comdat
	.globl	_ZL13mul_mat_f_idsI7__half2Li64ELi13ELi5EEvPKT_PKfPKiS7_S7_Pfiiiiiiiiiiiiii15HIP_vector_typeIjLj3EESA_ ; -- Begin function _ZL13mul_mat_f_idsI7__half2Li64ELi13ELi5EEvPKT_PKfPKiS7_S7_Pfiiiiiiiiiiiiii15HIP_vector_typeIjLj3EESA_
	.p2align	8
	.type	_ZL13mul_mat_f_idsI7__half2Li64ELi13ELi5EEvPKT_PKfPKiS7_S7_Pfiiiiiiiiiiiiii15HIP_vector_typeIjLj3EESA_,@function
_ZL13mul_mat_f_idsI7__half2Li64ELi13ELi5EEvPKT_PKfPKiS7_S7_Pfiiiiiiiiiiiiii15HIP_vector_typeIjLj3EESA_: ; @_ZL13mul_mat_f_idsI7__half2Li64ELi13ELi5EEvPKT_PKfPKiS7_S7_Pfiiiiiiiiiiiiii15HIP_vector_typeIjLj3EESA_
; %bb.0:
	s_load_dwordx2 s[6:7], s[0:1], 0x20
	s_mov_b32 s34, s3
	s_ashr_i32 s35, s3, 31
	s_lshl_b64 s[8:9], s[34:35], 2
	s_waitcnt lgkmcnt(0)
	s_add_u32 s6, s6, s8
	s_addc_u32 s7, s7, s9
	s_load_dwordx2 s[30:31], s[6:7], 0x0
	s_waitcnt lgkmcnt(0)
	s_sub_i32 s26, s31, s30
	s_add_i32 s3, s26, 12
	s_mul_hi_i32 s3, s3, 0x4ec4ec4f
	s_lshr_b32 s5, s3, 31
	s_ashr_i32 s3, s3, 2
	s_add_i32 s3, s3, s5
	s_cmp_ge_i32 s4, s3
	s_cbranch_scc1 .LBB111_56
; %bb.1:
	v_bfe_u32 v16, v0, 10, 10
	v_lshlrev_b32_e32 v86, 6, v16
	v_and_b32_e32 v17, 0x3ff, v0
	s_load_dwordx4 s[12:15], s[0:1], 0x30
	s_load_dwordx2 s[20:21], s[0:1], 0x40
	s_load_dwordx4 s[8:11], s[0:1], 0x4c
	s_load_dwordx4 s[16:19], s[0:1], 0x68
	s_load_dwordx2 s[24:25], s[0:1], 0x78
	v_add_u32_e32 v88, v86, v17
	s_ashr_i32 s31, s30, 31
	s_waitcnt lgkmcnt(0)
	v_cmp_le_i32_e32 vcc, s12, v88
	v_and_b32_e32 v87, 15, v17
	s_and_saveexec_b64 s[6:7], vcc
	s_xor_b64 s[6:7], exec, s[6:7]
; %bb.2:
	v_and_b32_e32 v87, 15, v17
                                        ; implicit-def: $vgpr88
; %bb.3:
	s_or_saveexec_b64 s[36:37], s[6:7]
	s_load_dwordx2 s[22:23], s[0:1], 0x18
	s_load_dwordx2 s[6:7], s[0:1], 0x28
                                        ; implicit-def: $vgpr118 : SGPR spill to VGPR lane
	v_mov_b32_e32 v15, 0
	s_lshl_b32 s11, s2, 6
	s_mul_i32 s28, s4, 13
	v_mov_b32_e32 v14, v15
	s_waitcnt lgkmcnt(0)
	v_writelane_b32 v118, s6, 0
	v_mov_b32_e32 v13, v15
	v_mov_b32_e32 v12, v15
	;; [unrolled: 1-line block ×14, first 2 shown]
	v_writelane_b32 v118, s7, 1
	s_xor_b64 exec, exec, s[36:37]
	s_cbranch_execz .LBB111_46
; %bb.4:
	s_load_dwordx4 s[4:7], s[0:1], 0x0
	s_load_dwordx2 s[2:3], s[0:1], 0x10
	v_writelane_b32 v118, s36, 2
	s_mul_i32 s0, s8, s34
	s_ashr_i32 s1, s0, 31
	v_writelane_b32 v118, s37, 3
	v_writelane_b32 v118, s22, 4
	s_lshl_b64 s[64:65], s[0:1], 2
	s_waitcnt lgkmcnt(0)
	s_add_u32 s0, s4, s64
	v_writelane_b32 v118, s23, 5
	s_mul_i32 s22, s15, s11
	v_writelane_b32 v118, s24, 6
	s_addc_u32 s1, s5, s65
	s_ashr_i32 s23, s22, 31
	v_writelane_b32 v118, s25, 7
	s_lshl_b64 s[66:67], s[22:23], 2
	v_writelane_b32 v118, s11, 8
	s_add_u32 s0, s0, s66
	s_addc_u32 s1, s1, s67
	v_writelane_b32 v118, s30, 9
	s_lshl_b64 s[22:23], s[30:31], 2
	s_add_u32 s8, s2, s22
	s_addc_u32 s11, s3, s23
	s_movk_i32 s2, 0x1080
	s_cmp_lt_i32 s28, s26
	v_writelane_b32 v118, s31, 10
	v_mad_u32_u24 v1, v16, s2, 0
	s_cselect_b64 s[2:3], -1, 0
	v_writelane_b32 v118, s2, 11
	s_ashr_i32 s29, s28, 31
	s_mov_b32 s22, s15
	v_writelane_b32 v118, s3, 12
	s_lshl_b64 s[2:3], s[28:29], 2
	s_add_u32 s36, s8, s2
	s_addc_u32 s37, s11, s3
	s_add_i32 s2, s28, 1
	s_cmp_lt_i32 s2, s26
	s_cselect_b64 s[2:3], -1, 0
	v_writelane_b32 v118, s2, 13
	v_lshrrev_b32_e32 v3, 1, v17
	v_mov_b32_e32 v19, 0
	v_writelane_b32 v118, s3, 14
	s_add_i32 s2, s28, 2
	s_cmp_lt_i32 s2, s26
	s_cselect_b64 s[2:3], -1, 0
	v_writelane_b32 v118, s2, 15
	v_lshlrev_b32_e32 v0, 2, v17
	v_mul_u32_u24_e32 v2, 0x108, v87
	v_writelane_b32 v118, s3, 16
	s_add_i32 s2, s28, 3
	s_cmp_lt_i32 s2, s26
	s_cselect_b64 s[2:3], -1, 0
	v_writelane_b32 v118, s2, 17
	v_and_b32_e32 v3, 0x1f8, v3
	v_lshlrev_b32_e32 v18, 8, v16
	v_writelane_b32 v118, s3, 18
	s_add_i32 s2, s28, 4
	s_cmp_lt_i32 s2, s26
	s_cselect_b64 s[2:3], -1, 0
	v_writelane_b32 v118, s2, 19
	v_add_u32_e32 v89, v1, v0
	v_add3_u32 v90, v1, v2, v3
	v_writelane_b32 v118, s3, 20
	s_add_i32 s2, s28, 5
	s_cmp_lt_i32 s2, s26
	s_cselect_b64 s[2:3], -1, 0
	v_writelane_b32 v118, s2, 21
	v_mov_b32_e32 v1, v19
	s_mul_i32 s8, s15, 3
	v_writelane_b32 v118, s3, 22
	s_add_i32 s2, s28, 6
	s_cmp_lt_i32 s2, s26
	s_cselect_b64 s[48:49], -1, 0
	s_add_i32 s2, s28, 7
	s_cmp_lt_i32 s2, s26
	s_cselect_b64 s[50:51], -1, 0
	;; [unrolled: 3-line block ×5, first 2 shown]
	s_add_i32 s2, s28, 11
	s_cmp_lt_i32 s2, s26
	s_mov_b32 s2, s28
	v_writelane_b32 v118, s2, 23
	s_cselect_b64 s[58:59], -1, 0
	s_mul_i32 s69, s15, 5
	v_writelane_b32 v118, s3, 24
	s_add_i32 s2, s28, 12
	s_cmp_lt_i32 s2, s26
	s_cselect_b64 s[60:61], -1, 0
	s_ashr_i32 s23, s15, 31
	s_add_i32 s3, s15, s15
	s_lshl_b32 s68, s15, 2
	s_lshl_b32 s72, s15, 3
	;; [unrolled: 1-line block ×4, first 2 shown]
	s_lshl_b64 s[62:63], s[22:23], 2
	s_add_u32 s22, s64, s66
	s_addc_u32 s23, s65, s67
	v_lshl_add_u64 v[2:3], s[22:23], 0, v[18:19]
	v_lshl_add_u64 v[0:1], v[2:3], 0, v[0:1]
	v_writelane_b32 v118, s26, 25
	s_mul_i32 s70, s15, 6
	s_mul_i32 s71, s15, 7
	s_mul_i32 s73, s15, 9
	s_mul_i32 s74, s15, 10
	s_mul_i32 s75, s15, 11
	s_mul_i32 s76, s15, 12
	s_mul_i32 s77, s15, 13
	s_mul_i32 s78, s15, 14
	s_mul_i32 s79, s15, 15
	s_mul_i32 s81, s15, 17
	s_mul_i32 s82, s15, 18
	s_mul_i32 s83, s15, 19
	s_mul_i32 s84, s15, 20
	s_mul_i32 s64, s15, 21
	s_mul_i32 s65, s15, 22
	s_mul_i32 s66, s15, 23
	s_mul_i32 s67, s15, 24
	s_mul_i32 s86, s15, 25
	s_mul_i32 s87, s15, 26
	s_mul_i32 s88, s15, 27
	s_mul_i32 s89, s15, 28
	v_lshl_add_u64 v[20:21], s[4:5], 0, v[0:1]
	v_mov_b32_e32 v8, 0
	v_mov_b32_e32 v9, v19
	;; [unrolled: 1-line block ×16, first 2 shown]
	s_mul_i32 s90, s15, 29
	s_mul_i32 s91, s15, 30
	;; [unrolled: 1-line block ×34, first 2 shown]
	s_mov_b32 s46, 0x5040100
	s_mov_b64 s[4:5], 0
	s_branch .LBB111_6
.LBB111_5:                              ;   in Loop: Header=BB111_6 Depth=1
	v_perm_b32 v18, v18, v91, s46
	v_perm_b32 v91, v93, v94, s46
	ds_write2_b32 v89, v18, v91 offset1:66
	v_perm_b32 v18, v95, v92, s46
	v_perm_b32 v91, v97, v98, s46
	ds_write2_b32 v89, v18, v91 offset0:132 offset1:198
	v_perm_b32 v18, v99, v96, s46
	v_perm_b32 v91, v101, v102, s46
	v_add_u32_e32 v92, 0x400, v89
	ds_write2_b32 v92, v18, v91 offset0:8 offset1:74
	v_perm_b32 v18, v103, v100, s46
	v_perm_b32 v91, v105, v106, s46
	ds_write2_b32 v92, v18, v91 offset0:140 offset1:206
	v_perm_b32 v18, v107, v104, s46
	v_perm_b32 v91, v109, v110, s46
	v_add_u32_e32 v92, 0x800, v89
	ds_write2_b32 v92, v18, v91 offset0:16 offset1:82
	v_perm_b32 v18, v111, v108, s46
	v_perm_b32 v91, v113, v114, s46
	ds_write2_b32 v92, v18, v91 offset0:148 offset1:214
	v_perm_b32 v18, v115, v112, s46
	v_add_u32_e32 v91, 0xc00, v89
	ds_write2_b32 v91, v18, v19 offset0:24 offset1:90
	ds_write2_b32 v91, v19, v19 offset0:156 offset1:222
	ds_read2_b64 v[92:95], v90 offset1:4
	s_waitcnt lgkmcnt(0)
	v_mfma_f32_16x16x16_f16 v[0:3], v[54:55], v[92:93], v[0:3]
	v_add_u32_e32 v88, 0x140, v88
	s_mov_b64 vcc, 0x500
	v_lshl_add_u64 v[20:21], v[20:21], 0, vcc
	v_mfma_f32_16x16x16_f16 v[8:11], v[38:39], v[92:93], v[8:11]
	v_cmp_le_i32_e32 vcc, s12, v88
	s_or_b64 s[4:5], vcc, s[4:5]
	v_mfma_f32_16x16x16_f16 v[4:7], v[70:71], v[92:93], v[4:7]
	v_mfma_f32_16x16x16_f16 v[12:15], v[84:85], v[92:93], v[12:15]
	v_mfma_f32_16x16x16_f16 v[0:3], v[52:53], v[94:95], v[0:3]
	ds_read2_b64 v[52:55], v90 offset0:8 offset1:12
	v_mfma_f32_16x16x16_f16 v[8:11], v[34:35], v[94:95], v[8:11]
	v_mfma_f32_16x16x16_f16 v[4:7], v[68:69], v[94:95], v[4:7]
	v_mfma_f32_16x16x16_f16 v[12:15], v[82:83], v[94:95], v[12:15]
	s_waitcnt lgkmcnt(0)
	v_mfma_f32_16x16x16_f16 v[8:11], v[32:33], v[52:53], v[8:11]
	v_mfma_f32_16x16x16_f16 v[0:3], v[48:49], v[52:53], v[0:3]
	v_mfma_f32_16x16x16_f16 v[4:7], v[66:67], v[52:53], v[4:7]
	v_mfma_f32_16x16x16_f16 v[12:15], v[78:79], v[52:53], v[12:15]
	v_mfma_f32_16x16x16_f16 v[8:11], v[30:31], v[54:55], v[8:11]
	ds_read2_b64 v[30:33], v90 offset0:16 offset1:20
	v_mfma_f32_16x16x16_f16 v[0:3], v[46:47], v[54:55], v[0:3]
	v_mfma_f32_16x16x16_f16 v[4:7], v[64:65], v[54:55], v[4:7]
	v_mfma_f32_16x16x16_f16 v[12:15], v[74:75], v[54:55], v[12:15]
	s_waitcnt lgkmcnt(0)
	v_mfma_f32_16x16x16_f16 v[8:11], v[28:29], v[30:31], v[8:11]
	v_mfma_f32_16x16x16_f16 v[0:3], v[44:45], v[30:31], v[0:3]
	;; [unrolled: 10-line block ×3, first 2 shown]
	v_mfma_f32_16x16x16_f16 v[4:7], v[56:57], v[26:27], v[4:7]
	v_mfma_f32_16x16x16_f16 v[12:15], v[72:73], v[26:27], v[12:15]
	;; [unrolled: 1-line block ×6, first 2 shown]
	s_andn2_b64 exec, exec, s[4:5]
	s_cbranch_execz .LBB111_45
.LBB111_6:                              ; =>This Inner Loop Header: Depth=1
	v_lshl_add_u64 v[22:23], v[20:21], 0, s[62:63]
	global_load_dword v18, v[20:21], off
	global_load_dword v48, v[22:23], off
	v_add_u32_e32 v22, s3, v88
	v_ashrrev_i32_e32 v23, 31, v22
	v_add_u32_e32 v24, s8, v88
	v_add_u32_e32 v26, s68, v88
	;; [unrolled: 1-line block ×5, first 2 shown]
	v_lshl_add_u64 v[22:23], v[22:23], 2, s[0:1]
	v_ashrrev_i32_e32 v25, 31, v24
	v_ashrrev_i32_e32 v27, 31, v26
	;; [unrolled: 1-line block ×5, first 2 shown]
	v_lshl_add_u64 v[24:25], v[24:25], 2, s[0:1]
	v_lshl_add_u64 v[26:27], v[26:27], 2, s[0:1]
	;; [unrolled: 1-line block ×5, first 2 shown]
	global_load_dword v49, v[22:23], off
	global_load_dword v50, v[24:25], off
	;; [unrolled: 1-line block ×6, first 2 shown]
	v_add_u32_e32 v22, s72, v88
	v_add_u32_e32 v40, s81, v88
	;; [unrolled: 1-line block ×10, first 2 shown]
	v_ashrrev_i32_e32 v23, 31, v22
	v_ashrrev_i32_e32 v41, 31, v40
	;; [unrolled: 1-line block ×10, first 2 shown]
	v_lshl_add_u64 v[22:23], v[22:23], 2, s[0:1]
	v_lshl_add_u64 v[40:41], v[40:41], 2, s[0:1]
	v_add_u32_e32 v42, s82, v88
	v_add_u32_e32 v44, s83, v88
	;; [unrolled: 1-line block ×3, first 2 shown]
	v_lshl_add_u64 v[24:25], v[24:25], 2, s[0:1]
	v_lshl_add_u64 v[26:27], v[26:27], 2, s[0:1]
	;; [unrolled: 1-line block ×8, first 2 shown]
	global_load_dword v55, v[22:23], off
	global_load_dword v56, v[24:25], off
	;; [unrolled: 1-line block ×9, first 2 shown]
	s_nop 0
	global_load_dword v40, v[40:41], off
	v_add_u32_e32 v22, s64, v88
	v_ashrrev_i32_e32 v43, 31, v42
	v_ashrrev_i32_e32 v45, 31, v44
	;; [unrolled: 1-line block ×4, first 2 shown]
	v_add_u32_e32 v24, s65, v88
	v_add_u32_e32 v26, s66, v88
	;; [unrolled: 1-line block ×4, first 2 shown]
	v_lshl_add_u64 v[42:43], v[42:43], 2, s[0:1]
	v_lshl_add_u64 v[44:45], v[44:45], 2, s[0:1]
	;; [unrolled: 1-line block ×4, first 2 shown]
	v_ashrrev_i32_e32 v25, 31, v24
	v_ashrrev_i32_e32 v27, 31, v26
	;; [unrolled: 1-line block ×4, first 2 shown]
	v_lshl_add_u64 v[24:25], v[24:25], 2, s[0:1]
	v_lshl_add_u64 v[26:27], v[26:27], 2, s[0:1]
	;; [unrolled: 1-line block ×4, first 2 shown]
	v_add_u32_e32 v32, s92, v88
	v_add_u32_e32 v34, s85, v88
	v_add_u32_e32 v36, s93, v88
	v_ashrrev_i32_e32 v33, 31, v32
	v_ashrrev_i32_e32 v35, 31, v34
	;; [unrolled: 1-line block ×3, first 2 shown]
	v_lshl_add_u64 v[32:33], v[32:33], 2, s[0:1]
	s_waitcnt vmcnt(17)
	ds_write_b32 v89, v18
	s_waitcnt vmcnt(16)
	ds_write_b32 v89, v48 offset:264
	s_waitcnt vmcnt(15)
	ds_write_b32 v89, v49 offset:528
	;; [unrolled: 2-line block ×7, first 2 shown]
	global_load_dword v18, v[42:43], off
	global_load_dword v41, v[44:45], off
	s_nop 0
	global_load_dword v42, v[46:47], off
	global_load_dword v43, v[22:23], off
	;; [unrolled: 1-line block ×4, first 2 shown]
	s_nop 0
	global_load_dword v46, v[28:29], off
	global_load_dword v47, v[30:31], off
	v_add_u32_e32 v22, s87, v88
	v_ashrrev_i32_e32 v23, 31, v22
	v_add_u32_e32 v24, s88, v88
	v_add_u32_e32 v26, s89, v88
	;; [unrolled: 1-line block ×4, first 2 shown]
	v_lshl_add_u64 v[22:23], v[22:23], 2, s[0:1]
	v_ashrrev_i32_e32 v25, 31, v24
	v_ashrrev_i32_e32 v27, 31, v26
	;; [unrolled: 1-line block ×4, first 2 shown]
	v_lshl_add_u64 v[24:25], v[24:25], 2, s[0:1]
	v_lshl_add_u64 v[26:27], v[26:27], 2, s[0:1]
	v_lshl_add_u64 v[28:29], v[28:29], 2, s[0:1]
	v_lshl_add_u64 v[30:31], v[30:31], 2, s[0:1]
	v_lshl_add_u64 v[34:35], v[34:35], 2, s[0:1]
	v_lshl_add_u64 v[36:37], v[36:37], 2, s[0:1]
	global_load_dword v48, v[22:23], off
	global_load_dword v49, v[24:25], off
	global_load_dword v50, v[26:27], off
	global_load_dword v51, v[28:29], off
	global_load_dword v52, v[30:31], off
	global_load_dword v53, v[32:33], off
	global_load_dword v64, v[34:35], off
	global_load_dword v65, v[36:37], off
	v_add_u32_e32 v22, s94, v88
	v_ashrrev_i32_e32 v23, 31, v22
	v_add_u32_e32 v24, s95, v88
	v_add_u32_e32 v26, s96, v88
	v_add_u32_e32 v28, s97, v88
	v_add_u32_e32 v30, s98, v88
	v_add_u32_e32 v32, s99, v88
	v_add_u32_e32 v34, s24, v88
	v_add_u32_e32 v36, s25, v88
	v_lshl_add_u64 v[22:23], v[22:23], 2, s[0:1]
	v_ashrrev_i32_e32 v25, 31, v24
	v_ashrrev_i32_e32 v27, 31, v26
	v_ashrrev_i32_e32 v29, 31, v28
	v_ashrrev_i32_e32 v31, 31, v30
	v_ashrrev_i32_e32 v33, 31, v32
	v_ashrrev_i32_e32 v35, 31, v34
	v_ashrrev_i32_e32 v37, 31, v36
	v_lshl_add_u64 v[24:25], v[24:25], 2, s[0:1]
	v_lshl_add_u64 v[26:27], v[26:27], 2, s[0:1]
	v_lshl_add_u64 v[28:29], v[28:29], 2, s[0:1]
	v_lshl_add_u64 v[30:31], v[30:31], 2, s[0:1]
	v_lshl_add_u64 v[32:33], v[32:33], 2, s[0:1]
	v_lshl_add_u64 v[34:35], v[34:35], 2, s[0:1]
	v_lshl_add_u64 v[36:37], v[36:37], 2, s[0:1]
	global_load_dword v66, v[22:23], off
	global_load_dword v67, v[24:25], off
	global_load_dword v68, v[26:27], off
	global_load_dword v69, v[28:29], off
	global_load_dword v70, v[30:31], off
	global_load_dword v71, v[32:33], off
	global_load_dword v72, v[34:35], off
	global_load_dword v73, v[36:37], off
	v_add_u32_e32 v22, s11, v88
	v_ashrrev_i32_e32 v23, 31, v22
	v_add_u32_e32 v24, s22, v88
	v_add_u32_e32 v26, s23, v88
	v_add_u32_e32 v28, s28, v88
	v_add_u32_e32 v30, s29, v88
	v_add_u32_e32 v32, s30, v88
	v_add_u32_e32 v34, s31, v88
	v_add_u32_e32 v36, s26, v88
	v_lshl_add_u64 v[22:23], v[22:23], 2, s[0:1]
	v_ashrrev_i32_e32 v25, 31, v24
	v_ashrrev_i32_e32 v27, 31, v26
	v_ashrrev_i32_e32 v29, 31, v28
	v_ashrrev_i32_e32 v31, 31, v30
	v_ashrrev_i32_e32 v33, 31, v32
	v_ashrrev_i32_e32 v35, 31, v34
	v_ashrrev_i32_e32 v37, 31, v36
	v_lshl_add_u64 v[24:25], v[24:25], 2, s[0:1]
	;; [unrolled: 32-line block ×3, first 2 shown]
	v_lshl_add_u64 v[26:27], v[26:27], 2, s[0:1]
	v_lshl_add_u64 v[28:29], v[28:29], 2, s[0:1]
	;; [unrolled: 1-line block ×6, first 2 shown]
	global_load_dword v82, v[22:23], off
	global_load_dword v83, v[24:25], off
	;; [unrolled: 1-line block ×8, first 2 shown]
	v_add_u32_e32 v22, s41, v88
	v_ashrrev_i32_e32 v23, 31, v22
	v_add_u32_e32 v24, s42, v88
	v_add_u32_e32 v26, s43, v88
	;; [unrolled: 1-line block ×5, first 2 shown]
	v_lshl_add_u64 v[22:23], v[22:23], 2, s[0:1]
	v_ashrrev_i32_e32 v25, 31, v24
	v_ashrrev_i32_e32 v27, 31, v26
	;; [unrolled: 1-line block ×5, first 2 shown]
	v_lshl_add_u64 v[24:25], v[24:25], 2, s[0:1]
	v_lshl_add_u64 v[26:27], v[26:27], 2, s[0:1]
	;; [unrolled: 1-line block ×5, first 2 shown]
	global_load_dword v95, v[22:23], off
	global_load_dword v96, v[24:25], off
	;; [unrolled: 1-line block ×6, first 2 shown]
	s_waitcnt vmcnt(55)
	ds_write_b32 v89, v55 offset:2112
	s_waitcnt vmcnt(54)
	ds_write_b32 v89, v56 offset:2376
	s_waitcnt vmcnt(53)
	ds_write_b32 v89, v57 offset:2640
	s_waitcnt vmcnt(52)
	ds_write_b32 v89, v58 offset:2904
	s_waitcnt vmcnt(51)
	ds_write_b32 v89, v59 offset:3168
	s_waitcnt vmcnt(50)
	ds_write_b32 v89, v60 offset:3432
	s_waitcnt vmcnt(49)
	ds_write_b32 v89, v61 offset:3696
	s_waitcnt vmcnt(48)
	ds_write_b32 v89, v62 offset:3960
	ds_read_b64 v[38:39], v90
	ds_read_b64 v[34:35], v90 offset:32
	ds_read_b64 v[32:33], v90 offset:64
	ds_read_b64 v[30:31], v90 offset:96
	ds_read_b64 v[28:29], v90 offset:128
	ds_read_b64 v[26:27], v90 offset:160
	ds_read_b64 v[24:25], v90 offset:192
	ds_read_b64 v[22:23], v90 offset:224
	s_waitcnt vmcnt(47)
	ds_write_b32 v89, v63
	s_waitcnt vmcnt(46)
	ds_write_b32 v89, v40 offset:264
	s_waitcnt vmcnt(45)
	ds_write_b32 v89, v18 offset:528
	s_waitcnt vmcnt(44)
	ds_write_b32 v89, v41 offset:792
	s_waitcnt vmcnt(43)
	ds_write_b32 v89, v42 offset:1056
	s_waitcnt vmcnt(42)
	ds_write_b32 v89, v43 offset:1320
	s_waitcnt vmcnt(41)
	ds_write_b32 v89, v44 offset:1584
	s_waitcnt vmcnt(40)
	ds_write_b32 v89, v45 offset:1848
	s_waitcnt vmcnt(39)
	ds_write_b32 v89, v46 offset:2112
	s_waitcnt vmcnt(38)
	ds_write_b32 v89, v47 offset:2376
	s_waitcnt vmcnt(37)
	ds_write_b32 v89, v48 offset:2640
	s_waitcnt vmcnt(36)
	ds_write_b32 v89, v49 offset:2904
	s_waitcnt vmcnt(35)
	ds_write_b32 v89, v50 offset:3168
	s_waitcnt vmcnt(34)
	ds_write_b32 v89, v51 offset:3432
	s_waitcnt vmcnt(33)
	ds_write_b32 v89, v52 offset:3696
	s_waitcnt vmcnt(32)
	ds_write_b32 v89, v53 offset:3960
	ds_read_b64 v[54:55], v90
	ds_read_b64 v[52:53], v90 offset:32
	ds_read_b64 v[48:49], v90 offset:64
	ds_read_b64 v[46:47], v90 offset:96
	ds_read_b64 v[44:45], v90 offset:128
	ds_read_b64 v[42:43], v90 offset:160
	ds_read_b64 v[40:41], v90 offset:192
	ds_read_b64 v[36:37], v90 offset:224
	s_waitcnt vmcnt(31)
	ds_write_b32 v89, v64
	s_waitcnt vmcnt(30)
	ds_write_b32 v89, v65 offset:264
	s_waitcnt vmcnt(29)
	ds_write_b32 v89, v66 offset:528
	s_waitcnt vmcnt(28)
	ds_write_b32 v89, v67 offset:792
	s_waitcnt vmcnt(27)
	ds_write_b32 v89, v68 offset:1056
	s_waitcnt vmcnt(26)
	ds_write_b32 v89, v69 offset:1320
	s_waitcnt vmcnt(25)
	ds_write_b32 v89, v70 offset:1584
	s_waitcnt vmcnt(24)
	ds_write_b32 v89, v71 offset:1848
	;; [unrolled: 40-line block ×3, first 2 shown]
	s_waitcnt vmcnt(7)
	ds_write_b32 v89, v93 offset:2112
	s_waitcnt vmcnt(6)
	ds_write_b32 v89, v94 offset:2376
	;; [unrolled: 2-line block ×8, first 2 shown]
	ds_read_b64 v[84:85], v90
	ds_read_b64 v[82:83], v90 offset:32
	ds_read_b64 v[78:79], v90 offset:64
	;; [unrolled: 1-line block ×7, first 2 shown]
	v_readlane_b32 vcc_lo, v118, 11
	v_readlane_b32 vcc_hi, v118, 12
	s_andn2_b64 vcc, exec, vcc
	v_mov_b32_e32 v91, 0
	v_mov_b32_e32 v18, 0
	s_cbranch_vccnz .LBB111_9
; %bb.7:                                ;   in Loop: Header=BB111_6 Depth=1
	s_load_dword s47, s[36:37], 0x0
	v_mov_b32_e32 v18, 0
	v_mov_b32_e32 v91, 0
	s_waitcnt lgkmcnt(0)
	s_mul_hi_u32 vcc_lo, s47, s16
	s_add_i32 vcc_lo, s47, vcc_lo
	s_lshr_b32 vcc_lo, vcc_lo, s17
	s_cmp_ge_i32 vcc_lo, s13
	s_cbranch_scc1 .LBB111_9
; %bb.8:                                ;   in Loop: Header=BB111_6 Depth=1
	s_mul_i32 vcc_hi, vcc_lo, s18
	s_sub_i32 s47, s47, vcc_hi
	s_mul_i32 vcc_lo, vcc_lo, s20
	s_mul_i32 s47, s47, s9
	v_add_u32_e32 v18, vcc_lo, v88
	v_lshl_add_u32 v92, v18, 1, s47
	v_ashrrev_i32_e32 v93, 31, v92
	v_lshl_add_u64 v[92:93], v[92:93], 2, s[6:7]
	global_load_dwordx2 v[92:93], v[92:93], off
	s_waitcnt vmcnt(0)
	v_cvt_f16_f32_e32 v91, v92
	v_cvt_f16_f32_e32 v18, v93
.LBB111_9:                              ;   in Loop: Header=BB111_6 Depth=1
	v_readlane_b32 vcc_lo, v118, 13
	v_readlane_b32 vcc_hi, v118, 14
	v_mov_b32_e32 v92, 0
	s_andn2_b64 vcc, exec, vcc
	v_mov_b32_e32 v94, 0
	v_mov_b32_e32 v93, 0
	s_cbranch_vccnz .LBB111_12
; %bb.10:                               ;   in Loop: Header=BB111_6 Depth=1
	s_load_dword s47, s[36:37], 0x4
	v_mov_b32_e32 v93, 0
	v_mov_b32_e32 v94, 0
	s_waitcnt lgkmcnt(0)
	s_mul_hi_u32 vcc_lo, s47, s16
	s_add_i32 vcc_lo, s47, vcc_lo
	s_lshr_b32 vcc_lo, vcc_lo, s17
	s_cmp_ge_i32 vcc_lo, s13
	s_cbranch_scc1 .LBB111_12
; %bb.11:                               ;   in Loop: Header=BB111_6 Depth=1
	s_mul_i32 vcc_hi, vcc_lo, s18
	s_sub_i32 s47, s47, vcc_hi
	s_mul_i32 vcc_lo, vcc_lo, s20
	s_mul_i32 s47, s47, s9
	v_add_u32_e32 v93, vcc_lo, v88
	v_lshl_add_u32 v94, v93, 1, s47
	v_ashrrev_i32_e32 v95, 31, v94
	v_lshl_add_u64 v[94:95], v[94:95], 2, s[6:7]
	global_load_dwordx2 v[94:95], v[94:95], off
	s_waitcnt vmcnt(0)
	v_cvt_f16_f32_e32 v94, v94
	v_cvt_f16_f32_e32 v93, v95
.LBB111_12:                             ;   in Loop: Header=BB111_6 Depth=1
	v_readlane_b32 vcc_lo, v118, 15
	v_readlane_b32 vcc_hi, v118, 16
	s_andn2_b64 vcc, exec, vcc
	v_mov_b32_e32 v95, 0
	s_cbranch_vccnz .LBB111_15
; %bb.13:                               ;   in Loop: Header=BB111_6 Depth=1
	s_load_dword s47, s[36:37], 0x8
	v_mov_b32_e32 v95, 0
	v_mov_b32_e32 v92, 0
	s_waitcnt lgkmcnt(0)
	s_mul_hi_u32 vcc_lo, s47, s16
	s_add_i32 vcc_lo, s47, vcc_lo
	s_lshr_b32 vcc_lo, vcc_lo, s17
	s_cmp_ge_i32 vcc_lo, s13
	s_cbranch_scc1 .LBB111_15
; %bb.14:                               ;   in Loop: Header=BB111_6 Depth=1
	s_mul_i32 vcc_hi, vcc_lo, s18
	s_sub_i32 s47, s47, vcc_hi
	s_mul_i32 vcc_lo, vcc_lo, s20
	s_mul_i32 s47, s47, s9
	v_add_u32_e32 v92, vcc_lo, v88
	v_lshl_add_u32 v96, v92, 1, s47
	v_ashrrev_i32_e32 v97, 31, v96
	v_lshl_add_u64 v[96:97], v[96:97], 2, s[6:7]
	global_load_dwordx2 v[96:97], v[96:97], off
	s_waitcnt vmcnt(0)
	v_cvt_f16_f32_e32 v92, v96
	v_cvt_f16_f32_e32 v95, v97
.LBB111_15:                             ;   in Loop: Header=BB111_6 Depth=1
	v_readlane_b32 vcc_lo, v118, 17
	v_readlane_b32 vcc_hi, v118, 18
	v_mov_b32_e32 v96, 0
	s_andn2_b64 vcc, exec, vcc
	v_mov_b32_e32 v98, 0
	v_mov_b32_e32 v97, 0
	s_cbranch_vccnz .LBB111_18
; %bb.16:                               ;   in Loop: Header=BB111_6 Depth=1
	s_load_dword s47, s[36:37], 0xc
	v_mov_b32_e32 v97, 0
	v_mov_b32_e32 v98, 0
	s_waitcnt lgkmcnt(0)
	s_mul_hi_u32 vcc_lo, s47, s16
	s_add_i32 vcc_lo, s47, vcc_lo
	s_lshr_b32 vcc_lo, vcc_lo, s17
	s_cmp_ge_i32 vcc_lo, s13
	s_cbranch_scc1 .LBB111_18
; %bb.17:                               ;   in Loop: Header=BB111_6 Depth=1
	s_mul_i32 vcc_hi, vcc_lo, s18
	s_sub_i32 s47, s47, vcc_hi
	s_mul_i32 vcc_lo, vcc_lo, s20
	s_mul_i32 s47, s47, s9
	v_add_u32_e32 v97, vcc_lo, v88
	v_lshl_add_u32 v98, v97, 1, s47
	v_ashrrev_i32_e32 v99, 31, v98
	v_lshl_add_u64 v[98:99], v[98:99], 2, s[6:7]
	global_load_dwordx2 v[98:99], v[98:99], off
	s_waitcnt vmcnt(0)
	v_cvt_f16_f32_e32 v98, v98
	v_cvt_f16_f32_e32 v97, v99
.LBB111_18:                             ;   in Loop: Header=BB111_6 Depth=1
	v_readlane_b32 vcc_lo, v118, 19
	v_readlane_b32 vcc_hi, v118, 20
	s_andn2_b64 vcc, exec, vcc
	v_mov_b32_e32 v99, 0
	s_cbranch_vccnz .LBB111_21
; %bb.19:                               ;   in Loop: Header=BB111_6 Depth=1
	s_load_dword s47, s[36:37], 0x10
	v_mov_b32_e32 v99, 0
	v_mov_b32_e32 v96, 0
	s_waitcnt lgkmcnt(0)
	s_mul_hi_u32 vcc_lo, s47, s16
	s_add_i32 vcc_lo, s47, vcc_lo
	s_lshr_b32 vcc_lo, vcc_lo, s17
	s_cmp_ge_i32 vcc_lo, s13
	s_cbranch_scc1 .LBB111_21
; %bb.20:                               ;   in Loop: Header=BB111_6 Depth=1
	s_mul_i32 vcc_hi, vcc_lo, s18
	s_sub_i32 s47, s47, vcc_hi
	s_mul_i32 vcc_lo, vcc_lo, s20
	s_mul_i32 s47, s47, s9
	v_add_u32_e32 v96, vcc_lo, v88
	v_lshl_add_u32 v100, v96, 1, s47
	v_ashrrev_i32_e32 v101, 31, v100
	v_lshl_add_u64 v[100:101], v[100:101], 2, s[6:7]
	global_load_dwordx2 v[100:101], v[100:101], off
	s_waitcnt vmcnt(0)
	v_cvt_f16_f32_e32 v96, v100
	v_cvt_f16_f32_e32 v99, v101
.LBB111_21:                             ;   in Loop: Header=BB111_6 Depth=1
	v_readlane_b32 vcc_lo, v118, 21
	v_readlane_b32 vcc_hi, v118, 22
	v_mov_b32_e32 v100, 0
	s_andn2_b64 vcc, exec, vcc
	v_mov_b32_e32 v102, 0
	v_mov_b32_e32 v101, 0
	s_cbranch_vccnz .LBB111_24
; %bb.22:                               ;   in Loop: Header=BB111_6 Depth=1
	s_load_dword s47, s[36:37], 0x14
	v_mov_b32_e32 v101, 0
	v_mov_b32_e32 v102, 0
	s_waitcnt lgkmcnt(0)
	s_mul_hi_u32 vcc_lo, s47, s16
	s_add_i32 vcc_lo, s47, vcc_lo
	s_lshr_b32 vcc_lo, vcc_lo, s17
	s_cmp_ge_i32 vcc_lo, s13
	s_cbranch_scc1 .LBB111_24
; %bb.23:                               ;   in Loop: Header=BB111_6 Depth=1
	s_mul_i32 vcc_hi, vcc_lo, s18
	s_sub_i32 s47, s47, vcc_hi
	s_mul_i32 vcc_lo, vcc_lo, s20
	s_mul_i32 s47, s47, s9
	v_add_u32_e32 v101, vcc_lo, v88
	v_lshl_add_u32 v102, v101, 1, s47
	v_ashrrev_i32_e32 v103, 31, v102
	v_lshl_add_u64 v[102:103], v[102:103], 2, s[6:7]
	global_load_dwordx2 v[102:103], v[102:103], off
	s_waitcnt vmcnt(0)
	v_cvt_f16_f32_e32 v102, v102
	v_cvt_f16_f32_e32 v101, v103
.LBB111_24:                             ;   in Loop: Header=BB111_6 Depth=1
	s_andn2_b64 vcc, exec, s[48:49]
	v_mov_b32_e32 v103, 0
	s_cbranch_vccnz .LBB111_27
; %bb.25:                               ;   in Loop: Header=BB111_6 Depth=1
	s_load_dword s47, s[36:37], 0x18
	v_mov_b32_e32 v103, 0
	v_mov_b32_e32 v100, 0
	s_waitcnt lgkmcnt(0)
	s_mul_hi_u32 vcc_lo, s47, s16
	s_add_i32 vcc_lo, s47, vcc_lo
	s_lshr_b32 vcc_lo, vcc_lo, s17
	s_cmp_ge_i32 vcc_lo, s13
	s_cbranch_scc1 .LBB111_27
; %bb.26:                               ;   in Loop: Header=BB111_6 Depth=1
	s_mul_i32 vcc_hi, vcc_lo, s18
	s_sub_i32 s47, s47, vcc_hi
	s_mul_i32 vcc_lo, vcc_lo, s20
	s_mul_i32 s47, s47, s9
	v_add_u32_e32 v100, vcc_lo, v88
	v_lshl_add_u32 v104, v100, 1, s47
	v_ashrrev_i32_e32 v105, 31, v104
	v_lshl_add_u64 v[104:105], v[104:105], 2, s[6:7]
	global_load_dwordx2 v[104:105], v[104:105], off
	s_waitcnt vmcnt(0)
	v_cvt_f16_f32_e32 v100, v104
	v_cvt_f16_f32_e32 v103, v105
.LBB111_27:                             ;   in Loop: Header=BB111_6 Depth=1
	v_mov_b32_e32 v104, 0
	s_andn2_b64 vcc, exec, s[50:51]
	v_mov_b32_e32 v106, 0
	v_mov_b32_e32 v105, 0
	s_cbranch_vccnz .LBB111_30
; %bb.28:                               ;   in Loop: Header=BB111_6 Depth=1
	s_load_dword s47, s[36:37], 0x1c
	v_mov_b32_e32 v105, 0
	v_mov_b32_e32 v106, 0
	s_waitcnt lgkmcnt(0)
	s_mul_hi_u32 vcc_lo, s47, s16
	s_add_i32 vcc_lo, s47, vcc_lo
	s_lshr_b32 vcc_lo, vcc_lo, s17
	s_cmp_ge_i32 vcc_lo, s13
	s_cbranch_scc1 .LBB111_30
; %bb.29:                               ;   in Loop: Header=BB111_6 Depth=1
	s_mul_i32 vcc_hi, vcc_lo, s18
	s_sub_i32 s47, s47, vcc_hi
	s_mul_i32 vcc_lo, vcc_lo, s20
	s_mul_i32 s47, s47, s9
	v_add_u32_e32 v105, vcc_lo, v88
	v_lshl_add_u32 v106, v105, 1, s47
	v_ashrrev_i32_e32 v107, 31, v106
	v_lshl_add_u64 v[106:107], v[106:107], 2, s[6:7]
	global_load_dwordx2 v[106:107], v[106:107], off
	s_waitcnt vmcnt(0)
	v_cvt_f16_f32_e32 v106, v106
	v_cvt_f16_f32_e32 v105, v107
.LBB111_30:                             ;   in Loop: Header=BB111_6 Depth=1
	s_andn2_b64 vcc, exec, s[52:53]
	v_mov_b32_e32 v107, 0
	s_cbranch_vccnz .LBB111_33
; %bb.31:                               ;   in Loop: Header=BB111_6 Depth=1
	s_load_dword s47, s[36:37], 0x20
	v_mov_b32_e32 v107, 0
	v_mov_b32_e32 v104, 0
	s_waitcnt lgkmcnt(0)
	s_mul_hi_u32 vcc_lo, s47, s16
	s_add_i32 vcc_lo, s47, vcc_lo
	s_lshr_b32 vcc_lo, vcc_lo, s17
	s_cmp_ge_i32 vcc_lo, s13
	s_cbranch_scc1 .LBB111_33
; %bb.32:                               ;   in Loop: Header=BB111_6 Depth=1
	s_mul_i32 vcc_hi, vcc_lo, s18
	s_sub_i32 s47, s47, vcc_hi
	s_mul_i32 vcc_lo, vcc_lo, s20
	s_mul_i32 s47, s47, s9
	v_add_u32_e32 v104, vcc_lo, v88
	v_lshl_add_u32 v108, v104, 1, s47
	v_ashrrev_i32_e32 v109, 31, v108
	v_lshl_add_u64 v[108:109], v[108:109], 2, s[6:7]
	global_load_dwordx2 v[108:109], v[108:109], off
	s_waitcnt vmcnt(0)
	v_cvt_f16_f32_e32 v104, v108
	v_cvt_f16_f32_e32 v107, v109
.LBB111_33:                             ;   in Loop: Header=BB111_6 Depth=1
	v_mov_b32_e32 v108, 0
	s_andn2_b64 vcc, exec, s[54:55]
	;; [unrolled: 56-line block ×3, first 2 shown]
	v_mov_b32_e32 v114, 0
	v_mov_b32_e32 v113, 0
	s_cbranch_vccnz .LBB111_42
; %bb.40:                               ;   in Loop: Header=BB111_6 Depth=1
	s_load_dword s47, s[36:37], 0x2c
	v_mov_b32_e32 v113, 0
	v_mov_b32_e32 v114, 0
	s_waitcnt lgkmcnt(0)
	s_mul_hi_u32 vcc_lo, s47, s16
	s_add_i32 vcc_lo, s47, vcc_lo
	s_lshr_b32 vcc_lo, vcc_lo, s17
	s_cmp_ge_i32 vcc_lo, s13
	s_cbranch_scc1 .LBB111_42
; %bb.41:                               ;   in Loop: Header=BB111_6 Depth=1
	s_mul_i32 vcc_hi, vcc_lo, s18
	s_sub_i32 s47, s47, vcc_hi
	s_mul_i32 vcc_lo, vcc_lo, s20
	s_mul_i32 s47, s47, s9
	v_add_u32_e32 v113, vcc_lo, v88
	v_lshl_add_u32 v114, v113, 1, s47
	v_ashrrev_i32_e32 v115, 31, v114
	v_lshl_add_u64 v[114:115], v[114:115], 2, s[6:7]
	global_load_dwordx2 v[114:115], v[114:115], off
	s_waitcnt vmcnt(0)
	v_cvt_f16_f32_e32 v114, v114
	v_cvt_f16_f32_e32 v113, v115
.LBB111_42:                             ;   in Loop: Header=BB111_6 Depth=1
	s_andn2_b64 vcc, exec, s[60:61]
	v_mov_b32_e32 v115, 0
	s_cbranch_vccnz .LBB111_5
; %bb.43:                               ;   in Loop: Header=BB111_6 Depth=1
	s_load_dword s47, s[36:37], 0x30
	v_mov_b32_e32 v115, 0
	v_mov_b32_e32 v112, 0
	s_waitcnt lgkmcnt(0)
	s_mul_hi_u32 vcc_lo, s47, s16
	s_add_i32 vcc_lo, s47, vcc_lo
	s_lshr_b32 vcc_lo, vcc_lo, s17
	s_cmp_ge_i32 vcc_lo, s13
	s_cbranch_scc1 .LBB111_5
; %bb.44:                               ;   in Loop: Header=BB111_6 Depth=1
	s_mul_i32 vcc_hi, vcc_lo, s18
	s_sub_i32 s47, s47, vcc_hi
	s_mul_i32 vcc_lo, vcc_lo, s20
	s_mul_i32 s47, s47, s9
	v_add_u32_e32 v112, vcc_lo, v88
	v_lshl_add_u32 v116, v112, 1, s47
	v_ashrrev_i32_e32 v117, 31, v116
	v_lshl_add_u64 v[116:117], v[116:117], 2, s[6:7]
	global_load_dwordx2 v[116:117], v[116:117], off
	s_waitcnt vmcnt(0)
	v_cvt_f16_f32_e32 v112, v116
	v_cvt_f16_f32_e32 v115, v117
	s_branch .LBB111_5
.LBB111_45:
	s_or_b64 exec, exec, s[4:5]
	v_readlane_b32 s24, v118, 6
	v_readlane_b32 s30, v118, 9
	v_readlane_b32 s22, v118, 4
	v_readlane_b32 s36, v118, 2
	v_readlane_b32 s25, v118, 7
	v_readlane_b32 s26, v118, 25
	v_readlane_b32 s28, v118, 23
	v_readlane_b32 s31, v118, 10
	v_readlane_b32 s11, v118, 8
	v_readlane_b32 s23, v118, 5
	v_readlane_b32 s37, v118, 3
	v_readlane_b32 s29, v118, 24
.LBB111_46:
	s_or_b64 exec, exec, s[36:37]
	s_lshl_b64 s[0:1], s[30:31], 2
	s_add_u32 s4, s22, s0
	v_lshl_add_u32 v18, v86, 2, 0
	v_mul_u32_u24_e32 v19, 0x508, v87
	v_and_b32_e32 v20, 0x3f0, v17
	s_addc_u32 s5, s23, s1
	v_add3_u32 v18, v18, v19, v20
	s_barrier
	ds_write2_b32 v18, v8, v9 offset1:1
	ds_write2_b32 v18, v10, v11 offset0:2 offset1:3
	ds_write2_b32 v18, v0, v1 offset0:16 offset1:17
	;; [unrolled: 1-line block ×7, first 2 shown]
	s_cmp_gt_i32 s14, 0
	v_add_u32_e32 v0, s28, v16
	s_cselect_b64 s[6:7], -1, 0
	v_cmp_gt_i32_e64 s[0:1], s26, v0
	v_cmp_gt_u32_e32 vcc, 13, v16
	s_and_b64 s[0:1], s[6:7], s[0:1]
	v_lshl_add_u32 v3, v17, 2, 0
	v_add_u32_e32 v2, s11, v17
	v_mul_u32_u24_e32 v4, 0x508, v16
	s_and_b64 s[2:3], vcc, s[0:1]
	s_waitcnt lgkmcnt(0)
	s_barrier
	s_and_saveexec_b64 s[0:1], s[2:3]
	s_cbranch_execz .LBB111_49
; %bb.47:
	v_ashrrev_i32_e32 v1, 31, v0
	v_lshl_add_u64 v[6:7], v[0:1], 2, s[4:5]
	global_load_dword v5, v[6:7], off
	s_waitcnt vmcnt(0)
	v_mul_hi_u32 v1, v5, s19
	v_add_u32_e32 v1, v5, v1
	v_lshrrev_b32_e32 v1, s24, v1
	v_cmp_gt_i32_e32 vcc, s13, v1
	s_and_b64 exec, exec, vcc
	s_cbranch_execz .LBB111_49
; %bb.48:
	v_add_u32_e32 v10, v3, v4
	ds_read2st64_b32 v[6:7], v10 offset1:1
	ds_read2st64_b32 v[8:9], v10 offset0:2 offset1:3
	ds_read_b32 v10, v10 offset:1024
	v_mul_lo_u32 v11, v1, s25
	v_sub_u32_e32 v5, v5, v11
	v_mul_lo_u32 v5, v5, s10
	s_waitcnt lgkmcnt(2)
	v_add_f32_e32 v6, 0, v6
	v_add_f32_e32 v6, v6, v7
	s_waitcnt lgkmcnt(1)
	v_add_f32_e32 v6, v6, v8
	v_add_f32_e32 v6, v6, v9
	v_mul_lo_u32 v1, v1, s21
	v_readlane_b32 s2, v118, 0
	s_waitcnt lgkmcnt(0)
	v_add_f32_e32 v8, v6, v10
	v_add3_u32 v6, v2, v1, v5
	v_mov_b32_e32 v7, 0
	v_readlane_b32 s3, v118, 1
	s_nop 1
	v_lshl_add_u64 v[6:7], v[6:7], 2, s[2:3]
	global_store_dword v[6:7], v8, off
.LBB111_49:
	s_or_b64 exec, exec, s[0:1]
	v_add_u32_e32 v1, 5, v0
	v_cmp_gt_i32_e64 s[0:1], s26, v1
	v_cmp_gt_u32_e32 vcc, 8, v16
	s_and_b64 s[0:1], s[6:7], s[0:1]
	s_and_b64 s[2:3], vcc, s[0:1]
	s_and_saveexec_b64 s[0:1], s[2:3]
	s_cbranch_execz .LBB111_52
; %bb.50:
	s_ashr_i32 s29, s28, 31
	v_mov_b32_e32 v17, 0
	v_lshl_add_u64 v[6:7], v[16:17], 0, s[28:29]
	v_lshl_add_u64 v[6:7], v[6:7], 2, s[4:5]
	global_load_dword v5, v[6:7], off offset:20
	s_waitcnt vmcnt(0)
	v_mul_hi_u32 v1, v5, s19
	v_add_u32_e32 v1, v5, v1
	v_lshrrev_b32_e32 v1, s24, v1
	v_cmp_gt_i32_e32 vcc, s13, v1
	s_and_b64 exec, exec, vcc
	s_cbranch_execz .LBB111_52
; %bb.51:
	v_add_u32_e32 v10, v4, v3
	v_add_u32_e32 v8, 40, v10
	ds_read2st64_b32 v[6:7], v8 offset0:25 offset1:26
	ds_read2st64_b32 v[8:9], v8 offset0:27 offset1:28
	ds_read_b32 v10, v10 offset:7464
	v_mul_lo_u32 v11, v1, s25
	v_sub_u32_e32 v5, v5, v11
	v_mul_lo_u32 v5, v5, s10
	s_waitcnt lgkmcnt(2)
	v_add_f32_e32 v6, 0, v6
	v_add_f32_e32 v6, v6, v7
	s_waitcnt lgkmcnt(1)
	v_add_f32_e32 v6, v6, v8
	v_add_f32_e32 v6, v6, v9
	v_mul_lo_u32 v1, v1, s21
	v_readlane_b32 s2, v118, 0
	s_waitcnt lgkmcnt(0)
	v_add_f32_e32 v8, v6, v10
	v_add3_u32 v6, v2, v1, v5
	v_mov_b32_e32 v7, v17
	v_readlane_b32 s3, v118, 1
	s_nop 1
	v_lshl_add_u64 v[6:7], v[6:7], 2, s[2:3]
	global_store_dword v[6:7], v8, off
.LBB111_52:
	s_or_b64 exec, exec, s[0:1]
	v_cmp_gt_u32_e32 vcc, 3, v16
	s_and_saveexec_b64 s[0:1], vcc
	s_cbranch_execz .LBB111_56
; %bb.53:
	v_add_u32_e32 v0, 10, v0
	v_cmp_gt_i32_e32 vcc, s26, v0
	s_and_b64 s[0:1], s[6:7], vcc
	s_and_b64 exec, exec, s[0:1]
	s_cbranch_execz .LBB111_56
; %bb.54:
	s_ashr_i32 s29, s28, 31
	v_mov_b32_e32 v17, 0
	v_lshl_add_u64 v[0:1], v[16:17], 0, s[28:29]
	v_lshl_add_u64 v[0:1], v[0:1], 2, s[4:5]
	global_load_dword v1, v[0:1], off offset:40
	s_waitcnt vmcnt(0)
	v_mul_hi_u32 v0, v1, s19
	v_add_u32_e32 v0, v1, v0
	v_lshrrev_b32_e32 v0, s24, v0
	v_cmp_gt_i32_e32 vcc, s13, v0
	s_and_b64 exec, exec, vcc
	s_cbranch_execz .LBB111_56
; %bb.55:
	v_add_u32_e32 v3, v3, v4
	v_add_u32_e32 v6, 0x50, v3
	ds_read2st64_b32 v[4:5], v6 offset0:50 offset1:51
	ds_read2st64_b32 v[6:7], v6 offset0:52 offset1:53
	ds_read_b32 v3, v3 offset:13904
	v_mul_lo_u32 v8, v0, s25
	v_sub_u32_e32 v1, v1, v8
	v_mul_lo_u32 v1, v1, s10
	s_waitcnt lgkmcnt(2)
	v_add_f32_e32 v4, 0, v4
	v_add_f32_e32 v4, v4, v5
	s_waitcnt lgkmcnt(1)
	v_add_f32_e32 v4, v4, v6
	v_mul_lo_u32 v0, v0, s21
	v_readlane_b32 s0, v118, 0
	v_add_f32_e32 v4, v4, v7
	v_add3_u32 v16, v2, v0, v1
	v_readlane_b32 s1, v118, 1
	s_waitcnt lgkmcnt(0)
	v_add_f32_e32 v3, v4, v3
	v_lshl_add_u64 v[0:1], v[16:17], 2, s[0:1]
	global_store_dword v[0:1], v3, off
.LBB111_56:
	s_endpgm
	.section	.rodata,"a",@progbits
	.p2align	6, 0x0
	.amdhsa_kernel _ZL13mul_mat_f_idsI7__half2Li64ELi13ELi5EEvPKT_PKfPKiS7_S7_Pfiiiiiiiiiiiiii15HIP_vector_typeIjLj3EESA_
		.amdhsa_group_segment_fixed_size 0
		.amdhsa_private_segment_fixed_size 0
		.amdhsa_kernarg_size 128
		.amdhsa_user_sgpr_count 2
		.amdhsa_user_sgpr_dispatch_ptr 0
		.amdhsa_user_sgpr_queue_ptr 0
		.amdhsa_user_sgpr_kernarg_segment_ptr 1
		.amdhsa_user_sgpr_dispatch_id 0
		.amdhsa_user_sgpr_kernarg_preload_length 0
		.amdhsa_user_sgpr_kernarg_preload_offset 0
		.amdhsa_user_sgpr_private_segment_size 0
		.amdhsa_uses_dynamic_stack 0
		.amdhsa_enable_private_segment 0
		.amdhsa_system_sgpr_workgroup_id_x 1
		.amdhsa_system_sgpr_workgroup_id_y 1
		.amdhsa_system_sgpr_workgroup_id_z 1
		.amdhsa_system_sgpr_workgroup_info 0
		.amdhsa_system_vgpr_workitem_id 1
		.amdhsa_next_free_vgpr 119
		.amdhsa_next_free_sgpr 100
		.amdhsa_accum_offset 120
		.amdhsa_reserve_vcc 1
		.amdhsa_float_round_mode_32 0
		.amdhsa_float_round_mode_16_64 0
		.amdhsa_float_denorm_mode_32 3
		.amdhsa_float_denorm_mode_16_64 3
		.amdhsa_dx10_clamp 1
		.amdhsa_ieee_mode 1
		.amdhsa_fp16_overflow 0
		.amdhsa_tg_split 0
		.amdhsa_exception_fp_ieee_invalid_op 0
		.amdhsa_exception_fp_denorm_src 0
		.amdhsa_exception_fp_ieee_div_zero 0
		.amdhsa_exception_fp_ieee_overflow 0
		.amdhsa_exception_fp_ieee_underflow 0
		.amdhsa_exception_fp_ieee_inexact 0
		.amdhsa_exception_int_div_zero 0
	.end_amdhsa_kernel
	.section	.text._ZL13mul_mat_f_idsI7__half2Li64ELi13ELi5EEvPKT_PKfPKiS7_S7_Pfiiiiiiiiiiiiii15HIP_vector_typeIjLj3EESA_,"axG",@progbits,_ZL13mul_mat_f_idsI7__half2Li64ELi13ELi5EEvPKT_PKfPKiS7_S7_Pfiiiiiiiiiiiiii15HIP_vector_typeIjLj3EESA_,comdat
.Lfunc_end111:
	.size	_ZL13mul_mat_f_idsI7__half2Li64ELi13ELi5EEvPKT_PKfPKiS7_S7_Pfiiiiiiiiiiiiii15HIP_vector_typeIjLj3EESA_, .Lfunc_end111-_ZL13mul_mat_f_idsI7__half2Li64ELi13ELi5EEvPKT_PKfPKiS7_S7_Pfiiiiiiiiiiiiii15HIP_vector_typeIjLj3EESA_
                                        ; -- End function
	.set _ZL13mul_mat_f_idsI7__half2Li64ELi13ELi5EEvPKT_PKfPKiS7_S7_Pfiiiiiiiiiiiiii15HIP_vector_typeIjLj3EESA_.num_vgpr, 119
	.set _ZL13mul_mat_f_idsI7__half2Li64ELi13ELi5EEvPKT_PKfPKiS7_S7_Pfiiiiiiiiiiiiii15HIP_vector_typeIjLj3EESA_.num_agpr, 0
	.set _ZL13mul_mat_f_idsI7__half2Li64ELi13ELi5EEvPKT_PKfPKiS7_S7_Pfiiiiiiiiiiiiii15HIP_vector_typeIjLj3EESA_.numbered_sgpr, 100
	.set _ZL13mul_mat_f_idsI7__half2Li64ELi13ELi5EEvPKT_PKfPKiS7_S7_Pfiiiiiiiiiiiiii15HIP_vector_typeIjLj3EESA_.num_named_barrier, 0
	.set _ZL13mul_mat_f_idsI7__half2Li64ELi13ELi5EEvPKT_PKfPKiS7_S7_Pfiiiiiiiiiiiiii15HIP_vector_typeIjLj3EESA_.private_seg_size, 0
	.set _ZL13mul_mat_f_idsI7__half2Li64ELi13ELi5EEvPKT_PKfPKiS7_S7_Pfiiiiiiiiiiiiii15HIP_vector_typeIjLj3EESA_.uses_vcc, 1
	.set _ZL13mul_mat_f_idsI7__half2Li64ELi13ELi5EEvPKT_PKfPKiS7_S7_Pfiiiiiiiiiiiiii15HIP_vector_typeIjLj3EESA_.uses_flat_scratch, 0
	.set _ZL13mul_mat_f_idsI7__half2Li64ELi13ELi5EEvPKT_PKfPKiS7_S7_Pfiiiiiiiiiiiiii15HIP_vector_typeIjLj3EESA_.has_dyn_sized_stack, 0
	.set _ZL13mul_mat_f_idsI7__half2Li64ELi13ELi5EEvPKT_PKfPKiS7_S7_Pfiiiiiiiiiiiiii15HIP_vector_typeIjLj3EESA_.has_recursion, 0
	.set _ZL13mul_mat_f_idsI7__half2Li64ELi13ELi5EEvPKT_PKfPKiS7_S7_Pfiiiiiiiiiiiiii15HIP_vector_typeIjLj3EESA_.has_indirect_call, 0
	.section	.AMDGPU.csdata,"",@progbits
; Kernel info:
; codeLenInByte = 6804
; TotalNumSgprs: 106
; NumVgprs: 119
; NumAgprs: 0
; TotalNumVgprs: 119
; ScratchSize: 0
; MemoryBound: 0
; FloatMode: 240
; IeeeMode: 1
; LDSByteSize: 0 bytes/workgroup (compile time only)
; SGPRBlocks: 13
; VGPRBlocks: 14
; NumSGPRsForWavesPerEU: 106
; NumVGPRsForWavesPerEU: 119
; AccumOffset: 120
; Occupancy: 4
; WaveLimiterHint : 1
; COMPUTE_PGM_RSRC2:SCRATCH_EN: 0
; COMPUTE_PGM_RSRC2:USER_SGPR: 2
; COMPUTE_PGM_RSRC2:TRAP_HANDLER: 0
; COMPUTE_PGM_RSRC2:TGID_X_EN: 1
; COMPUTE_PGM_RSRC2:TGID_Y_EN: 1
; COMPUTE_PGM_RSRC2:TGID_Z_EN: 1
; COMPUTE_PGM_RSRC2:TIDIG_COMP_CNT: 1
; COMPUTE_PGM_RSRC3_GFX90A:ACCUM_OFFSET: 29
; COMPUTE_PGM_RSRC3_GFX90A:TG_SPLIT: 0
	.section	.text._ZL9mul_mat_fI7__half2Li64ELi13ELi5ELb1EEvPKT_PKfPKiPfiiiiiiiiiiiiiiii,"axG",@progbits,_ZL9mul_mat_fI7__half2Li64ELi13ELi5ELb1EEvPKT_PKfPKiPfiiiiiiiiiiiiiiii,comdat
	.globl	_ZL9mul_mat_fI7__half2Li64ELi13ELi5ELb1EEvPKT_PKfPKiPfiiiiiiiiiiiiiiii ; -- Begin function _ZL9mul_mat_fI7__half2Li64ELi13ELi5ELb1EEvPKT_PKfPKiPfiiiiiiiiiiiiiiii
	.p2align	8
	.type	_ZL9mul_mat_fI7__half2Li64ELi13ELi5ELb1EEvPKT_PKfPKiPfiiiiiiiiiiiiiiii,@function
_ZL9mul_mat_fI7__half2Li64ELi13ELi5ELb1EEvPKT_PKfPKiPfiiiiiiiiiiiiiiii: ; @_ZL9mul_mat_fI7__half2Li64ELi13ELi5ELb1EEvPKT_PKfPKiPfiiiiiiiiiiiiiiii
; %bb.0:
	s_load_dwordx8 s[40:47], s[0:1], 0x20
	s_mov_b32 s22, s4
	v_and_b32_e32 v16, 0x3ff, v0
	v_bfe_u32 v17, v0, 10, 10
	s_waitcnt lgkmcnt(0)
	s_add_i32 s4, s41, 12
	s_mul_hi_i32 s4, s4, 0x4ec4ec4f
	s_lshr_b32 s5, s4, 31
	s_ashr_i32 s4, s4, 2
	s_add_i32 s4, s4, s5
	v_cvt_f32_u32_e32 v1, s4
	s_load_dword s5, s[0:1], 0x64
	s_add_u32 s12, s0, 0x60
	s_addc_u32 s13, s1, 0
	v_rcp_iflag_f32_e32 v1, v1
	s_sub_i32 s6, 0, s4
	s_load_dwordx4 s[48:51], s[0:1], 0x44
	s_load_dwordx2 s[8:9], s[0:1], 0x10
	v_mul_f32_e32 v1, 0x4f7ffffe, v1
	v_cvt_u32_f32_e32 v1, v1
	v_mul_lo_u32 v2, s6, v1
	v_mul_hi_u32 v2, v1, v2
	v_add_u32_e32 v1, v1, v2
	s_waitcnt lgkmcnt(0)
	v_mul_hi_u32 v1, s5, v1
	v_mul_lo_u32 v2, v1, s4
	v_sub_u32_e32 v2, s5, v2
	v_add_u32_e32 v3, 1, v1
	v_subrev_u32_e32 v4, s4, v2
	v_cmp_le_u32_e32 vcc, s4, v2
	s_nop 1
	v_cndmask_b32_e32 v1, v1, v3, vcc
	v_cndmask_b32_e32 v2, v2, v4, vcc
	v_add_u32_e32 v3, 1, v1
	v_cmp_le_u32_e32 vcc, s4, v2
	s_abs_i32 s4, s51
	s_nop 0
	v_cndmask_b32_e32 v1, v1, v3, vcc
	v_cvt_f32_u32_e32 v2, v1
	v_cvt_f32_u32_e32 v3, s4
	v_sub_u32_e32 v4, 0, v1
	v_cmp_eq_u32_e32 vcc, 0, v16
	v_rcp_iflag_f32_e32 v2, v2
	v_rcp_iflag_f32_e32 v3, v3
	v_mul_f32_e32 v2, 0x4f7ffffe, v2
	v_cvt_u32_f32_e32 v2, v2
	v_mul_lo_u32 v4, v4, v2
	v_mul_hi_u32 v4, v2, v4
	v_add_u32_e32 v2, v2, v4
	v_mul_hi_u32 v2, s3, v2
	s_and_saveexec_b64 s[6:7], vcc
; %bb.1:
	v_mov_b32_e32 v4, 0x100
	v_lshl_add_u32 v4, v17, 2, v4
	v_mov_b32_e32 v5, -1
	ds_write_b32 v4, v5
; %bb.2:
	s_or_b64 exec, exec, s[6:7]
	v_mul_f32_e32 v8, 0x4f7ffffe, v3
	v_mul_lo_u32 v3, v2, v1
	v_sub_u32_e32 v3, s3, v3
	v_add_u32_e32 v4, 1, v2
	v_sub_u32_e32 v5, v3, v1
	v_cmp_ge_u32_e64 s[6:7], v3, v1
	s_nop 1
	v_cndmask_b32_e64 v2, v2, v4, s[6:7]
	v_cndmask_b32_e64 v3, v3, v5, s[6:7]
	v_add_u32_e32 v4, 1, v2
	v_cmp_ge_u32_e64 s[6:7], v3, v1
	s_nop 1
	v_cndmask_b32_e64 v2, v2, v4, s[6:7]
	v_mul_lo_u32 v94, v2, 13
	v_mul_lo_u32 v1, v2, v1
	v_mul_hi_i32 v3, v94, s47
	v_mul_lo_u32 v2, v94, s47
	v_sub_u32_e32 v18, s3, v1
	v_lshlrev_b64 v[2:3], 2, v[2:3]
	v_add_u32_e32 v1, v17, v94
	v_lshl_add_u64 v[2:3], s[8:9], 0, v[2:3]
	v_cmp_gt_i32_e64 s[6:7], s42, v16
	v_cmp_gt_i32_e64 s[24:25], s41, v1
	v_mov_b32_e32 v1, 0
	s_and_saveexec_b64 s[14:15], s[24:25]
	s_cbranch_execz .LBB112_10
; %bb.3:
	v_mov_b32_e32 v1, 0
	s_and_saveexec_b64 s[16:17], s[6:7]
	s_cbranch_execz .LBB112_9
; %bb.4:
	v_mul_lo_u32 v4, v17, s47
	v_ashrrev_i32_e32 v5, 31, v4
	v_mov_b32_e32 v1, 0x100
	v_lshl_add_u64 v[4:5], v[4:5], 2, v[2:3]
	v_lshl_add_u32 v9, v17, 2, v1
	v_mul_lo_u32 v6, v16, s46
	s_lshl_b32 s3, s46, 6
	v_mov_b32_e32 v1, 0
	s_mov_b64 s[18:19], 0
	v_mov_b32_e32 v10, v16
	s_branch .LBB112_6
.LBB112_5:                              ;   in Loop: Header=BB112_6 Depth=1
	s_or_b64 exec, exec, s[20:21]
	v_add_u32_e32 v10, 64, v10
	v_cmp_le_i32_e64 s[10:11], s42, v10
	s_xor_b64 s[8:9], s[8:9], -1
	s_or_b64 s[8:9], s[8:9], s[10:11]
	s_and_b64 s[8:9], exec, s[8:9]
	s_or_b64 s[18:19], s[8:9], s[18:19]
	v_add_u32_e32 v6, s3, v6
	s_andn2_b64 exec, exec, s[18:19]
	s_cbranch_execz .LBB112_8
.LBB112_6:                              ; =>This Inner Loop Header: Depth=1
	v_ashrrev_i32_e32 v7, 31, v6
	v_lshl_add_u64 v[12:13], v[6:7], 2, v[4:5]
	global_load_dword v7, v[12:13], off
	s_waitcnt vmcnt(0)
	v_cmp_ne_u32_e64 s[8:9], v7, v18
	v_cmp_eq_u32_e64 s[10:11], v7, v18
	s_and_saveexec_b64 s[20:21], s[10:11]
	s_cbranch_execz .LBB112_5
; %bb.7:                                ;   in Loop: Header=BB112_6 Depth=1
	v_mov_b32_e32 v1, 1
	ds_write_b32 v9, v10
	s_branch .LBB112_5
.LBB112_8:
	s_or_b64 exec, exec, s[18:19]
.LBB112_9:
	s_or_b64 exec, exec, s[16:17]
.LBB112_10:
	s_or_b64 exec, exec, s[14:15]
	v_cvt_u32_f32_e32 v8, v8
	s_sub_i32 s3, 0, s4
	s_and_saveexec_b64 s[8:9], vcc
; %bb.11:
	v_mov_b32_e32 v4, 0x100
	v_lshl_add_u32 v4, v17, 2, v4
	v_mov_b32_e32 v5, -1
	ds_write_b32 v4, v5 offset:20
; %bb.12:
	s_or_b64 exec, exec, s[8:9]
	v_add_u32_e32 v95, 5, v17
	v_mul_lo_u32 v9, s3, v8
	v_add_u32_e32 v4, v95, v94
	v_cmp_gt_i32_e64 s[8:9], s41, v4
	s_mov_b64 s[14:15], exec
                                        ; implicit-def: $vgpr110 : SGPR spill to VGPR lane
	s_nop 0
	v_writelane_b32 v110, s8, 0
	s_nop 1
	v_writelane_b32 v110, s9, 1
	s_and_b64 s[8:9], s[14:15], s[8:9]
	s_mov_b64 exec, s[8:9]
	s_cbranch_execz .LBB112_20
; %bb.13:
	s_and_saveexec_b64 s[16:17], s[6:7]
	s_cbranch_execz .LBB112_19
; %bb.14:
	v_mul_lo_u32 v4, v95, s47
	v_ashrrev_i32_e32 v5, 31, v4
	v_mov_b32_e32 v6, 0x100
	v_lshl_add_u64 v[4:5], v[4:5], 2, v[2:3]
	v_lshl_add_u32 v10, v17, 2, v6
	v_mul_lo_u32 v6, v16, s46
	s_lshl_b32 s3, s46, 6
	s_mov_b64 s[18:19], 0
	v_mov_b32_e32 v11, v16
	s_branch .LBB112_16
.LBB112_15:                             ;   in Loop: Header=BB112_16 Depth=1
	s_or_b64 exec, exec, s[20:21]
	v_add_u32_e32 v11, 64, v11
	v_cmp_le_i32_e64 s[10:11], s42, v11
	s_xor_b64 s[8:9], s[8:9], -1
	s_or_b64 s[8:9], s[8:9], s[10:11]
	s_and_b64 s[8:9], exec, s[8:9]
	s_or_b64 s[18:19], s[8:9], s[18:19]
	v_add_u32_e32 v6, s3, v6
	s_andn2_b64 exec, exec, s[18:19]
	s_cbranch_execz .LBB112_18
.LBB112_16:                             ; =>This Inner Loop Header: Depth=1
	v_ashrrev_i32_e32 v7, 31, v6
	v_lshl_add_u64 v[12:13], v[6:7], 2, v[4:5]
	global_load_dword v7, v[12:13], off
	s_waitcnt vmcnt(0)
	v_cmp_ne_u32_e64 s[8:9], v7, v18
	v_cmp_eq_u32_e64 s[10:11], v7, v18
	s_and_saveexec_b64 s[20:21], s[10:11]
	s_cbranch_execz .LBB112_15
; %bb.17:                               ;   in Loop: Header=BB112_16 Depth=1
	v_mov_b32_e32 v1, 1
	ds_write_b32 v10, v11 offset:20
	s_branch .LBB112_15
.LBB112_18:
	s_or_b64 exec, exec, s[18:19]
.LBB112_19:
	s_or_b64 exec, exec, s[16:17]
.LBB112_20:
	s_or_b64 exec, exec, s[14:15]
	v_mul_hi_u32 v4, v8, v9
	s_and_saveexec_b64 s[8:9], vcc
; %bb.21:
	v_mov_b32_e32 v5, 0x100
	v_lshl_add_u32 v5, v17, 2, v5
	v_mov_b32_e32 v6, -1
	ds_write_b32 v5, v6 offset:40
; %bb.22:
	s_or_b64 exec, exec, s[8:9]
	s_load_dwordx4 s[28:31], s[0:1], 0x54
	v_add_u32_e32 v96, 10, v17
	s_abs_i32 s3, s22
	v_add_u32_e32 v6, v8, v4
	v_add_u32_e32 v4, v96, v94
	v_cmp_gt_i32_e64 s[10:11], s41, v4
	s_mov_b64 s[8:9], exec
	s_nop 0
	v_writelane_b32 v110, s10, 2
	s_nop 1
	v_writelane_b32 v110, s11, 3
	s_and_b64 s[10:11], s[8:9], s[10:11]
	s_mov_b64 exec, s[10:11]
	s_cbranch_execz .LBB112_30
; %bb.23:
	s_and_saveexec_b64 s[10:11], s[6:7]
	s_cbranch_execz .LBB112_29
; %bb.24:
	v_mul_lo_u32 v4, v96, s47
	v_ashrrev_i32_e32 v5, 31, v4
	v_lshl_add_u64 v[2:3], v[4:5], 2, v[2:3]
	v_mov_b32_e32 v4, 0x100
	v_lshl_add_u32 v7, v17, 2, v4
	v_mul_lo_u32 v4, v16, s46
	s_lshl_b32 s5, s46, 6
	s_mov_b64 s[14:15], 0
	v_mov_b32_e32 v8, v16
	s_branch .LBB112_26
.LBB112_25:                             ;   in Loop: Header=BB112_26 Depth=1
	s_or_b64 exec, exec, s[16:17]
	v_add_u32_e32 v8, 64, v8
	v_cmp_le_i32_e64 s[6:7], s42, v8
	s_xor_b64 s[16:17], vcc, -1
	s_or_b64 s[6:7], s[16:17], s[6:7]
	s_and_b64 s[6:7], exec, s[6:7]
	s_or_b64 s[14:15], s[6:7], s[14:15]
	v_add_u32_e32 v4, s5, v4
	s_andn2_b64 exec, exec, s[14:15]
	s_cbranch_execz .LBB112_28
.LBB112_26:                             ; =>This Inner Loop Header: Depth=1
	v_ashrrev_i32_e32 v5, 31, v4
	v_lshl_add_u64 v[10:11], v[4:5], 2, v[2:3]
	global_load_dword v5, v[10:11], off
	s_waitcnt vmcnt(0)
	v_cmp_ne_u32_e32 vcc, v5, v18
	v_cmp_eq_u32_e64 s[6:7], v5, v18
	s_and_saveexec_b64 s[16:17], s[6:7]
	s_cbranch_execz .LBB112_25
; %bb.27:                               ;   in Loop: Header=BB112_26 Depth=1
	v_mov_b32_e32 v1, 1
	ds_write_b32 v7, v8 offset:40
	s_branch .LBB112_25
.LBB112_28:
	s_or_b64 exec, exec, s[14:15]
.LBB112_29:
	s_or_b64 exec, exec, s[10:11]
.LBB112_30:
	s_or_b64 exec, exec, s[8:9]
	s_load_dwordx2 s[6:7], s[12:13], 0xc
	s_load_dwordx2 s[8:9], s[0:1], 0x8
	;; [unrolled: 1-line block ×3, first 2 shown]
	v_or_b32_dpp v1, v1, v1 row_shl:1 row_mask:0xf bank_mask:0xf bound_ctrl:1
	v_mul_hi_u32 v19, s3, v6
	s_waitcnt lgkmcnt(0)
	s_and_b32 s5, s7, 0xffff
	s_lshr_b32 s7, s6, 16
	v_writelane_b32 v110, s10, 4
	s_and_b32 s6, s6, 0xffff
	v_or_b32_dpp v1, v1, v1 row_shl:2 row_mask:0xf bank_mask:0xf bound_ctrl:1
	v_writelane_b32 v110, s11, 5
	s_mul_i32 s10, s7, s6
	v_or_b32_dpp v1, v1, v1 row_shl:4 row_mask:0xf bank_mask:0xf bound_ctrl:1
	s_bfe_i32 s10, s10, 0x180000
	s_mul_i32 s5, s10, s5
	v_or_b32_dpp v1, v1, v1 row_shl:8 row_mask:0xf bank_mask:0xf bound_ctrl:1
	s_add_i32 s10, s5, 63
	s_bitcmp1_b32 exec_hi, 0
	v_mov_b32_dpp v2, v1 wave_shl:1 row_mask:0xf bank_mask:0xf bound_ctrl:1
                                        ; kill: killed $sgpr12 killed $sgpr13
	s_nop 1
	v_or_b32_dpp v1, v2, v1 row_mirror row_mask:0xf bank_mask:0xf bound_ctrl:1
	s_nop 0
	v_readlane_b32 s5, v1, 32
	s_cselect_b32 s5, s5, 0
	v_readlane_b32 s11, v1, 0
	s_or_b32 s5, s5, s11
	s_andn2_b32 s10, s10, 63
	s_cmp_lg_u32 s10, 64
	v_mov_b32_e32 v1, s5
	s_cbranch_scc0 .LBB112_37
; %bb.31:
	v_bfe_u32 v0, v0, 20, 10
	v_mbcnt_lo_u32_b32 v1, -1, 0
	v_mad_u32_u24 v0, v0, s7, v17
	v_mbcnt_hi_u32_b32 v2, -1, v1
	v_mad_u64_u32 v[0:1], s[6:7], v0, s6, v[16:17]
	v_lshrrev_b32_e32 v1, 6, v0
	v_or_b32_e32 v1, v2, v1
	v_cmp_eq_u32_e32 vcc, 0, v1
	s_and_saveexec_b64 s[6:7], vcc
; %bb.32:
	v_mov_b32_e32 v1, 0
	v_mov_b32_e32 v3, s5
	ds_write_b32 v1, v3
; %bb.33:
	s_or_b64 exec, exec, s[6:7]
	v_cmp_eq_u32_e32 vcc, 0, v2
	v_cmp_lt_u32_e64 s[6:7], 63, v0
	s_and_b64 s[10:11], s[6:7], vcc
	s_waitcnt lgkmcnt(0)
	s_barrier
	s_and_saveexec_b64 s[6:7], s[10:11]
	s_cbranch_execz .LBB112_36
; %bb.34:
	v_mbcnt_lo_u32_b32 v0, exec_lo, 0
	v_mbcnt_hi_u32_b32 v0, exec_hi, v0
	v_cmp_eq_u32_e32 vcc, 0, v0
	s_and_b64 exec, exec, vcc
; %bb.35:
	v_mov_b32_e32 v0, 0
	v_mov_b32_e32 v1, s5
	ds_or_b32 v0, v1
.LBB112_36:
	s_or_b64 exec, exec, s[6:7]
	v_mov_b32_e32 v0, 0
	s_waitcnt lgkmcnt(0)
	s_barrier
	ds_read_b32 v1, v0
	s_waitcnt lgkmcnt(0)
	s_barrier
.LBB112_37:
	s_load_dwordx2 s[6:7], s[0:1], 0x0
	v_cmp_ne_u32_e32 vcc, 0, v1
	s_ashr_i32 s5, s22, 31
	s_ashr_i32 s10, s51, 31
	s_cbranch_vccz .LBB112_107
; %bb.38:
	v_lshlrev_b32_e32 v97, 6, v17
	v_add_u32_e32 v99, v97, v16
	v_cmp_le_i32_e32 vcc, s40, v99
	v_and_b32_e32 v98, 15, v16
	s_and_saveexec_b64 s[0:1], vcc
	s_xor_b64 s[0:1], exec, s[0:1]
; %bb.39:
	v_and_b32_e32 v98, 15, v16
                                        ; implicit-def: $vgpr99
                                        ; implicit-def: $vgpr19
                                        ; implicit-def: $vgpr18
; %bb.40:
	s_or_saveexec_b64 s[0:1], s[0:1]
	v_mov_b32_e32 v7, 0
	s_lshl_b32 s11, s2, 6
	v_mov_b32_e32 v6, v7
	v_mov_b32_e32 v5, v7
	v_mov_b32_e32 v4, v7
	v_mov_b32_e32 v3, v7
	v_mov_b32_e32 v2, v7
	v_mov_b32_e32 v1, v7
	v_mov_b32_e32 v0, v7
	v_mov_b32_e32 v11, v7
	v_mov_b32_e32 v10, v7
	v_mov_b32_e32 v9, v7
	v_mov_b32_e32 v8, v7
	v_mov_b32_e32 v15, v7
	v_mov_b32_e32 v14, v7
	v_mov_b32_e32 v13, v7
	v_mov_b32_e32 v12, v7
	v_writelane_b32 v110, s0, 6
	s_nop 1
	v_writelane_b32 v110, s1, 7
	s_xor_b64 exec, exec, s[0:1]
	s_cbranch_execz .LBB112_96
; %bb.41:
	v_mul_lo_u32 v0, v19, s4
	v_sub_u32_e32 v0, s3, v0
	v_add_u32_e32 v1, 1, v19
	v_subrev_u32_e32 v2, s4, v0
	v_cmp_le_u32_e32 vcc, s4, v0
	s_xor_b32 s0, s5, s10
	v_writelane_b32 v110, s24, 8
	v_cndmask_b32_e32 v1, v19, v1, vcc
	v_cndmask_b32_e32 v0, v0, v2, vcc
	v_add_u32_e32 v2, 1, v1
	v_cmp_le_u32_e32 vcc, s4, v0
	v_writelane_b32 v110, s25, 9
	v_writelane_b32 v110, s11, 10
	v_cndmask_b32_e32 v0, v1, v2, vcc
	v_xor_b32_e32 v0, s0, v0
	v_subrev_u32_e32 v0, s0, v0
	s_mul_i32 s0, s43, s11
	v_mul_hi_i32 v1, v0, s28
	v_mul_lo_u32 v0, v0, s28
	v_mul_lo_u32 v2, v18, s48
	s_ashr_i32 s1, s0, 31
	v_ashrrev_i32_e32 v3, 31, v2
	v_lshlrev_b64 v[0:1], 2, v[0:1]
	s_lshl_b64 s[2:3], s[0:1], 2
	s_movk_i32 s0, 0x1080
	v_mov_b32_e32 v100, 0x100
	v_writelane_b32 v110, s22, 11
	s_waitcnt lgkmcnt(0)
	v_lshl_add_u64 v[4:5], s[6:7], 0, v[0:1]
	v_lshlrev_b64 v[2:3], 2, v[2:3]
	v_mad_u32_u24 v6, v17, s0, v100
	s_mul_hi_i32 s1, s29, s22
	v_writelane_b32 v110, s28, 12
	s_mul_i32 s0, s29, s22
	v_lshl_add_u64 v[4:5], v[4:5], 0, v[2:3]
	s_lshl_b64 s[0:1], s[0:1], 2
	v_lshl_add_u64 v[18:19], v[4:5], 0, s[2:3]
	v_writelane_b32 v110, s29, 13
	v_mul_hi_i32 v5, s44, v94
	v_mul_lo_u32 v4, s44, v94
	s_add_u32 s0, s8, s0
	v_writelane_b32 v110, s30, 14
	v_lshlrev_b64 v[4:5], 3, v[4:5]
	s_addc_u32 s1, s9, s1
	v_writelane_b32 v110, s31, 15
	v_lshl_add_u64 v[20:21], s[0:1], 0, v[4:5]
	s_lshl_b32 s0, s44, 3
	v_writelane_b32 v110, s0, 16
	s_mul_i32 s0, s44, 6
	v_writelane_b32 v110, s0, 17
	s_lshl_b32 s0, s44, 4
	v_writelane_b32 v110, s0, 18
	s_mul_i32 s0, s44, 10
	v_writelane_b32 v110, s0, 19
	s_mul_i32 s0, s44, 12
	s_ashr_i32 s9, s43, 31
	s_mov_b32 s8, s43
	v_writelane_b32 v110, s0, 20
	v_lshl_add_u64 v[0:1], v[0:1], 0, s[2:3]
	s_lshl_b64 s[2:3], s[8:9], 2
	s_mul_i32 s8, s44, 24
	v_writelane_b32 v110, s8, 21
	s_mul_i32 s8, s44, 22
	v_lshrrev_b32_e32 v5, 1, v16
	v_lshl_add_u64 v[0:1], v[0:1], 0, v[2:3]
	v_writelane_b32 v110, s8, 22
	s_mul_i32 s8, s44, 20
	v_mul_u32_u24_e32 v4, 0x108, v98
	v_and_b32_e32 v5, 0x1f8, v5
	v_add_u32_e32 v26, 1, v94
	v_add_u32_e32 v27, 2, v94
	s_lshl_b32 s42, s44, 2
	v_add_u32_e32 v28, 3, v94
	v_add_u32_e32 v29, 4, v94
	;; [unrolled: 1-line block ×10, first 2 shown]
	v_lshl_add_u64 v[0:1], s[6:7], 0, v[0:1]
	v_lshlrev_b32_e32 v2, 1, v16
	v_lshlrev_b32_e32 v22, 2, v99
	v_mov_b32_e32 v23, 0
	v_writelane_b32 v110, s8, 23
	s_mul_i32 s8, s44, 18
	v_lshl_add_u32 v101, v16, 2, v6
	v_add3_u32 v102, v6, v4, v5
	s_add_i32 s56, s43, s43
	s_mul_i32 s57, s43, 3
	s_lshl_b32 s58, s43, 2
	s_mul_i32 s59, s43, 5
	s_mul_i32 s60, s43, 6
	;; [unrolled: 1-line block ×3, first 2 shown]
	s_lshl_b32 s62, s43, 3
	s_mul_i32 s63, s43, 9
	s_mul_i32 s64, s43, 10
	;; [unrolled: 1-line block ×7, first 2 shown]
	s_lshl_b32 s70, s43, 4
	s_mul_i32 s71, s43, 17
	s_mul_i32 s72, s43, 18
	;; [unrolled: 1-line block ×15, first 2 shown]
	s_lshl_b32 s86, s43, 5
	s_mul_i32 s87, s43, 33
	s_mul_i32 s88, s43, 34
	;; [unrolled: 1-line block ×17, first 2 shown]
	v_cmp_gt_i32_e64 s[6:7], s41, v94
	s_mul_i32 s37, s43, 50
	s_mul_i32 s46, s43, 51
	v_lshl_add_u32 v103, v17, 7, v2
	v_lshl_add_u64 v[24:25], v[0:1], 0, v[22:23]
	v_mov_b32_e32 v12, 0
	v_mov_b32_e32 v13, v23
	v_mov_b32_e32 v14, v23
	v_mov_b32_e32 v15, v23
	v_mov_b32_e32 v8, 0
	v_mov_b32_e32 v9, v23
	v_mov_b32_e32 v10, v23
	v_mov_b32_e32 v11, v23
	v_mov_b32_e32 v0, 0
	v_mov_b32_e32 v1, v23
	v_mov_b32_e32 v2, v23
	v_mov_b32_e32 v3, v23
	v_mov_b32_e32 v4, 0
	v_mov_b32_e32 v5, v23
	v_mov_b32_e32 v6, v23
	v_mov_b32_e32 v7, v23
	s_mul_i32 s47, s43, 52
	s_mul_i32 s34, s43, 53
	;; [unrolled: 1-line block ×12, first 2 shown]
	v_writelane_b32 v110, s8, 24
	s_mul_i32 s55, s44, 14
	s_lshl_b32 s44, s44, 1
	v_cmp_gt_i32_e64 s[8:9], s41, v26
	v_cmp_gt_i32_e64 s[10:11], s41, v27
	;; [unrolled: 1-line block ×12, first 2 shown]
	s_mov_b32 s41, s42
	s_mov_b64 s[42:43], 0
	s_branch .LBB112_44
.LBB112_42:                             ;   in Loop: Header=BB112_44 Depth=1
	v_mul_lo_u32 v22, v22, s49
	v_readlane_b32 vcc_lo, v110, 21
	s_nop 1
	v_add_u32_e32 v22, vcc_lo, v22
	v_add_u32_e32 v90, v22, v103
	v_ashrrev_i32_e32 v91, 31, v90
	v_lshl_add_u64 v[90:91], v[90:91], 2, v[20:21]
	global_load_dwordx2 v[90:91], v[90:91], off
.LBB112_43:                             ;   in Loop: Header=BB112_44 Depth=1
	s_waitcnt vmcnt(0)
	v_cvt_pk_f16_f32 v22, v90, v91
	v_add_u32_e32 v90, 0xc00, v101
	ds_write2_b32 v90, v22, v23 offset0:40 offset1:106
	ds_write2_b32 v90, v23, v23 offset0:172 offset1:238
	ds_read2_b64 v[90:93], v102 offset0:8 offset1:12
	v_add_u32_e32 v99, 0x140, v99
	s_mov_b64 vcc, 0x500
	v_lshl_add_u64 v[24:25], v[24:25], 0, vcc
	s_waitcnt lgkmcnt(0)
	v_mfma_f32_16x16x16_f16 v[0:3], v[58:59], v[90:91], v[0:3]
	v_cmp_le_i32_e32 vcc, s40, v99
	v_add_u32_e32 v103, 0x280, v103
	s_or_b64 s[42:43], vcc, s[42:43]
	v_mfma_f32_16x16x16_f16 v[4:7], v[42:43], v[90:91], v[4:7]
	v_mfma_f32_16x16x16_f16 v[8:11], v[74:75], v[90:91], v[8:11]
	v_mfma_f32_16x16x16_f16 v[12:15], v[88:89], v[90:91], v[12:15]
	v_mfma_f32_16x16x16_f16 v[0:3], v[56:57], v[92:93], v[0:3]
	ds_read2_b64 v[56:59], v102 offset0:16 offset1:20
	v_mfma_f32_16x16x16_f16 v[4:7], v[38:39], v[92:93], v[4:7]
	v_mfma_f32_16x16x16_f16 v[8:11], v[72:73], v[92:93], v[8:11]
	v_mfma_f32_16x16x16_f16 v[12:15], v[86:87], v[92:93], v[12:15]
	s_waitcnt lgkmcnt(0)
	v_mfma_f32_16x16x16_f16 v[4:7], v[36:37], v[56:57], v[4:7]
	v_mfma_f32_16x16x16_f16 v[0:3], v[54:55], v[56:57], v[0:3]
	v_mfma_f32_16x16x16_f16 v[8:11], v[70:71], v[56:57], v[8:11]
	v_mfma_f32_16x16x16_f16 v[12:15], v[82:83], v[56:57], v[12:15]
	v_mfma_f32_16x16x16_f16 v[4:7], v[34:35], v[58:59], v[4:7]
	ds_read2_b64 v[34:37], v102 offset0:24 offset1:28
	v_mfma_f32_16x16x16_f16 v[0:3], v[52:53], v[58:59], v[0:3]
	v_mfma_f32_16x16x16_f16 v[8:11], v[68:69], v[58:59], v[8:11]
	v_mfma_f32_16x16x16_f16 v[12:15], v[78:79], v[58:59], v[12:15]
	s_waitcnt lgkmcnt(0)
	v_mfma_f32_16x16x16_f16 v[4:7], v[32:33], v[34:35], v[4:7]
	;; [unrolled: 10-line block ×3, first 2 shown]
	v_mfma_f32_16x16x16_f16 v[0:3], v[46:47], v[30:31], v[0:3]
	v_mfma_f32_16x16x16_f16 v[8:11], v[60:61], v[30:31], v[8:11]
	v_mfma_f32_16x16x16_f16 v[12:15], v[76:77], v[30:31], v[12:15]
	v_mfma_f32_16x16x16_f16 v[4:7], v[26:27], v[32:33], v[4:7]
	v_mfma_f32_16x16x16_f16 v[0:3], v[40:41], v[32:33], v[0:3]
	v_mfma_f32_16x16x16_f16 v[8:11], v[44:45], v[32:33], v[8:11]
	v_mfma_f32_16x16x16_f16 v[12:15], v[62:63], v[32:33], v[12:15]
	s_andn2_b64 exec, exec, s[42:43]
	s_cbranch_execz .LBB112_95
.LBB112_44:                             ; =>This Inner Loop Header: Depth=1
	v_lshl_add_u64 v[26:27], v[24:25], 0, s[2:3]
	global_load_dword v22, v[24:25], off
	global_load_dword v52, v[26:27], off
	v_add_u32_e32 v26, s56, v99
	v_ashrrev_i32_e32 v27, 31, v26
	v_add_u32_e32 v28, s57, v99
	v_add_u32_e32 v30, s58, v99
	;; [unrolled: 1-line block ×5, first 2 shown]
	v_lshl_add_u64 v[26:27], v[26:27], 2, v[18:19]
	v_ashrrev_i32_e32 v29, 31, v28
	v_ashrrev_i32_e32 v31, 31, v30
	v_ashrrev_i32_e32 v33, 31, v32
	v_ashrrev_i32_e32 v35, 31, v34
	v_ashrrev_i32_e32 v37, 31, v36
	v_lshl_add_u64 v[28:29], v[28:29], 2, v[18:19]
	v_lshl_add_u64 v[30:31], v[30:31], 2, v[18:19]
	;; [unrolled: 1-line block ×5, first 2 shown]
	global_load_dword v53, v[26:27], off
	global_load_dword v54, v[28:29], off
	;; [unrolled: 1-line block ×6, first 2 shown]
	v_add_u32_e32 v26, s62, v99
	v_add_u32_e32 v44, s71, v99
	v_add_u32_e32 v28, s63, v99
	v_add_u32_e32 v30, s64, v99
	v_add_u32_e32 v32, s65, v99
	v_add_u32_e32 v34, s66, v99
	v_add_u32_e32 v36, s67, v99
	v_add_u32_e32 v38, s68, v99
	v_add_u32_e32 v40, s69, v99
	v_add_u32_e32 v42, s70, v99
	v_ashrrev_i32_e32 v27, 31, v26
	v_ashrrev_i32_e32 v45, 31, v44
	;; [unrolled: 1-line block ×10, first 2 shown]
	v_lshl_add_u64 v[26:27], v[26:27], 2, v[18:19]
	v_lshl_add_u64 v[44:45], v[44:45], 2, v[18:19]
	v_add_u32_e32 v46, s72, v99
	v_add_u32_e32 v48, s73, v99
	;; [unrolled: 1-line block ×3, first 2 shown]
	v_lshl_add_u64 v[28:29], v[28:29], 2, v[18:19]
	v_lshl_add_u64 v[30:31], v[30:31], 2, v[18:19]
	;; [unrolled: 1-line block ×8, first 2 shown]
	global_load_dword v59, v[26:27], off
	global_load_dword v60, v[28:29], off
	;; [unrolled: 1-line block ×9, first 2 shown]
	s_nop 0
	global_load_dword v44, v[44:45], off
	v_add_u32_e32 v26, s75, v99
	v_ashrrev_i32_e32 v47, 31, v46
	v_ashrrev_i32_e32 v49, 31, v48
	;; [unrolled: 1-line block ×4, first 2 shown]
	v_add_u32_e32 v28, s76, v99
	v_add_u32_e32 v30, s77, v99
	;; [unrolled: 1-line block ×4, first 2 shown]
	v_lshl_add_u64 v[46:47], v[46:47], 2, v[18:19]
	v_lshl_add_u64 v[48:49], v[48:49], 2, v[18:19]
	;; [unrolled: 1-line block ×4, first 2 shown]
	v_ashrrev_i32_e32 v29, 31, v28
	v_ashrrev_i32_e32 v31, 31, v30
	;; [unrolled: 1-line block ×4, first 2 shown]
	v_lshl_add_u64 v[28:29], v[28:29], 2, v[18:19]
	v_lshl_add_u64 v[30:31], v[30:31], 2, v[18:19]
	;; [unrolled: 1-line block ×4, first 2 shown]
	v_add_u32_e32 v36, s85, v99
	v_add_u32_e32 v38, s86, v99
	;; [unrolled: 1-line block ×3, first 2 shown]
	v_ashrrev_i32_e32 v37, 31, v36
	v_ashrrev_i32_e32 v39, 31, v38
	;; [unrolled: 1-line block ×3, first 2 shown]
	v_lshl_add_u64 v[36:37], v[36:37], 2, v[18:19]
	s_waitcnt vmcnt(17)
	ds_write_b32 v101, v22 offset:64
	s_waitcnt vmcnt(16)
	ds_write_b32 v101, v52 offset:328
	;; [unrolled: 2-line block ×8, first 2 shown]
	global_load_dword v22, v[46:47], off
	global_load_dword v45, v[48:49], off
	s_nop 0
	global_load_dword v46, v[50:51], off
	global_load_dword v47, v[26:27], off
	;; [unrolled: 1-line block ×4, first 2 shown]
	s_nop 0
	global_load_dword v50, v[32:33], off
	global_load_dword v51, v[34:35], off
	v_add_u32_e32 v26, s80, v99
	v_ashrrev_i32_e32 v27, 31, v26
	v_add_u32_e32 v28, s81, v99
	v_add_u32_e32 v30, s82, v99
	;; [unrolled: 1-line block ×4, first 2 shown]
	v_lshl_add_u64 v[26:27], v[26:27], 2, v[18:19]
	v_ashrrev_i32_e32 v29, 31, v28
	v_ashrrev_i32_e32 v31, 31, v30
	;; [unrolled: 1-line block ×4, first 2 shown]
	v_lshl_add_u64 v[28:29], v[28:29], 2, v[18:19]
	v_lshl_add_u64 v[30:31], v[30:31], 2, v[18:19]
	v_lshl_add_u64 v[32:33], v[32:33], 2, v[18:19]
	v_lshl_add_u64 v[34:35], v[34:35], 2, v[18:19]
	v_lshl_add_u64 v[38:39], v[38:39], 2, v[18:19]
	v_lshl_add_u64 v[40:41], v[40:41], 2, v[18:19]
	global_load_dword v52, v[26:27], off
	global_load_dword v53, v[28:29], off
	global_load_dword v54, v[30:31], off
	global_load_dword v55, v[32:33], off
	global_load_dword v56, v[34:35], off
	global_load_dword v57, v[36:37], off
	global_load_dword v68, v[38:39], off
	global_load_dword v69, v[40:41], off
	v_add_u32_e32 v26, s88, v99
	v_ashrrev_i32_e32 v27, 31, v26
	v_add_u32_e32 v28, s89, v99
	v_add_u32_e32 v30, s90, v99
	v_add_u32_e32 v32, s91, v99
	v_add_u32_e32 v34, s92, v99
	v_add_u32_e32 v36, s93, v99
	v_add_u32_e32 v38, s94, v99
	v_add_u32_e32 v40, s95, v99
	v_lshl_add_u64 v[26:27], v[26:27], 2, v[18:19]
	v_ashrrev_i32_e32 v29, 31, v28
	v_ashrrev_i32_e32 v31, 31, v30
	v_ashrrev_i32_e32 v33, 31, v32
	v_ashrrev_i32_e32 v35, 31, v34
	v_ashrrev_i32_e32 v37, 31, v36
	v_ashrrev_i32_e32 v39, 31, v38
	v_ashrrev_i32_e32 v41, 31, v40
	v_lshl_add_u64 v[28:29], v[28:29], 2, v[18:19]
	v_lshl_add_u64 v[30:31], v[30:31], 2, v[18:19]
	v_lshl_add_u64 v[32:33], v[32:33], 2, v[18:19]
	v_lshl_add_u64 v[34:35], v[34:35], 2, v[18:19]
	v_lshl_add_u64 v[36:37], v[36:37], 2, v[18:19]
	v_lshl_add_u64 v[38:39], v[38:39], 2, v[18:19]
	v_lshl_add_u64 v[40:41], v[40:41], 2, v[18:19]
	global_load_dword v70, v[26:27], off
	global_load_dword v71, v[28:29], off
	global_load_dword v72, v[30:31], off
	global_load_dword v73, v[32:33], off
	global_load_dword v74, v[34:35], off
	global_load_dword v75, v[36:37], off
	global_load_dword v76, v[38:39], off
	global_load_dword v77, v[40:41], off
	v_add_u32_e32 v26, s96, v99
	v_ashrrev_i32_e32 v27, 31, v26
	v_add_u32_e32 v28, s97, v99
	v_add_u32_e32 v30, s98, v99
	v_add_u32_e32 v32, s99, v99
	v_add_u32_e32 v34, s5, v99
	v_add_u32_e32 v36, s0, v99
	v_add_u32_e32 v38, s1, v99
	v_add_u32_e32 v40, s36, v99
	v_lshl_add_u64 v[26:27], v[26:27], 2, v[18:19]
	v_ashrrev_i32_e32 v29, 31, v28
	v_ashrrev_i32_e32 v31, 31, v30
	v_ashrrev_i32_e32 v33, 31, v32
	v_ashrrev_i32_e32 v35, 31, v34
	v_ashrrev_i32_e32 v37, 31, v36
	v_ashrrev_i32_e32 v39, 31, v38
	v_ashrrev_i32_e32 v41, 31, v40
	v_lshl_add_u64 v[28:29], v[28:29], 2, v[18:19]
	v_lshl_add_u64 v[30:31], v[30:31], 2, v[18:19]
	v_lshl_add_u64 v[32:33], v[32:33], 2, v[18:19]
	v_lshl_add_u64 v[34:35], v[34:35], 2, v[18:19]
	v_lshl_add_u64 v[36:37], v[36:37], 2, v[18:19]
	v_lshl_add_u64 v[38:39], v[38:39], 2, v[18:19]
	v_lshl_add_u64 v[40:41], v[40:41], 2, v[18:19]
	global_load_dword v78, v[26:27], off
	global_load_dword v79, v[28:29], off
	global_load_dword v80, v[30:31], off
	global_load_dword v81, v[32:33], off
	global_load_dword v82, v[34:35], off
	global_load_dword v83, v[36:37], off
	global_load_dword v84, v[38:39], off
	global_load_dword v85, v[40:41], off
	v_add_u32_e32 v26, s37, v99
	v_ashrrev_i32_e32 v27, 31, v26
	v_add_u32_e32 v28, s46, v99
	v_add_u32_e32 v30, s47, v99
	v_add_u32_e32 v32, s34, v99
	v_add_u32_e32 v34, s35, v99
	v_add_u32_e32 v36, s38, v99
	v_add_u32_e32 v38, s39, v99
	v_add_u32_e32 v40, s54, v99
	v_lshl_add_u64 v[26:27], v[26:27], 2, v[18:19]
	v_ashrrev_i32_e32 v29, 31, v28
	v_ashrrev_i32_e32 v31, 31, v30
	v_ashrrev_i32_e32 v33, 31, v32
	v_ashrrev_i32_e32 v35, 31, v34
	v_ashrrev_i32_e32 v37, 31, v36
	v_ashrrev_i32_e32 v39, 31, v38
	v_ashrrev_i32_e32 v41, 31, v40
	v_lshl_add_u64 v[28:29], v[28:29], 2, v[18:19]
	v_lshl_add_u64 v[30:31], v[30:31], 2, v[18:19]
	v_lshl_add_u64 v[32:33], v[32:33], 2, v[18:19]
	;; [unrolled: 1-line block ×6, first 2 shown]
	global_load_dword v86, v[26:27], off
	global_load_dword v87, v[28:29], off
	;; [unrolled: 1-line block ×8, first 2 shown]
	v_add_u32_e32 v26, s33, v99
	v_ashrrev_i32_e32 v27, 31, v26
	v_add_u32_e32 v28, s4, v99
	v_add_u32_e32 v30, s48, v99
	;; [unrolled: 1-line block ×5, first 2 shown]
	v_lshl_add_u64 v[26:27], v[26:27], 2, v[18:19]
	v_ashrrev_i32_e32 v29, 31, v28
	v_ashrrev_i32_e32 v31, 31, v30
	;; [unrolled: 1-line block ×5, first 2 shown]
	v_lshl_add_u64 v[28:29], v[28:29], 2, v[18:19]
	v_lshl_add_u64 v[30:31], v[30:31], 2, v[18:19]
	;; [unrolled: 1-line block ×5, first 2 shown]
	global_load_dword v104, v[26:27], off
	global_load_dword v105, v[28:29], off
	;; [unrolled: 1-line block ×6, first 2 shown]
	s_waitcnt vmcnt(55)
	ds_write_b32 v101, v59 offset:2176
	s_waitcnt vmcnt(54)
	ds_write_b32 v101, v60 offset:2440
	s_waitcnt vmcnt(53)
	ds_write_b32 v101, v61 offset:2704
	s_waitcnt vmcnt(52)
	ds_write_b32 v101, v62 offset:2968
	s_waitcnt vmcnt(51)
	ds_write_b32 v101, v63 offset:3232
	s_waitcnt vmcnt(50)
	ds_write_b32 v101, v64 offset:3496
	s_waitcnt vmcnt(49)
	ds_write_b32 v101, v65 offset:3760
	s_waitcnt vmcnt(48)
	ds_write_b32 v101, v66 offset:4024
	ds_read_b64 v[42:43], v102 offset:64
	ds_read_b64 v[38:39], v102 offset:96
	ds_read_b64 v[36:37], v102 offset:128
	ds_read_b64 v[34:35], v102 offset:160
	ds_read_b64 v[32:33], v102 offset:192
	ds_read_b64 v[30:31], v102 offset:224
	ds_read_b64 v[28:29], v102 offset:256
	ds_read_b64 v[26:27], v102 offset:288
	s_waitcnt vmcnt(47)
	ds_write_b32 v101, v67 offset:64
	s_waitcnt vmcnt(46)
	ds_write_b32 v101, v44 offset:328
	s_waitcnt vmcnt(45)
	ds_write_b32 v101, v22 offset:592
	s_waitcnt vmcnt(44)
	ds_write_b32 v101, v45 offset:856
	s_waitcnt vmcnt(43)
	ds_write_b32 v101, v46 offset:1120
	s_waitcnt vmcnt(42)
	ds_write_b32 v101, v47 offset:1384
	s_waitcnt vmcnt(41)
	ds_write_b32 v101, v48 offset:1648
	s_waitcnt vmcnt(40)
	ds_write_b32 v101, v49 offset:1912
	s_waitcnt vmcnt(39)
	ds_write_b32 v101, v50 offset:2176
	s_waitcnt vmcnt(38)
	ds_write_b32 v101, v51 offset:2440
	s_waitcnt vmcnt(37)
	ds_write_b32 v101, v52 offset:2704
	s_waitcnt vmcnt(36)
	ds_write_b32 v101, v53 offset:2968
	s_waitcnt vmcnt(35)
	ds_write_b32 v101, v54 offset:3232
	s_waitcnt vmcnt(34)
	ds_write_b32 v101, v55 offset:3496
	s_waitcnt vmcnt(33)
	ds_write_b32 v101, v56 offset:3760
	s_waitcnt vmcnt(32)
	ds_write_b32 v101, v57 offset:4024
	ds_read_b64 v[58:59], v102 offset:64
	ds_read_b64 v[56:57], v102 offset:96
	ds_read_b64 v[54:55], v102 offset:128
	ds_read_b64 v[52:53], v102 offset:160
	ds_read_b64 v[50:51], v102 offset:192
	ds_read_b64 v[48:49], v102 offset:224
	ds_read_b64 v[46:47], v102 offset:256
	ds_read_b64 v[40:41], v102 offset:288
	s_waitcnt vmcnt(31)
	ds_write_b32 v101, v68 offset:64
	s_waitcnt vmcnt(30)
	ds_write_b32 v101, v69 offset:328
	s_waitcnt vmcnt(29)
	ds_write_b32 v101, v70 offset:592
	s_waitcnt vmcnt(28)
	ds_write_b32 v101, v71 offset:856
	s_waitcnt vmcnt(27)
	ds_write_b32 v101, v72 offset:1120
	s_waitcnt vmcnt(26)
	ds_write_b32 v101, v73 offset:1384
	s_waitcnt vmcnt(25)
	ds_write_b32 v101, v74 offset:1648
	s_waitcnt vmcnt(24)
	ds_write_b32 v101, v75 offset:1912
	s_waitcnt vmcnt(23)
	ds_write_b32 v101, v76 offset:2176
	s_waitcnt vmcnt(22)
	ds_write_b32 v101, v77 offset:2440
	s_waitcnt vmcnt(21)
	ds_write_b32 v101, v78 offset:2704
	s_waitcnt vmcnt(20)
	ds_write_b32 v101, v79 offset:2968
	s_waitcnt vmcnt(19)
	ds_write_b32 v101, v80 offset:3232
	s_waitcnt vmcnt(18)
	ds_write_b32 v101, v81 offset:3496
	s_waitcnt vmcnt(17)
	ds_write_b32 v101, v82 offset:3760
	s_waitcnt vmcnt(16)
	ds_write_b32 v101, v83 offset:4024
	ds_read_b64 v[74:75], v102 offset:64
	ds_read_b64 v[72:73], v102 offset:96
	ds_read_b64 v[70:71], v102 offset:128
	ds_read_b64 v[68:69], v102 offset:160
	ds_read_b64 v[66:67], v102 offset:192
	ds_read_b64 v[64:65], v102 offset:224
	ds_read_b64 v[60:61], v102 offset:256
	ds_read_b64 v[44:45], v102 offset:288
	s_waitcnt vmcnt(15)
	ds_write_b32 v101, v84 offset:64
	s_waitcnt vmcnt(14)
	ds_write_b32 v101, v85 offset:328
	s_waitcnt vmcnt(13)
	ds_write_b32 v101, v86 offset:592
	s_waitcnt vmcnt(12)
	ds_write_b32 v101, v87 offset:856
	s_waitcnt vmcnt(11)
	ds_write_b32 v101, v88 offset:1120
	s_waitcnt vmcnt(10)
	ds_write_b32 v101, v89 offset:1384
	s_waitcnt vmcnt(9)
	ds_write_b32 v101, v90 offset:1648
	s_waitcnt vmcnt(8)
	ds_write_b32 v101, v91 offset:1912
	s_waitcnt vmcnt(7)
	ds_write_b32 v101, v92 offset:2176
	s_waitcnt vmcnt(6)
	ds_write_b32 v101, v93 offset:2440
	;; [unrolled: 2-line block ×8, first 2 shown]
	ds_read_b64 v[88:89], v102 offset:64
	ds_read_b64 v[86:87], v102 offset:96
	;; [unrolled: 1-line block ×8, first 2 shown]
	s_andn2_b64 vcc, exec, s[6:7]
	v_mov_b32_e32 v90, 0
	v_mov_b32_e32 v91, 0
	s_cbranch_vccnz .LBB112_48
; %bb.45:                               ;   in Loop: Header=BB112_44 Depth=1
	ds_read_b32 v22, v100
	s_waitcnt lgkmcnt(0)
	v_cmp_gt_i32_e32 vcc, 0, v22
	s_cbranch_vccnz .LBB112_47
; %bb.46:                               ;   in Loop: Header=BB112_44 Depth=1
	v_mul_lo_u32 v22, v22, s49
	v_add_u32_e32 v90, v103, v22
	v_ashrrev_i32_e32 v91, 31, v90
	v_lshl_add_u64 v[90:91], v[90:91], 2, v[20:21]
	global_load_dwordx2 v[90:91], v[90:91], off
	s_branch .LBB112_48
.LBB112_47:                             ;   in Loop: Header=BB112_44 Depth=1
	v_mov_b32_e32 v90, 0
	v_mov_b32_e32 v91, 0
.LBB112_48:                             ;   in Loop: Header=BB112_44 Depth=1
	s_waitcnt vmcnt(0)
	v_cvt_pk_f16_f32 v22, v90, v91
	v_mov_b32_e32 v90, 0
	s_andn2_b64 vcc, exec, s[8:9]
	v_mov_b32_e32 v92, 0
	v_mov_b32_e32 v93, 0
	ds_write_b32 v101, v22 offset:64
	s_cbranch_vccnz .LBB112_52
; %bb.49:                               ;   in Loop: Header=BB112_44 Depth=1
	ds_read_b32 v22, v100 offset:4
	s_waitcnt lgkmcnt(0)
	v_cmp_gt_i32_e32 vcc, 0, v22
	s_cbranch_vccnz .LBB112_51
; %bb.50:                               ;   in Loop: Header=BB112_44 Depth=1
	v_mul_lo_u32 v22, v22, s49
	v_add_u32_e32 v22, s44, v22
	v_add_u32_e32 v92, v22, v103
	v_ashrrev_i32_e32 v93, 31, v92
	v_lshl_add_u64 v[92:93], v[92:93], 2, v[20:21]
	global_load_dwordx2 v[92:93], v[92:93], off
	s_branch .LBB112_52
.LBB112_51:                             ;   in Loop: Header=BB112_44 Depth=1
	v_mov_b32_e32 v92, 0
	v_mov_b32_e32 v93, 0
.LBB112_52:                             ;   in Loop: Header=BB112_44 Depth=1
	s_waitcnt vmcnt(0)
	v_cvt_pk_f16_f32 v22, v92, v93
	s_andn2_b64 vcc, exec, s[10:11]
	v_mov_b32_e32 v91, 0
	ds_write_b32 v101, v22 offset:328
	s_cbranch_vccnz .LBB112_56
; %bb.53:                               ;   in Loop: Header=BB112_44 Depth=1
	ds_read_b32 v22, v100 offset:8
	s_waitcnt lgkmcnt(0)
	v_cmp_gt_i32_e32 vcc, 0, v22
	s_cbranch_vccnz .LBB112_55
; %bb.54:                               ;   in Loop: Header=BB112_44 Depth=1
	v_mul_lo_u32 v22, v22, s49
	v_add_u32_e32 v22, s41, v22
	v_add_u32_e32 v90, v22, v103
	v_ashrrev_i32_e32 v91, 31, v90
	v_lshl_add_u64 v[90:91], v[90:91], 2, v[20:21]
	global_load_dwordx2 v[90:91], v[90:91], off
	s_branch .LBB112_56
.LBB112_55:                             ;   in Loop: Header=BB112_44 Depth=1
	v_mov_b32_e32 v90, 0
	v_mov_b32_e32 v91, 0
.LBB112_56:                             ;   in Loop: Header=BB112_44 Depth=1
	s_waitcnt vmcnt(0)
	v_cvt_pk_f16_f32 v22, v90, v91
	v_mov_b32_e32 v90, 0
	s_andn2_b64 vcc, exec, s[12:13]
	v_mov_b32_e32 v92, 0
	v_mov_b32_e32 v93, 0
	ds_write_b32 v101, v22 offset:592
	s_cbranch_vccnz .LBB112_60
; %bb.57:                               ;   in Loop: Header=BB112_44 Depth=1
	ds_read_b32 v22, v100 offset:12
	s_waitcnt lgkmcnt(0)
	v_cmp_gt_i32_e32 vcc, 0, v22
	s_cbranch_vccnz .LBB112_59
; %bb.58:                               ;   in Loop: Header=BB112_44 Depth=1
	v_mul_lo_u32 v22, v22, s49
	v_readlane_b32 vcc_lo, v110, 17
	s_nop 1
	v_add_u32_e32 v22, vcc_lo, v22
	v_add_u32_e32 v92, v22, v103
	v_ashrrev_i32_e32 v93, 31, v92
	v_lshl_add_u64 v[92:93], v[92:93], 2, v[20:21]
	global_load_dwordx2 v[92:93], v[92:93], off
	s_branch .LBB112_60
.LBB112_59:                             ;   in Loop: Header=BB112_44 Depth=1
	v_mov_b32_e32 v92, 0
	v_mov_b32_e32 v93, 0
.LBB112_60:                             ;   in Loop: Header=BB112_44 Depth=1
	s_waitcnt vmcnt(0)
	v_cvt_pk_f16_f32 v22, v92, v93
	s_andn2_b64 vcc, exec, s[14:15]
	v_mov_b32_e32 v91, 0
	ds_write_b32 v101, v22 offset:856
	s_cbranch_vccnz .LBB112_64
; %bb.61:                               ;   in Loop: Header=BB112_44 Depth=1
	ds_read_b32 v22, v100 offset:16
	s_waitcnt lgkmcnt(0)
	v_cmp_gt_i32_e32 vcc, 0, v22
	s_cbranch_vccnz .LBB112_63
; %bb.62:                               ;   in Loop: Header=BB112_44 Depth=1
	v_mul_lo_u32 v22, v22, s49
	v_readlane_b32 vcc_lo, v110, 16
	s_nop 1
	v_add_u32_e32 v22, vcc_lo, v22
	v_add_u32_e32 v90, v22, v103
	v_ashrrev_i32_e32 v91, 31, v90
	v_lshl_add_u64 v[90:91], v[90:91], 2, v[20:21]
	global_load_dwordx2 v[90:91], v[90:91], off
	s_branch .LBB112_64
.LBB112_63:                             ;   in Loop: Header=BB112_44 Depth=1
	v_mov_b32_e32 v90, 0
	v_mov_b32_e32 v91, 0
.LBB112_64:                             ;   in Loop: Header=BB112_44 Depth=1
	s_waitcnt vmcnt(0)
	v_cvt_pk_f16_f32 v22, v90, v91
	v_mov_b32_e32 v90, 0
	s_andn2_b64 vcc, exec, s[16:17]
	v_mov_b32_e32 v92, 0
	v_mov_b32_e32 v93, 0
	ds_write_b32 v101, v22 offset:1120
	s_cbranch_vccnz .LBB112_68
; %bb.65:                               ;   in Loop: Header=BB112_44 Depth=1
	ds_read_b32 v22, v100 offset:20
	s_waitcnt lgkmcnt(0)
	v_cmp_gt_i32_e32 vcc, 0, v22
	s_cbranch_vccnz .LBB112_67
; %bb.66:                               ;   in Loop: Header=BB112_44 Depth=1
	v_mul_lo_u32 v22, v22, s49
	v_readlane_b32 vcc_lo, v110, 19
	s_nop 1
	v_add_u32_e32 v22, vcc_lo, v22
	v_add_u32_e32 v92, v22, v103
	v_ashrrev_i32_e32 v93, 31, v92
	v_lshl_add_u64 v[92:93], v[92:93], 2, v[20:21]
	global_load_dwordx2 v[92:93], v[92:93], off
	s_branch .LBB112_68
.LBB112_67:                             ;   in Loop: Header=BB112_44 Depth=1
	v_mov_b32_e32 v92, 0
	v_mov_b32_e32 v93, 0
.LBB112_68:                             ;   in Loop: Header=BB112_44 Depth=1
	s_waitcnt vmcnt(0)
	v_cvt_pk_f16_f32 v22, v92, v93
	s_andn2_b64 vcc, exec, s[18:19]
	v_mov_b32_e32 v91, 0
	ds_write_b32 v101, v22 offset:1384
	s_cbranch_vccnz .LBB112_72
; %bb.69:                               ;   in Loop: Header=BB112_44 Depth=1
	ds_read_b32 v22, v100 offset:24
	s_waitcnt lgkmcnt(0)
	v_cmp_gt_i32_e32 vcc, 0, v22
	s_cbranch_vccnz .LBB112_71
; %bb.70:                               ;   in Loop: Header=BB112_44 Depth=1
	v_mul_lo_u32 v22, v22, s49
	v_readlane_b32 vcc_lo, v110, 20
	s_nop 1
	v_add_u32_e32 v22, vcc_lo, v22
	v_add_u32_e32 v90, v22, v103
	v_ashrrev_i32_e32 v91, 31, v90
	v_lshl_add_u64 v[90:91], v[90:91], 2, v[20:21]
	global_load_dwordx2 v[90:91], v[90:91], off
	s_branch .LBB112_72
.LBB112_71:                             ;   in Loop: Header=BB112_44 Depth=1
	v_mov_b32_e32 v90, 0
	v_mov_b32_e32 v91, 0
.LBB112_72:                             ;   in Loop: Header=BB112_44 Depth=1
	s_waitcnt vmcnt(0)
	v_cvt_pk_f16_f32 v22, v90, v91
	v_mov_b32_e32 v90, 0
	s_andn2_b64 vcc, exec, s[20:21]
	v_mov_b32_e32 v92, 0
	v_mov_b32_e32 v93, 0
	ds_write_b32 v101, v22 offset:1648
	s_cbranch_vccnz .LBB112_76
; %bb.73:                               ;   in Loop: Header=BB112_44 Depth=1
	ds_read_b32 v22, v100 offset:28
	s_waitcnt lgkmcnt(0)
	v_cmp_gt_i32_e32 vcc, 0, v22
	s_cbranch_vccnz .LBB112_75
; %bb.74:                               ;   in Loop: Header=BB112_44 Depth=1
	v_mul_lo_u32 v22, v22, s49
	v_add_u32_e32 v22, s55, v22
	v_add_u32_e32 v92, v22, v103
	v_ashrrev_i32_e32 v93, 31, v92
	v_lshl_add_u64 v[92:93], v[92:93], 2, v[20:21]
	global_load_dwordx2 v[92:93], v[92:93], off
	s_branch .LBB112_76
.LBB112_75:                             ;   in Loop: Header=BB112_44 Depth=1
	v_mov_b32_e32 v92, 0
	v_mov_b32_e32 v93, 0
.LBB112_76:                             ;   in Loop: Header=BB112_44 Depth=1
	s_waitcnt vmcnt(0)
	v_cvt_pk_f16_f32 v22, v92, v93
	s_andn2_b64 vcc, exec, s[22:23]
	v_mov_b32_e32 v91, 0
	ds_write_b32 v101, v22 offset:1912
	s_cbranch_vccnz .LBB112_80
; %bb.77:                               ;   in Loop: Header=BB112_44 Depth=1
	ds_read_b32 v22, v100 offset:32
	s_waitcnt lgkmcnt(0)
	v_cmp_gt_i32_e32 vcc, 0, v22
	s_cbranch_vccnz .LBB112_79
; %bb.78:                               ;   in Loop: Header=BB112_44 Depth=1
	v_mul_lo_u32 v22, v22, s49
	v_readlane_b32 vcc_lo, v110, 18
	s_nop 1
	v_add_u32_e32 v22, vcc_lo, v22
	v_add_u32_e32 v90, v22, v103
	v_ashrrev_i32_e32 v91, 31, v90
	v_lshl_add_u64 v[90:91], v[90:91], 2, v[20:21]
	global_load_dwordx2 v[90:91], v[90:91], off
	s_branch .LBB112_80
.LBB112_79:                             ;   in Loop: Header=BB112_44 Depth=1
	v_mov_b32_e32 v90, 0
	v_mov_b32_e32 v91, 0
.LBB112_80:                             ;   in Loop: Header=BB112_44 Depth=1
	s_waitcnt vmcnt(0)
	v_cvt_pk_f16_f32 v22, v90, v91
	v_mov_b32_e32 v90, 0
	s_andn2_b64 vcc, exec, s[24:25]
	v_mov_b32_e32 v92, 0
	v_mov_b32_e32 v93, 0
	ds_write_b32 v101, v22 offset:2176
	s_cbranch_vccnz .LBB112_84
; %bb.81:                               ;   in Loop: Header=BB112_44 Depth=1
	ds_read_b32 v22, v100 offset:36
	s_waitcnt lgkmcnt(0)
	v_cmp_gt_i32_e32 vcc, 0, v22
	s_cbranch_vccnz .LBB112_83
; %bb.82:                               ;   in Loop: Header=BB112_44 Depth=1
	v_mul_lo_u32 v22, v22, s49
	v_readlane_b32 vcc_lo, v110, 24
	s_nop 1
	v_add_u32_e32 v22, vcc_lo, v22
	v_add_u32_e32 v92, v22, v103
	v_ashrrev_i32_e32 v93, 31, v92
	v_lshl_add_u64 v[92:93], v[92:93], 2, v[20:21]
	global_load_dwordx2 v[92:93], v[92:93], off
	s_branch .LBB112_84
.LBB112_83:                             ;   in Loop: Header=BB112_44 Depth=1
	v_mov_b32_e32 v92, 0
	v_mov_b32_e32 v93, 0
.LBB112_84:                             ;   in Loop: Header=BB112_44 Depth=1
	s_waitcnt vmcnt(0)
	v_cvt_pk_f16_f32 v22, v92, v93
	s_andn2_b64 vcc, exec, s[26:27]
	v_mov_b32_e32 v91, 0
	ds_write_b32 v101, v22 offset:2440
	s_cbranch_vccnz .LBB112_88
; %bb.85:                               ;   in Loop: Header=BB112_44 Depth=1
	ds_read_b32 v22, v100 offset:40
	s_waitcnt lgkmcnt(0)
	v_cmp_gt_i32_e32 vcc, 0, v22
	s_cbranch_vccnz .LBB112_87
; %bb.86:                               ;   in Loop: Header=BB112_44 Depth=1
	v_mul_lo_u32 v22, v22, s49
	v_readlane_b32 vcc_lo, v110, 23
	s_nop 1
	v_add_u32_e32 v22, vcc_lo, v22
	v_add_u32_e32 v90, v22, v103
	v_ashrrev_i32_e32 v91, 31, v90
	v_lshl_add_u64 v[90:91], v[90:91], 2, v[20:21]
	global_load_dwordx2 v[90:91], v[90:91], off
	s_branch .LBB112_88
.LBB112_87:                             ;   in Loop: Header=BB112_44 Depth=1
	v_mov_b32_e32 v90, 0
	v_mov_b32_e32 v91, 0
.LBB112_88:                             ;   in Loop: Header=BB112_44 Depth=1
	s_waitcnt vmcnt(0)
	v_cvt_pk_f16_f32 v22, v90, v91
	v_mov_b32_e32 v90, 0
	s_andn2_b64 vcc, exec, s[28:29]
	v_mov_b32_e32 v92, 0
	v_mov_b32_e32 v93, 0
	ds_write_b32 v101, v22 offset:2704
	s_cbranch_vccnz .LBB112_92
; %bb.89:                               ;   in Loop: Header=BB112_44 Depth=1
	ds_read_b32 v22, v100 offset:44
	s_waitcnt lgkmcnt(0)
	v_cmp_gt_i32_e32 vcc, 0, v22
	s_cbranch_vccnz .LBB112_91
; %bb.90:                               ;   in Loop: Header=BB112_44 Depth=1
	v_mul_lo_u32 v22, v22, s49
	v_readlane_b32 vcc_lo, v110, 22
	s_nop 1
	v_add_u32_e32 v22, vcc_lo, v22
	v_add_u32_e32 v92, v22, v103
	v_ashrrev_i32_e32 v93, 31, v92
	v_lshl_add_u64 v[92:93], v[92:93], 2, v[20:21]
	global_load_dwordx2 v[92:93], v[92:93], off
	s_branch .LBB112_92
.LBB112_91:                             ;   in Loop: Header=BB112_44 Depth=1
	v_mov_b32_e32 v92, 0
	v_mov_b32_e32 v93, 0
.LBB112_92:                             ;   in Loop: Header=BB112_44 Depth=1
	s_waitcnt vmcnt(0)
	v_cvt_pk_f16_f32 v22, v92, v93
	s_andn2_b64 vcc, exec, s[30:31]
	v_mov_b32_e32 v91, 0
	ds_write_b32 v101, v22 offset:2968
	s_cbranch_vccnz .LBB112_43
; %bb.93:                               ;   in Loop: Header=BB112_44 Depth=1
	ds_read_b32 v22, v100 offset:48
	s_waitcnt lgkmcnt(0)
	v_cmp_gt_i32_e32 vcc, 0, v22
	s_cbranch_vccz .LBB112_42
; %bb.94:                               ;   in Loop: Header=BB112_44 Depth=1
	v_mov_b32_e32 v90, 0
	v_mov_b32_e32 v91, 0
	s_branch .LBB112_43
.LBB112_95:
	s_or_b64 exec, exec, s[42:43]
	v_readlane_b32 s24, v110, 8
	v_readlane_b32 s28, v110, 12
	v_readlane_b32 s22, v110, 11
	v_readlane_b32 s25, v110, 9
	v_readlane_b32 s30, v110, 14
	v_readlane_b32 s11, v110, 10
	v_readlane_b32 s29, v110, 13
	v_readlane_b32 s31, v110, 15
.LBB112_96:
	v_readlane_b32 s0, v110, 6
	v_readlane_b32 s1, v110, 7
	s_or_b64 exec, exec, s[0:1]
	v_mov_b32_e32 v19, 0x100
	v_lshl_add_u32 v18, v97, 2, v19
	v_mul_u32_u24_e32 v20, 0x508, v98
	v_and_b32_e32 v21, 0x3f0, v16
	v_add3_u32 v20, v18, v20, v21
	s_waitcnt lgkmcnt(0)
	s_barrier
	s_movk_i32 s0, 0x508
	ds_write2_b32 v20, v4, v5 offset0:16 offset1:17
	ds_write2_b32 v20, v6, v7 offset0:18 offset1:19
	;; [unrolled: 1-line block ×8, first 2 shown]
	v_lshl_add_u32 v7, v16, 2, v19
	v_mad_u32_u24 v0, v17, s0, v7
	s_waitcnt lgkmcnt(0)
	s_barrier
	ds_read2_b32 v[4:5], v0 offset0:16 offset1:80
	ds_read2_b32 v[2:3], v0 offset0:144 offset1:208
	ds_read_b32 v8, v0 offset:1088
	v_cmp_gt_u32_e32 vcc, 13, v17
	v_mov_b32_e32 v9, -1
	s_and_saveexec_b64 s[0:1], vcc
; %bb.97:
	s_movk_i32 s2, 0xff04
	v_mad_i32_i24 v0, v17, s2, v18
	ds_read_b32 v9, v0
; %bb.98:
	s_or_b64 exec, exec, s[0:1]
	s_mul_hi_i32 s1, s30, s22
	s_mul_i32 s0, s30, s22
	s_lshl_b64 s[0:1], s[0:1], 2
	v_readlane_b32 s2, v110, 4
	v_mul_hi_i32 v1, v94, s45
	v_mul_lo_u32 v0, v94, s45
	v_readlane_b32 s3, v110, 5
	s_add_u32 s0, s2, s0
	s_addc_u32 s1, s3, s1
	v_lshlrev_b64 v[0:1], 2, v[0:1]
	s_waitcnt lgkmcnt(0)
	v_cmp_lt_i32_e32 vcc, -1, v9
	v_mul_u32_u24_e32 v10, 0x508, v17
	v_add_u32_e32 v6, s11, v16
	v_lshl_add_u64 v[0:1], s[0:1], 0, v[0:1]
	s_and_b64 s[2:3], vcc, s[24:25]
	s_and_saveexec_b64 s[0:1], s[2:3]
	s_cbranch_execz .LBB112_100
; %bb.99:
	v_add_f32_e32 v4, 0, v4
	v_add_f32_e32 v4, v4, v5
	v_add_f32_e32 v2, v4, v2
	v_add_f32_e32 v2, v2, v3
	v_add_f32_e32 v4, v2, v8
	v_mul_lo_u32 v2, v9, s50
	v_mul_lo_u32 v3, v17, s45
	v_add3_u32 v2, v6, v3, v2
	v_mov_b32_e32 v3, 0
	v_lshl_add_u64 v[2:3], v[2:3], 2, v[0:1]
	global_store_dword v[2:3], v4, off
.LBB112_100:
	s_or_b64 exec, exec, s[0:1]
	v_add_u32_e32 v7, v10, v7
	v_add_u32_e32 v2, 0x68, v7
	ds_read2st64_b32 v[4:5], v2 offset0:25 offset1:26
	ds_read2st64_b32 v[2:3], v2 offset0:27 offset1:28
	ds_read_b32 v8, v7 offset:7528
	v_cmp_gt_u32_e32 vcc, 8, v17
	v_mov_b32_e32 v9, -1
	s_and_saveexec_b64 s[0:1], vcc
; %bb.101:
	v_mov_b32_e32 v9, 0x100
	v_lshl_add_u32 v9, v17, 2, v9
	ds_read_b32 v9, v9 offset:20
; %bb.102:
	s_or_b64 exec, exec, s[0:1]
	v_readlane_b32 s0, v110, 0
	s_waitcnt lgkmcnt(0)
	v_cmp_lt_i32_e32 vcc, -1, v9
	v_readlane_b32 s1, v110, 1
	s_and_b64 s[2:3], vcc, s[0:1]
	s_and_saveexec_b64 s[0:1], s[2:3]
	s_cbranch_execz .LBB112_104
; %bb.103:
	v_add_f32_e32 v4, 0, v4
	v_add_f32_e32 v4, v4, v5
	;; [unrolled: 1-line block ×5, first 2 shown]
	v_mul_lo_u32 v2, v9, s50
	v_mul_lo_u32 v3, v95, s45
	v_add3_u32 v2, v6, v3, v2
	v_mov_b32_e32 v3, 0
	v_lshl_add_u64 v[2:3], v[2:3], 2, v[0:1]
	global_store_dword v[2:3], v4, off
.LBB112_104:
	s_or_b64 exec, exec, s[0:1]
	v_cmp_gt_u32_e32 vcc, 3, v17
	s_and_saveexec_b64 s[0:1], vcc
	s_cbranch_execz .LBB112_107
; %bb.105:
	v_mov_b32_e32 v2, 0x100
	v_lshl_add_u32 v2, v17, 2, v2
	ds_read_b32 v2, v2 offset:40
	v_readlane_b32 s0, v110, 2
	v_readlane_b32 s1, v110, 3
	s_waitcnt lgkmcnt(0)
	v_cmp_lt_i32_e32 vcc, -1, v2
	s_and_b64 s[0:1], vcc, s[0:1]
	s_and_b64 exec, exec, s[0:1]
	s_cbranch_execz .LBB112_107
; %bb.106:
	v_add_u32_e32 v3, 0x90, v7
	ds_read2st64_b32 v[4:5], v3 offset0:50 offset1:51
	ds_read_b32 v7, v7 offset:13968
	ds_read2st64_b32 v[8:9], v3 offset0:52 offset1:53
	v_mul_lo_u32 v2, v2, s50
	v_mul_lo_u32 v3, v96, s45
	s_waitcnt lgkmcnt(2)
	v_add_f32_e32 v4, 0, v4
	v_add_f32_e32 v4, v4, v5
	s_waitcnt lgkmcnt(0)
	v_add_f32_e32 v4, v4, v8
	v_add_f32_e32 v4, v4, v9
	v_add3_u32 v2, v6, v3, v2
	v_mov_b32_e32 v3, 0
	v_add_f32_e32 v4, v4, v7
	v_lshl_add_u64 v[0:1], v[2:3], 2, v[0:1]
	global_store_dword v[0:1], v4, off
.LBB112_107:
	s_endpgm
	.section	.rodata,"a",@progbits
	.p2align	6, 0x0
	.amdhsa_kernel _ZL9mul_mat_fI7__half2Li64ELi13ELi5ELb1EEvPKT_PKfPKiPfiiiiiiiiiiiiiiii
		.amdhsa_group_segment_fixed_size 256
		.amdhsa_private_segment_fixed_size 0
		.amdhsa_kernarg_size 352
		.amdhsa_user_sgpr_count 2
		.amdhsa_user_sgpr_dispatch_ptr 0
		.amdhsa_user_sgpr_queue_ptr 0
		.amdhsa_user_sgpr_kernarg_segment_ptr 1
		.amdhsa_user_sgpr_dispatch_id 0
		.amdhsa_user_sgpr_kernarg_preload_length 0
		.amdhsa_user_sgpr_kernarg_preload_offset 0
		.amdhsa_user_sgpr_private_segment_size 0
		.amdhsa_uses_dynamic_stack 0
		.amdhsa_enable_private_segment 0
		.amdhsa_system_sgpr_workgroup_id_x 1
		.amdhsa_system_sgpr_workgroup_id_y 1
		.amdhsa_system_sgpr_workgroup_id_z 1
		.amdhsa_system_sgpr_workgroup_info 0
		.amdhsa_system_vgpr_workitem_id 2
		.amdhsa_next_free_vgpr 111
		.amdhsa_next_free_sgpr 100
		.amdhsa_accum_offset 112
		.amdhsa_reserve_vcc 1
		.amdhsa_float_round_mode_32 0
		.amdhsa_float_round_mode_16_64 0
		.amdhsa_float_denorm_mode_32 3
		.amdhsa_float_denorm_mode_16_64 3
		.amdhsa_dx10_clamp 1
		.amdhsa_ieee_mode 1
		.amdhsa_fp16_overflow 0
		.amdhsa_tg_split 0
		.amdhsa_exception_fp_ieee_invalid_op 0
		.amdhsa_exception_fp_denorm_src 0
		.amdhsa_exception_fp_ieee_div_zero 0
		.amdhsa_exception_fp_ieee_overflow 0
		.amdhsa_exception_fp_ieee_underflow 0
		.amdhsa_exception_fp_ieee_inexact 0
		.amdhsa_exception_int_div_zero 0
	.end_amdhsa_kernel
	.section	.text._ZL9mul_mat_fI7__half2Li64ELi13ELi5ELb1EEvPKT_PKfPKiPfiiiiiiiiiiiiiiii,"axG",@progbits,_ZL9mul_mat_fI7__half2Li64ELi13ELi5ELb1EEvPKT_PKfPKiPfiiiiiiiiiiiiiiii,comdat
.Lfunc_end112:
	.size	_ZL9mul_mat_fI7__half2Li64ELi13ELi5ELb1EEvPKT_PKfPKiPfiiiiiiiiiiiiiiii, .Lfunc_end112-_ZL9mul_mat_fI7__half2Li64ELi13ELi5ELb1EEvPKT_PKfPKiPfiiiiiiiiiiiiiiii
                                        ; -- End function
	.set _ZL9mul_mat_fI7__half2Li64ELi13ELi5ELb1EEvPKT_PKfPKiPfiiiiiiiiiiiiiiii.num_vgpr, 111
	.set _ZL9mul_mat_fI7__half2Li64ELi13ELi5ELb1EEvPKT_PKfPKiPfiiiiiiiiiiiiiiii.num_agpr, 0
	.set _ZL9mul_mat_fI7__half2Li64ELi13ELi5ELb1EEvPKT_PKfPKiPfiiiiiiiiiiiiiiii.numbered_sgpr, 100
	.set _ZL9mul_mat_fI7__half2Li64ELi13ELi5ELb1EEvPKT_PKfPKiPfiiiiiiiiiiiiiiii.num_named_barrier, 0
	.set _ZL9mul_mat_fI7__half2Li64ELi13ELi5ELb1EEvPKT_PKfPKiPfiiiiiiiiiiiiiiii.private_seg_size, 0
	.set _ZL9mul_mat_fI7__half2Li64ELi13ELi5ELb1EEvPKT_PKfPKiPfiiiiiiiiiiiiiiii.uses_vcc, 1
	.set _ZL9mul_mat_fI7__half2Li64ELi13ELi5ELb1EEvPKT_PKfPKiPfiiiiiiiiiiiiiiii.uses_flat_scratch, 0
	.set _ZL9mul_mat_fI7__half2Li64ELi13ELi5ELb1EEvPKT_PKfPKiPfiiiiiiiiiiiiiiii.has_dyn_sized_stack, 0
	.set _ZL9mul_mat_fI7__half2Li64ELi13ELi5ELb1EEvPKT_PKfPKiPfiiiiiiiiiiiiiiii.has_recursion, 0
	.set _ZL9mul_mat_fI7__half2Li64ELi13ELi5ELb1EEvPKT_PKfPKiPfiiiiiiiiiiiiiiii.has_indirect_call, 0
	.section	.AMDGPU.csdata,"",@progbits
; Kernel info:
; codeLenInByte = 7944
; TotalNumSgprs: 106
; NumVgprs: 111
; NumAgprs: 0
; TotalNumVgprs: 111
; ScratchSize: 0
; MemoryBound: 0
; FloatMode: 240
; IeeeMode: 1
; LDSByteSize: 256 bytes/workgroup (compile time only)
; SGPRBlocks: 13
; VGPRBlocks: 13
; NumSGPRsForWavesPerEU: 106
; NumVGPRsForWavesPerEU: 111
; AccumOffset: 112
; Occupancy: 4
; WaveLimiterHint : 0
; COMPUTE_PGM_RSRC2:SCRATCH_EN: 0
; COMPUTE_PGM_RSRC2:USER_SGPR: 2
; COMPUTE_PGM_RSRC2:TRAP_HANDLER: 0
; COMPUTE_PGM_RSRC2:TGID_X_EN: 1
; COMPUTE_PGM_RSRC2:TGID_Y_EN: 1
; COMPUTE_PGM_RSRC2:TGID_Z_EN: 1
; COMPUTE_PGM_RSRC2:TIDIG_COMP_CNT: 2
; COMPUTE_PGM_RSRC3_GFX90A:ACCUM_OFFSET: 27
; COMPUTE_PGM_RSRC3_GFX90A:TG_SPLIT: 0
	.section	.text._ZL9mul_mat_fI7__half2Li64ELi13ELi5ELb0EEvPKT_PKfPKiPfiiiiiiiiiiiiiiii,"axG",@progbits,_ZL9mul_mat_fI7__half2Li64ELi13ELi5ELb0EEvPKT_PKfPKiPfiiiiiiiiiiiiiiii,comdat
	.globl	_ZL9mul_mat_fI7__half2Li64ELi13ELi5ELb0EEvPKT_PKfPKiPfiiiiiiiiiiiiiiii ; -- Begin function _ZL9mul_mat_fI7__half2Li64ELi13ELi5ELb0EEvPKT_PKfPKiPfiiiiiiiiiiiiiiii
	.p2align	8
	.type	_ZL9mul_mat_fI7__half2Li64ELi13ELi5ELb0EEvPKT_PKfPKiPfiiiiiiiiiiiiiiii,@function
_ZL9mul_mat_fI7__half2Li64ELi13ELi5ELb0EEvPKT_PKfPKiPfiiiiiiiiiiiiiiii: ; @_ZL9mul_mat_fI7__half2Li64ELi13ELi5ELb0EEvPKT_PKfPKiPfiiiiiiiiiiiiiiii
; %bb.0:
	s_load_dword s5, s[0:1], 0x20
	s_load_dwordx4 s[16:19], s[0:1], 0x2c
	v_bfe_u32 v34, v0, 10, 10
	v_lshlrev_b32_e32 v36, 6, v34
	v_and_b32_e32 v35, 0x3ff, v0
	v_add_u32_e32 v38, v36, v35
	s_waitcnt lgkmcnt(0)
	s_ashr_i32 s19, s4, 31
	v_cmp_le_i32_e32 vcc, s5, v38
	v_and_b32_e32 v37, 15, v35
	s_and_saveexec_b64 s[6:7], vcc
	s_xor_b64 s[6:7], exec, s[6:7]
; %bb.1:
	v_and_b32_e32 v37, 15, v35
                                        ; implicit-def: $vgpr38
; %bb.2:
	s_or_saveexec_b64 s[24:25], s[6:7]
	s_load_dwordx8 s[8:15], s[0:1], 0x40
	s_load_dwordx2 s[6:7], s[0:1], 0x18
	v_mov_b32_e32 v15, 0
	s_lshl_b32 s2, s2, 6
	v_mov_b32_e32 v14, v15
	v_mov_b32_e32 v13, v15
	;; [unrolled: 1-line block ×15, first 2 shown]
	s_xor_b64 exec, exec, s[24:25]
	s_cbranch_execz .LBB113_6
; %bb.3:
	s_waitcnt lgkmcnt(0)
	s_abs_i32 s26, s8
	v_cvt_f32_u32_e32 v0, s26
	s_abs_i32 s27, s12
	v_cvt_f32_u32_e32 v1, s27
	s_sub_i32 s20, 0, s26
	v_rcp_iflag_f32_e32 v0, v0
	s_abs_i32 s28, s3
	v_rcp_iflag_f32_e32 v1, v1
	s_sub_i32 s21, 0, s27
	v_mul_f32_e32 v0, 0x4f7ffffe, v0
	v_cvt_u32_f32_e32 v0, v0
	v_mul_f32_e32 v1, 0x4f7ffffe, v1
	v_cvt_u32_f32_e32 v1, v1
	s_abs_i32 s29, s4
	v_mul_lo_u32 v2, s20, v0
	v_mul_hi_u32 v2, v0, v2
	v_add_u32_e32 v0, v0, v2
	v_mul_hi_u32 v0, s28, v0
	v_mul_lo_u32 v3, s21, v1
	v_mul_lo_u32 v2, v0, s26
	v_mul_hi_u32 v3, v1, v3
	v_sub_u32_e32 v2, s28, v2
	v_add_u32_e32 v1, v1, v3
	v_add_u32_e32 v3, 1, v0
	v_subrev_u32_e32 v4, s26, v2
	v_cmp_le_u32_e32 vcc, s26, v2
	s_load_dwordx4 s[20:23], s[0:1], 0x0
	s_ashr_i32 s0, s3, 31
	v_cndmask_b32_e32 v0, v0, v3, vcc
	v_cndmask_b32_e32 v2, v2, v4, vcc
	s_ashr_i32 s1, s8, 31
	v_add_u32_e32 v3, 1, v0
	v_cmp_le_u32_e32 vcc, s26, v2
	s_xor_b32 s0, s0, s1
	v_mul_hi_u32 v1, s29, v1
	v_cndmask_b32_e32 v0, v0, v3, vcc
	v_xor_b32_e32 v0, s0, v0
	v_subrev_u32_e32 v2, s0, v0
	v_mul_lo_u32 v0, v1, s27
	v_sub_u32_e32 v0, s29, v0
	v_add_u32_e32 v3, 1, v1
	v_subrev_u32_e32 v4, s27, v0
	v_cmp_le_u32_e32 vcc, s27, v0
	s_ashr_i32 s8, s12, 31
	s_xor_b32 s0, s19, s8
	v_cndmask_b32_e32 v1, v1, v3, vcc
	v_cndmask_b32_e32 v0, v0, v4, vcc
	v_add_u32_e32 v3, 1, v1
	v_cmp_le_u32_e32 vcc, s27, v0
	v_mul_lo_u32 v2, v2, s9
	s_mul_hi_i32 s9, s14, s4
	v_cndmask_b32_e32 v0, v1, v3, vcc
	v_xor_b32_e32 v0, s0, v0
	s_mul_i32 s8, s14, s4
	v_subrev_u32_e32 v0, s0, v0
	s_lshl_b64 s[26:27], s[8:9], 2
	v_mul_hi_i32 v1, v0, s13
	v_mul_lo_u32 v0, v0, s13
	s_mul_i32 s0, s16, s2
	s_mul_i32 s28, s10, s3
	s_waitcnt lgkmcnt(0)
	s_add_u32 s8, s22, s26
	v_ashrrev_i32_e32 v3, 31, v2
	v_lshlrev_b64 v[0:1], 2, v[0:1]
	s_addc_u32 s9, s23, s27
	s_ashr_i32 s1, s0, 31
	s_ashr_i32 s29, s28, 31
	v_lshl_add_u64 v[4:5], s[20:21], 0, v[0:1]
	v_lshlrev_b64 v[2:3], 2, v[2:3]
	s_lshl_b64 s[12:13], s[0:1], 2
	s_lshl_b64 s[28:29], s[28:29], 2
	v_lshl_add_u64 v[4:5], v[4:5], 0, v[2:3]
	s_add_u32 s0, s8, s28
	s_movk_i32 s8, 0x1080
	v_lshrrev_b32_e32 v7, 1, v35
	v_lshl_add_u64 v[2:3], v[2:3], 0, s[12:13]
	v_lshl_add_u64 v[16:17], v[4:5], 0, s[12:13]
	v_mov_b32_e32 v19, 0
	v_mad_u32_u24 v5, v34, s8, 0
	v_lshlrev_b32_e32 v4, 2, v35
	v_mul_u32_u24_e32 v6, 0x108, v37
	v_and_b32_e32 v7, 0x1f8, v7
	v_lshlrev_b32_e32 v18, 8, v34
	v_lshl_add_u64 v[0:1], v[2:3], 0, v[0:1]
	s_addc_u32 s1, s9, s29
	v_add_u32_e32 v39, v5, v4
	v_add3_u32 v40, v5, v6, v7
	s_ashr_i32 s9, s16, 31
	s_mov_b32 s8, s16
	s_ashr_i32 s75, s17, 31
	s_mov_b32 s74, s17
	v_lshl_add_u64 v[0:1], v[0:1], 0, v[18:19]
	v_mov_b32_e32 v5, v19
	s_add_i32 s10, s16, s16
	s_add_i32 s14, s17, s17
	s_lshl_b32 s30, s17, 2
	s_lshl_b32 s35, s17, 3
	;; [unrolled: 1-line block ×6, first 2 shown]
	s_lshl_b64 s[8:9], s[8:9], 2
	s_lshl_b64 s[12:13], s[74:75], 3
	v_lshl_add_u64 v[0:1], v[0:1], 0, v[4:5]
	v_lshlrev_b32_e32 v18, 9, v34
	s_add_u32 s22, s22, s28
	v_lshl_add_u64 v[20:21], s[20:21], 0, v[0:1]
	v_lshl_add_u64 v[0:1], s[26:27], 0, v[18:19]
	v_lshlrev_b32_e32 v18, 3, v35
	s_addc_u32 s23, s23, s29
	v_lshl_add_u64 v[0:1], v[0:1], 0, v[18:19]
	s_mul_i32 s19, s17, 3
	s_mul_i32 s31, s17, 5
	;; [unrolled: 1-line block ×45, first 2 shown]
	v_lshl_add_u64 v[22:23], s[22:23], 0, v[0:1]
	s_mul_i32 s77, s16, 44
	s_mul_i32 s78, s16, 45
	v_mov_b32_e32 v4, 0
	v_mov_b32_e32 v6, v19
	;; [unrolled: 1-line block ×15, first 2 shown]
	s_mul_i32 s79, s16, 46
	s_mul_i32 s80, s16, 47
	;; [unrolled: 1-line block ×18, first 2 shown]
	s_mov_b64 s[16:17], 0
	s_mov_b64 s[20:21], 0x500
	s_mov_b64 s[22:23], 0xa00
.LBB113_4:                              ; =>This Inner Loop Header: Depth=1
	v_add_u32_e32 v30, s10, v38
	v_add_u32_e32 v26, s58, v38
	v_lshl_add_u64 v[24:25], v[20:21], 0, s[8:9]
	v_add_u32_e32 v32, s40, v38
	v_ashrrev_i32_e32 v31, 31, v30
	v_ashrrev_i32_e32 v27, 31, v26
	v_add_u32_e32 v28, s59, v38
	global_load_dword v45, v[24:25], off
	v_lshl_add_u64 v[30:31], v[30:31], 2, v[16:17]
	v_add_u32_e32 v24, s60, v38
	v_ashrrev_i32_e32 v33, 31, v32
	v_lshl_add_u64 v[26:27], v[26:27], 2, v[16:17]
	v_add_u32_e32 v42, s41, v38
	global_load_dword v46, v[30:31], off
	v_ashrrev_i32_e32 v29, 31, v28
	global_load_dword v26, v[26:27], off
	v_lshl_add_u64 v[30:31], v[32:33], 2, v[16:17]
	v_add_u32_e32 v32, s61, v38
	v_ashrrev_i32_e32 v25, 31, v24
	v_add_u32_e32 v48, s42, v38
	v_ashrrev_i32_e32 v43, 31, v42
	v_lshl_add_u64 v[28:29], v[28:29], 2, v[16:17]
	v_lshl_add_u64 v[24:25], v[24:25], 2, v[16:17]
	v_ashrrev_i32_e32 v33, 31, v32
	global_load_dword v47, v[30:31], off
	v_ashrrev_i32_e32 v49, 31, v48
	global_load_dword v24, v[24:25], off
	v_add_u32_e32 v54, s43, v38
	global_load_dword v27, v[28:29], off
	v_lshl_add_u64 v[30:31], v[42:43], 2, v[16:17]
	v_lshl_add_u64 v[28:29], v[32:33], 2, v[16:17]
	global_load_dword v50, v[30:31], off
	global_load_dword v25, v[28:29], off
	v_lshl_add_u64 v[30:31], v[48:49], 2, v[16:17]
	global_load_dword v52, v[30:31], off
	v_add_u32_e32 v30, s62, v38
	v_add_u32_e32 v56, s44, v38
	v_ashrrev_i32_e32 v55, 31, v54
	v_add_u32_e32 v48, s63, v38
	v_ashrrev_i32_e32 v31, 31, v30
	v_add_u32_e32 v58, s45, v38
	v_lshl_add_u64 v[42:43], v[54:55], 2, v[16:17]
	v_ashrrev_i32_e32 v57, 31, v56
	v_add_u32_e32 v84, s64, v38
	v_lshl_add_u64 v[28:29], v[30:31], 2, v[16:17]
	v_ashrrev_i32_e32 v49, 31, v48
	v_add_u32_e32 v60, s46, v38
	global_load_dword v53, v[42:43], off
	v_ashrrev_i32_e32 v59, 31, v58
	v_add_u32_e32 v86, s65, v38
	global_load_dword v28, v[28:29], off
	v_lshl_add_u64 v[42:43], v[56:57], 2, v[16:17]
	v_lshl_add_u64 v[30:31], v[48:49], 2, v[16:17]
	v_ashrrev_i32_e32 v85, 31, v84
	v_add_u32_e32 v62, s47, v38
	global_load_dword v54, v[42:43], off
	global_load_dword v29, v[30:31], off
	v_lshl_add_u64 v[42:43], v[58:59], 2, v[16:17]
	v_ashrrev_i32_e32 v61, 31, v60
	v_add_u32_e32 v88, s66, v38
	v_lshl_add_u64 v[30:31], v[84:85], 2, v[16:17]
	v_ashrrev_i32_e32 v87, 31, v86
	v_add_u32_e32 v64, s48, v38
	global_load_dword v57, v[42:43], off
	v_ashrrev_i32_e32 v63, 31, v62
	global_load_dword v30, v[30:31], off
	v_lshl_add_u64 v[42:43], v[60:61], 2, v[16:17]
	v_lshl_add_u64 v[32:33], v[86:87], 2, v[16:17]
	v_ashrrev_i32_e32 v89, 31, v88
	v_add_u32_e32 v66, s49, v38
	global_load_dword v58, v[42:43], off
	global_load_dword v31, v[32:33], off
	v_lshl_add_u64 v[42:43], v[62:63], 2, v[16:17]
	v_ashrrev_i32_e32 v65, 31, v64
	v_lshl_add_u64 v[32:33], v[88:89], 2, v[16:17]
	v_add_u32_e32 v68, s50, v38
	global_load_dword v61, v[42:43], off
	v_ashrrev_i32_e32 v67, 31, v66
	global_load_dword v32, v[32:33], off
	v_lshl_add_u64 v[42:43], v[64:65], 2, v[16:17]
	v_add_u32_e32 v70, s51, v38
	global_load_dword v62, v[42:43], off
	v_lshl_add_u64 v[42:43], v[66:67], 2, v[16:17]
	v_ashrrev_i32_e32 v69, 31, v68
	v_add_u32_e32 v72, s52, v38
	global_load_dword v65, v[42:43], off
	v_lshl_add_u64 v[42:43], v[68:69], 2, v[16:17]
	v_ashrrev_i32_e32 v71, 31, v70
	global_load_dword v66, v[42:43], off
	v_lshl_add_u64 v[42:43], v[70:71], 2, v[16:17]
	v_ashrrev_i32_e32 v73, 31, v72
	global_load_dword v68, v[42:43], off
	v_lshl_add_u64 v[42:43], v[72:73], 2, v[16:17]
	v_add_u32_e32 v72, s67, v38
	v_add_u32_e32 v74, s53, v38
	v_ashrrev_i32_e32 v73, 31, v72
	v_ashrrev_i32_e32 v75, 31, v74
	v_lshl_add_u64 v[48:49], v[72:73], 2, v[16:17]
	global_load_dword v70, v[42:43], off
	global_load_dword v33, v[48:49], off
	v_lshl_add_u64 v[42:43], v[74:75], 2, v[16:17]
	v_add_u32_e32 v74, s68, v38
	v_add_u32_e32 v76, s54, v38
	;; [unrolled: 1-line block ×3, first 2 shown]
	v_ashrrev_i32_e32 v75, 31, v74
	v_add_u32_e32 v78, s55, v38
	v_ashrrev_i32_e32 v77, 31, v76
	v_lshl_add_u64 v[48:49], v[74:75], 2, v[16:17]
	v_ashrrev_i32_e32 v73, 31, v72
	global_load_dword v18, v[42:43], off
	v_ashrrev_i32_e32 v79, 31, v78
	global_load_dword v48, v[48:49], off
	v_lshl_add_u64 v[42:43], v[76:77], 2, v[16:17]
	v_lshl_add_u64 v[72:73], v[72:73], 2, v[16:17]
	global_load_dword v41, v[42:43], off
	global_load_dword v60, v[72:73], off
	v_lshl_add_u64 v[42:43], v[78:79], 2, v[16:17]
	v_add_u32_e32 v78, s69, v38
	v_ashrrev_i32_e32 v79, 31, v78
	v_add_u32_e32 v80, s56, v38
	v_lshl_add_u64 v[74:75], v[78:79], 2, v[16:17]
	v_add_u32_e32 v78, s73, v38
	v_add_u32_e32 v82, s57, v38
	v_ashrrev_i32_e32 v81, 31, v80
	v_ashrrev_i32_e32 v79, 31, v78
	v_lshl_add_u64 v[76:77], v[80:81], 2, v[16:17]
	v_ashrrev_i32_e32 v83, 31, v82
	v_lshl_add_u64 v[72:73], v[78:79], 2, v[16:17]
	global_load_dword v42, v[42:43], off
	v_add_u32_e32 v80, s71, v38
	global_load_dword v49, v[74:75], off
	global_load_dword v63, v[72:73], off
	;; [unrolled: 1-line block ×3, first 2 shown]
	v_lshl_add_u64 v[76:77], v[82:83], 2, v[16:17]
	global_load_dword v44, v[76:77], off
	v_add_u32_e32 v76, s70, v38
	v_ashrrev_i32_e32 v77, 31, v76
	v_lshl_add_u64 v[74:75], v[76:77], 2, v[16:17]
	v_add_u32_e32 v76, s74, v38
	v_ashrrev_i32_e32 v77, 31, v76
	v_ashrrev_i32_e32 v81, 31, v80
	v_lshl_add_u64 v[72:73], v[76:77], 2, v[16:17]
	global_load_dword v51, v[74:75], off
	global_load_dword v64, v[72:73], off
	v_lshl_add_u64 v[74:75], v[80:81], 2, v[16:17]
	v_add_u32_e32 v80, s75, v38
	v_add_u32_e32 v82, s72, v38
	v_ashrrev_i32_e32 v81, 31, v80
	v_add_u32_e32 v84, s28, v38
	v_ashrrev_i32_e32 v83, 31, v82
	v_lshl_add_u64 v[72:73], v[80:81], 2, v[16:17]
	global_load_dword v55, v[74:75], off
	global_load_dword v67, v[72:73], off
	v_lshl_add_u64 v[74:75], v[82:83], 2, v[16:17]
	v_ashrrev_i32_e32 v85, 31, v84
	global_load_dword v56, v[74:75], off
	v_lshl_add_u64 v[74:75], v[84:85], 2, v[16:17]
	global_load_dword v59, v[74:75], off
	v_add_u32_e32 v74, s76, v38
	v_add_u32_e32 v76, s26, v38
	v_ashrrev_i32_e32 v75, 31, v74
	v_lshl_add_u64 v[72:73], v[74:75], 2, v[16:17]
	v_ashrrev_i32_e32 v77, 31, v76
	v_add_u32_e32 v74, s27, v38
	global_load_dword v69, v[72:73], off
	v_lshl_add_u64 v[72:73], v[76:77], 2, v[16:17]
	v_ashrrev_i32_e32 v75, 31, v74
	global_load_dword v71, v[72:73], off
	v_lshl_add_u64 v[72:73], v[74:75], 2, v[16:17]
	v_add_u32_e32 v74, s77, v38
	v_ashrrev_i32_e32 v75, 31, v74
	v_lshl_add_u64 v[74:75], v[74:75], 2, v[16:17]
	global_load_dword v72, v[72:73], off
	v_add_u32_e32 v76, s79, v38
	global_load_dword v73, v[74:75], off
	v_add_u32_e32 v74, s78, v38
	v_ashrrev_i32_e32 v75, 31, v74
	v_ashrrev_i32_e32 v77, 31, v76
	v_lshl_add_u64 v[74:75], v[74:75], 2, v[16:17]
	v_lshl_add_u64 v[76:77], v[76:77], 2, v[16:17]
	global_load_dword v74, v[74:75], off
	v_add_u32_e32 v78, s81, v38
	global_load_dword v75, v[76:77], off
	v_add_u32_e32 v76, s80, v38
	v_ashrrev_i32_e32 v77, 31, v76
	v_ashrrev_i32_e32 v79, 31, v78
	v_lshl_add_u64 v[76:77], v[76:77], 2, v[16:17]
	;; [unrolled: 8-line block ×9, first 2 shown]
	v_lshl_add_u64 v[92:93], v[92:93], 2, v[16:17]
	global_load_dword v90, v[90:91], off
	v_add_u32_e32 v94, s31, v38
	global_load_dword v91, v[92:93], off
	v_add_u32_e32 v92, s96, v38
	v_ashrrev_i32_e32 v93, 31, v92
	v_lshl_add_u64 v[92:93], v[92:93], 2, v[16:17]
	global_load_dword v106, v[92:93], off
	s_nop 0
	global_load_dword v92, v[20:21], off
	s_waitcnt vmcnt(62)
	ds_write_b32 v39, v45 offset:264
	v_ashrrev_i32_e32 v95, 31, v94
	v_lshl_add_u64 v[94:95], v[94:95], 3, s[0:1]
	v_lshl_add_u64 v[20:21], v[20:21], 0, s[20:21]
	s_waitcnt vmcnt(0)
	ds_write_b32 v39, v92
	global_load_dwordx2 v[92:93], v[22:23], off
	s_waitcnt vmcnt(0)
	v_cvt_pk_f16_f32 v107, v92, v93
	v_lshl_add_u64 v[92:93], v[22:23], 0, s[12:13]
	global_load_dwordx2 v[92:93], v[92:93], off
	ds_write_b32 v39, v46 offset:528
	ds_write_b32 v39, v47 offset:792
	;; [unrolled: 1-line block ×14, first 2 shown]
	v_add_u32_e32 v46, s14, v38
	v_add_u32_e32 v52, s19, v38
	v_ashrrev_i32_e32 v47, 31, v46
	v_ashrrev_i32_e32 v53, 31, v52
	v_lshl_add_u64 v[46:47], v[46:47], 3, s[0:1]
	v_lshl_add_u64 v[52:53], v[52:53], 3, s[0:1]
	;; [unrolled: 1-line block ×3, first 2 shown]
	s_waitcnt vmcnt(0)
	v_cvt_pk_f16_f32 v108, v92, v93
	v_add_u32_e32 v92, s30, v38
	v_ashrrev_i32_e32 v93, 31, v92
	v_lshl_add_u64 v[92:93], v[92:93], 3, s[0:1]
	global_load_dwordx2 v[46:47], v[46:47], off
	s_nop 0
	global_load_dwordx2 v[52:53], v[52:53], off
	s_nop 0
	;; [unrolled: 2-line block ×3, first 2 shown]
	global_load_dwordx2 v[94:95], v[94:95], off
	s_waitcnt vmcnt(3)
	v_cvt_pk_f16_f32 v109, v46, v47
	s_waitcnt vmcnt(2)
	v_cvt_pk_f16_f32 v110, v52, v53
	;; [unrolled: 2-line block ×4, first 2 shown]
	v_add_u32_e32 v46, s33, v38
	v_add_u32_e32 v52, s34, v38
	;; [unrolled: 1-line block ×4, first 2 shown]
	v_ashrrev_i32_e32 v47, 31, v46
	v_ashrrev_i32_e32 v53, 31, v52
	;; [unrolled: 1-line block ×4, first 2 shown]
	v_lshl_add_u64 v[46:47], v[46:47], 3, s[0:1]
	v_lshl_add_u64 v[52:53], v[52:53], 3, s[0:1]
	;; [unrolled: 1-line block ×4, first 2 shown]
	global_load_dwordx2 v[46:47], v[46:47], off
	s_nop 0
	global_load_dwordx2 v[52:53], v[52:53], off
	s_nop 0
	;; [unrolled: 2-line block ×3, first 2 shown]
	global_load_dwordx2 v[94:95], v[94:95], off
	s_waitcnt vmcnt(3)
	v_cvt_pk_f16_f32 v113, v46, v47
	s_waitcnt vmcnt(2)
	v_cvt_pk_f16_f32 v114, v52, v53
	;; [unrolled: 2-line block ×3, first 2 shown]
	v_add_u32_e32 v46, s37, v38
	v_add_u32_e32 v52, s38, v38
	;; [unrolled: 1-line block ×3, first 2 shown]
	v_ashrrev_i32_e32 v47, 31, v46
	v_ashrrev_i32_e32 v53, 31, v52
	;; [unrolled: 1-line block ×3, first 2 shown]
	v_lshl_add_u64 v[46:47], v[46:47], 3, s[0:1]
	v_lshl_add_u64 v[52:53], v[52:53], 3, s[0:1]
	;; [unrolled: 1-line block ×3, first 2 shown]
	global_load_dwordx2 v[46:47], v[46:47], off
	s_nop 0
	global_load_dwordx2 v[52:53], v[52:53], off
	s_nop 0
	global_load_dwordx2 v[92:93], v[92:93], off
	s_waitcnt vmcnt(3)
	v_cvt_pk_f16_f32 v116, v94, v95
	v_add_u32_e32 v38, 0x140, v38
	v_cmp_le_i32_e32 vcc, s5, v38
	s_or_b64 s[16:17], vcc, s[16:17]
	s_waitcnt vmcnt(2)
	v_cvt_pk_f16_f32 v117, v46, v47
	s_waitcnt vmcnt(1)
	v_cvt_pk_f16_f32 v118, v52, v53
	;; [unrolled: 2-line block ×3, first 2 shown]
	ds_read_b64 v[46:47], v40
	ds_read_b64 v[52:53], v40 offset:32
	ds_read_b64 v[92:93], v40 offset:64
	ds_read_b64 v[94:95], v40 offset:96
	ds_read_b64 v[96:97], v40 offset:128
	ds_read_b64 v[98:99], v40 offset:160
	ds_read_b64 v[100:101], v40 offset:192
	ds_read_b64 v[102:103], v40 offset:224
	ds_write_b32 v39, v18
	ds_write_b32 v39, v41 offset:264
	ds_write_b32 v39, v42 offset:528
	ds_write_b32 v39, v43 offset:792
	ds_write_b32 v39, v44 offset:1056
	ds_write_b32 v39, v26 offset:1320
	ds_write_b32 v39, v27 offset:1584
	ds_write_b32 v39, v24 offset:1848
	ds_write_b32 v39, v25 offset:2112
	ds_write_b32 v39, v28 offset:2376
	ds_write_b32 v39, v29 offset:2640
	ds_write_b32 v39, v30 offset:2904
	ds_write_b32 v39, v31 offset:3168
	ds_write_b32 v39, v32 offset:3432
	ds_write_b32 v39, v33 offset:3696
	ds_write_b32 v39, v48 offset:3960
	ds_read_b64 v[24:25], v40
	ds_read_b64 v[26:27], v40 offset:32
	ds_read_b64 v[28:29], v40 offset:64
	ds_read_b64 v[30:31], v40 offset:96
	ds_read_b64 v[32:33], v40 offset:128
	ds_read_b64 v[42:43], v40 offset:160
	ds_read_b64 v[44:45], v40 offset:192
	ds_read_b64 v[104:105], v40 offset:224
	ds_write_b32 v39, v49
	ds_write_b32 v39, v51 offset:264
	ds_write_b32 v39, v55 offset:528
	ds_write_b32 v39, v56 offset:792
	ds_write_b32 v39, v59 offset:1056
	ds_write_b32 v39, v60 offset:1320
	ds_write_b32 v39, v63 offset:1584
	ds_write_b32 v39, v64 offset:1848
	ds_write_b32 v39, v67 offset:2112
	ds_write_b32 v39, v69 offset:2376
	ds_write_b32 v39, v71 offset:2640
	ds_write_b32 v39, v72 offset:2904
	ds_write_b32 v39, v73 offset:3168
	ds_write_b32 v39, v74 offset:3432
	ds_write_b32 v39, v75 offset:3696
	ds_write_b32 v39, v76 offset:3960
	;; [unrolled: 24-line block ×4, first 2 shown]
	ds_read_b64 v[82:83], v40
	ds_read_b64 v[84:85], v40 offset:32
	ds_read_b64 v[86:87], v40 offset:64
	;; [unrolled: 1-line block ×3, first 2 shown]
	s_waitcnt lgkmcnt(3)
	v_mfma_f32_16x16x16_f16 v[12:15], v[46:47], v[82:83], v[12:15]
	v_mfma_f32_16x16x16_f16 v[8:11], v[24:25], v[82:83], v[8:11]
	ds_read_b64 v[24:25], v40 offset:128
	v_mfma_f32_16x16x16_f16 v[0:3], v[48:49], v[82:83], v[0:3]
	v_mfma_f32_16x16x16_f16 v[4:7], v[66:67], v[82:83], v[4:7]
	s_waitcnt lgkmcnt(3)
	v_mfma_f32_16x16x16_f16 v[12:15], v[52:53], v[84:85], v[12:15]
	v_mfma_f32_16x16x16_f16 v[8:11], v[26:27], v[84:85], v[8:11]
	v_mfma_f32_16x16x16_f16 v[0:3], v[50:51], v[84:85], v[0:3]
	v_mfma_f32_16x16x16_f16 v[4:7], v[68:69], v[84:85], v[4:7]
	s_waitcnt lgkmcnt(2)
	v_mfma_f32_16x16x16_f16 v[12:15], v[92:93], v[86:87], v[12:15]
	v_mfma_f32_16x16x16_f16 v[8:11], v[28:29], v[86:87], v[8:11]
	;; [unrolled: 5-line block ×3, first 2 shown]
	ds_read_b64 v[26:27], v40 offset:160
	ds_read_b64 v[28:29], v40 offset:192
	;; [unrolled: 1-line block ×3, first 2 shown]
	v_mfma_f32_16x16x16_f16 v[0:3], v[56:57], v[88:89], v[0:3]
	v_mfma_f32_16x16x16_f16 v[4:7], v[72:73], v[88:89], v[4:7]
	s_waitcnt lgkmcnt(3)
	v_mfma_f32_16x16x16_f16 v[12:15], v[96:97], v[24:25], v[12:15]
	v_mfma_f32_16x16x16_f16 v[8:11], v[32:33], v[24:25], v[8:11]
	v_mfma_f32_16x16x16_f16 v[0:3], v[58:59], v[24:25], v[0:3]
	v_mfma_f32_16x16x16_f16 v[4:7], v[74:75], v[24:25], v[4:7]
	s_waitcnt lgkmcnt(2)
	v_mfma_f32_16x16x16_f16 v[12:15], v[98:99], v[26:27], v[12:15]
	v_mfma_f32_16x16x16_f16 v[8:11], v[42:43], v[26:27], v[8:11]
	;; [unrolled: 5-line block ×4, first 2 shown]
	v_mfma_f32_16x16x16_f16 v[0:3], v[64:65], v[30:31], v[0:3]
	v_mfma_f32_16x16x16_f16 v[4:7], v[80:81], v[30:31], v[4:7]
	s_andn2_b64 exec, exec, s[16:17]
	s_cbranch_execnz .LBB113_4
; %bb.5:
	s_or_b64 exec, exec, s[16:17]
.LBB113_6:
	s_or_b64 exec, exec, s[24:25]
	s_waitcnt lgkmcnt(0)
	s_mul_hi_i32 s1, s15, s4
	s_mul_i32 s0, s15, s4
	s_lshl_b64 s[0:1], s[0:1], 2
	s_mul_i32 s4, s11, s3
	s_add_u32 s3, s6, s0
	s_addc_u32 s6, s7, s1
	s_ashr_i32 s5, s4, 31
	v_lshl_add_u32 v16, v36, 2, 0
	v_mul_u32_u24_e32 v17, 0x508, v37
	v_and_b32_e32 v18, 0x3f0, v35
	s_lshl_b64 s[0:1], s[4:5], 2
	v_add3_u32 v16, v16, v17, v18
	s_add_u32 s0, s3, s0
	s_barrier
	s_movk_i32 s3, 0x508
	ds_write2_b32 v16, v12, v13 offset1:1
	ds_write2_b32 v16, v14, v15 offset0:2 offset1:3
	ds_write2_b32 v16, v8, v9 offset0:16 offset1:17
	;; [unrolled: 1-line block ×7, first 2 shown]
	v_lshl_add_u32 v2, v35, 2, 0
	v_mad_u32_u24 v3, v34, s3, v2
	s_waitcnt lgkmcnt(0)
	s_barrier
	ds_read2st64_b32 v[0:1], v3 offset1:1
	ds_read2st64_b32 v[4:5], v3 offset0:2 offset1:3
	ds_read_b32 v6, v3 offset:1024
	ds_read_b32 v10, v3 offset:7464
	v_add_u32_e32 v3, 40, v3
	s_addc_u32 s1, s6, s1
	v_cmp_gt_u32_e32 vcc, 3, v34
	s_waitcnt lgkmcnt(3)
	v_add_f32_e32 v0, 0, v0
	v_add_f32_e32 v0, v0, v1
	s_waitcnt lgkmcnt(2)
	v_add_f32_e32 v0, v0, v4
	v_add_f32_e32 v0, v0, v5
	ds_read2st64_b32 v[4:5], v3 offset0:25 offset1:26
	s_waitcnt lgkmcnt(2)
	v_add_f32_e32 v11, v0, v6
	ds_read2st64_b32 v[6:7], v3 offset0:27 offset1:28
	v_mul_lo_u32 v0, v34, s18
	v_add3_u32 v0, s2, v35, v0
	s_waitcnt lgkmcnt(1)
	v_add_f32_e32 v3, 0, v4
	v_add_f32_e32 v3, v3, v5
	v_mov_b32_e32 v1, 0
	s_waitcnt lgkmcnt(0)
	v_add_f32_e32 v3, v3, v6
	s_mul_i32 s2, s18, 5
	v_lshl_add_u64 v[8:9], v[0:1], 2, s[0:1]
	v_add_f32_e32 v3, v3, v7
	v_add_u32_e32 v0, s2, v0
	v_add_f32_e32 v3, v3, v10
	v_lshl_add_u64 v[4:5], v[0:1], 2, s[0:1]
	global_store_dword v[8:9], v11, off
	global_store_dword v[4:5], v3, off
	s_and_saveexec_b64 s[4:5], vcc
	s_cbranch_execz .LBB113_8
; %bb.7:
	v_mul_u32_u24_e32 v3, 0x508, v34
	v_add_u32_e32 v6, v2, v3
	v_add_u32_e32 v4, 0x50, v6
	ds_read2st64_b32 v[2:3], v4 offset0:50 offset1:51
	ds_read2st64_b32 v[4:5], v4 offset0:52 offset1:53
	ds_read_b32 v6, v6 offset:13904
	v_add_u32_e32 v0, s2, v0
	v_lshl_add_u64 v[0:1], v[0:1], 2, s[0:1]
	s_waitcnt lgkmcnt(2)
	v_add_f32_e32 v2, 0, v2
	v_add_f32_e32 v2, v2, v3
	s_waitcnt lgkmcnt(1)
	v_add_f32_e32 v2, v2, v4
	v_add_f32_e32 v2, v2, v5
	s_waitcnt lgkmcnt(0)
	v_add_f32_e32 v2, v2, v6
	global_store_dword v[0:1], v2, off
.LBB113_8:
	s_endpgm
	.section	.rodata,"a",@progbits
	.p2align	6, 0x0
	.amdhsa_kernel _ZL9mul_mat_fI7__half2Li64ELi13ELi5ELb0EEvPKT_PKfPKiPfiiiiiiiiiiiiiiii
		.amdhsa_group_segment_fixed_size 0
		.amdhsa_private_segment_fixed_size 0
		.amdhsa_kernarg_size 96
		.amdhsa_user_sgpr_count 2
		.amdhsa_user_sgpr_dispatch_ptr 0
		.amdhsa_user_sgpr_queue_ptr 0
		.amdhsa_user_sgpr_kernarg_segment_ptr 1
		.amdhsa_user_sgpr_dispatch_id 0
		.amdhsa_user_sgpr_kernarg_preload_length 0
		.amdhsa_user_sgpr_kernarg_preload_offset 0
		.amdhsa_user_sgpr_private_segment_size 0
		.amdhsa_uses_dynamic_stack 0
		.amdhsa_enable_private_segment 0
		.amdhsa_system_sgpr_workgroup_id_x 1
		.amdhsa_system_sgpr_workgroup_id_y 1
		.amdhsa_system_sgpr_workgroup_id_z 1
		.amdhsa_system_sgpr_workgroup_info 0
		.amdhsa_system_vgpr_workitem_id 1
		.amdhsa_next_free_vgpr 120
		.amdhsa_next_free_sgpr 97
		.amdhsa_accum_offset 120
		.amdhsa_reserve_vcc 1
		.amdhsa_float_round_mode_32 0
		.amdhsa_float_round_mode_16_64 0
		.amdhsa_float_denorm_mode_32 3
		.amdhsa_float_denorm_mode_16_64 3
		.amdhsa_dx10_clamp 1
		.amdhsa_ieee_mode 1
		.amdhsa_fp16_overflow 0
		.amdhsa_tg_split 0
		.amdhsa_exception_fp_ieee_invalid_op 0
		.amdhsa_exception_fp_denorm_src 0
		.amdhsa_exception_fp_ieee_div_zero 0
		.amdhsa_exception_fp_ieee_overflow 0
		.amdhsa_exception_fp_ieee_underflow 0
		.amdhsa_exception_fp_ieee_inexact 0
		.amdhsa_exception_int_div_zero 0
	.end_amdhsa_kernel
	.section	.text._ZL9mul_mat_fI7__half2Li64ELi13ELi5ELb0EEvPKT_PKfPKiPfiiiiiiiiiiiiiiii,"axG",@progbits,_ZL9mul_mat_fI7__half2Li64ELi13ELi5ELb0EEvPKT_PKfPKiPfiiiiiiiiiiiiiiii,comdat
.Lfunc_end113:
	.size	_ZL9mul_mat_fI7__half2Li64ELi13ELi5ELb0EEvPKT_PKfPKiPfiiiiiiiiiiiiiiii, .Lfunc_end113-_ZL9mul_mat_fI7__half2Li64ELi13ELi5ELb0EEvPKT_PKfPKiPfiiiiiiiiiiiiiiii
                                        ; -- End function
	.set _ZL9mul_mat_fI7__half2Li64ELi13ELi5ELb0EEvPKT_PKfPKiPfiiiiiiiiiiiiiiii.num_vgpr, 120
	.set _ZL9mul_mat_fI7__half2Li64ELi13ELi5ELb0EEvPKT_PKfPKiPfiiiiiiiiiiiiiiii.num_agpr, 0
	.set _ZL9mul_mat_fI7__half2Li64ELi13ELi5ELb0EEvPKT_PKfPKiPfiiiiiiiiiiiiiiii.numbered_sgpr, 97
	.set _ZL9mul_mat_fI7__half2Li64ELi13ELi5ELb0EEvPKT_PKfPKiPfiiiiiiiiiiiiiiii.num_named_barrier, 0
	.set _ZL9mul_mat_fI7__half2Li64ELi13ELi5ELb0EEvPKT_PKfPKiPfiiiiiiiiiiiiiiii.private_seg_size, 0
	.set _ZL9mul_mat_fI7__half2Li64ELi13ELi5ELb0EEvPKT_PKfPKiPfiiiiiiiiiiiiiiii.uses_vcc, 1
	.set _ZL9mul_mat_fI7__half2Li64ELi13ELi5ELb0EEvPKT_PKfPKiPfiiiiiiiiiiiiiiii.uses_flat_scratch, 0
	.set _ZL9mul_mat_fI7__half2Li64ELi13ELi5ELb0EEvPKT_PKfPKiPfiiiiiiiiiiiiiiii.has_dyn_sized_stack, 0
	.set _ZL9mul_mat_fI7__half2Li64ELi13ELi5ELb0EEvPKT_PKfPKiPfiiiiiiiiiiiiiiii.has_recursion, 0
	.set _ZL9mul_mat_fI7__half2Li64ELi13ELi5ELb0EEvPKT_PKfPKiPfiiiiiiiiiiiiiiii.has_indirect_call, 0
	.section	.AMDGPU.csdata,"",@progbits
; Kernel info:
; codeLenInByte = 4832
; TotalNumSgprs: 103
; NumVgprs: 120
; NumAgprs: 0
; TotalNumVgprs: 120
; ScratchSize: 0
; MemoryBound: 0
; FloatMode: 240
; IeeeMode: 1
; LDSByteSize: 0 bytes/workgroup (compile time only)
; SGPRBlocks: 12
; VGPRBlocks: 14
; NumSGPRsForWavesPerEU: 103
; NumVGPRsForWavesPerEU: 120
; AccumOffset: 120
; Occupancy: 4
; WaveLimiterHint : 0
; COMPUTE_PGM_RSRC2:SCRATCH_EN: 0
; COMPUTE_PGM_RSRC2:USER_SGPR: 2
; COMPUTE_PGM_RSRC2:TRAP_HANDLER: 0
; COMPUTE_PGM_RSRC2:TGID_X_EN: 1
; COMPUTE_PGM_RSRC2:TGID_Y_EN: 1
; COMPUTE_PGM_RSRC2:TGID_Z_EN: 1
; COMPUTE_PGM_RSRC2:TIDIG_COMP_CNT: 1
; COMPUTE_PGM_RSRC3_GFX90A:ACCUM_OFFSET: 29
; COMPUTE_PGM_RSRC3_GFX90A:TG_SPLIT: 0
	.section	.text._ZL13mul_mat_f_idsI7__half2Li64ELi13ELi6EEvPKT_PKfPKiS7_S7_Pfiiiiiiiiiiiiii15HIP_vector_typeIjLj3EESA_,"axG",@progbits,_ZL13mul_mat_f_idsI7__half2Li64ELi13ELi6EEvPKT_PKfPKiS7_S7_Pfiiiiiiiiiiiiii15HIP_vector_typeIjLj3EESA_,comdat
	.globl	_ZL13mul_mat_f_idsI7__half2Li64ELi13ELi6EEvPKT_PKfPKiS7_S7_Pfiiiiiiiiiiiiii15HIP_vector_typeIjLj3EESA_ ; -- Begin function _ZL13mul_mat_f_idsI7__half2Li64ELi13ELi6EEvPKT_PKfPKiS7_S7_Pfiiiiiiiiiiiiii15HIP_vector_typeIjLj3EESA_
	.p2align	8
	.type	_ZL13mul_mat_f_idsI7__half2Li64ELi13ELi6EEvPKT_PKfPKiS7_S7_Pfiiiiiiiiiiiiii15HIP_vector_typeIjLj3EESA_,@function
_ZL13mul_mat_f_idsI7__half2Li64ELi13ELi6EEvPKT_PKfPKiS7_S7_Pfiiiiiiiiiiiiii15HIP_vector_typeIjLj3EESA_: ; @_ZL13mul_mat_f_idsI7__half2Li64ELi13ELi6EEvPKT_PKfPKiS7_S7_Pfiiiiiiiiiiiiii15HIP_vector_typeIjLj3EESA_
; %bb.0:
	s_load_dwordx2 s[6:7], s[0:1], 0x20
	s_mov_b32 s34, s3
	s_ashr_i32 s35, s3, 31
	s_lshl_b64 s[8:9], s[34:35], 2
	s_waitcnt lgkmcnt(0)
	s_add_u32 s6, s6, s8
	s_addc_u32 s7, s7, s9
	s_load_dwordx2 s[30:31], s[6:7], 0x0
	s_waitcnt lgkmcnt(0)
	s_sub_i32 s26, s31, s30
	s_add_i32 s3, s26, 12
	s_mul_hi_i32 s3, s3, 0x4ec4ec4f
	s_lshr_b32 s5, s3, 31
	s_ashr_i32 s3, s3, 2
	s_add_i32 s3, s3, s5
	s_cmp_ge_i32 s4, s3
	s_cbranch_scc1 .LBB114_56
; %bb.1:
	v_bfe_u32 v16, v0, 10, 10
	v_lshlrev_b32_e32 v86, 6, v16
	v_and_b32_e32 v17, 0x3ff, v0
	s_load_dwordx4 s[12:15], s[0:1], 0x30
	s_load_dwordx2 s[20:21], s[0:1], 0x40
	s_load_dwordx4 s[8:11], s[0:1], 0x4c
	s_load_dwordx4 s[16:19], s[0:1], 0x68
	s_load_dwordx2 s[24:25], s[0:1], 0x78
	v_add_u32_e32 v88, v86, v17
	s_ashr_i32 s31, s30, 31
	s_waitcnt lgkmcnt(0)
	v_cmp_le_i32_e32 vcc, s12, v88
	v_and_b32_e32 v87, 15, v17
	s_and_saveexec_b64 s[6:7], vcc
	s_xor_b64 s[6:7], exec, s[6:7]
; %bb.2:
	v_and_b32_e32 v87, 15, v17
                                        ; implicit-def: $vgpr88
; %bb.3:
	s_or_saveexec_b64 s[36:37], s[6:7]
	s_load_dwordx2 s[22:23], s[0:1], 0x18
	s_load_dwordx2 s[6:7], s[0:1], 0x28
                                        ; implicit-def: $vgpr118 : SGPR spill to VGPR lane
	v_mov_b32_e32 v15, 0
	s_lshl_b32 s11, s2, 6
	s_mul_i32 s28, s4, 13
	v_mov_b32_e32 v14, v15
	s_waitcnt lgkmcnt(0)
	v_writelane_b32 v118, s6, 0
	v_mov_b32_e32 v13, v15
	v_mov_b32_e32 v12, v15
	;; [unrolled: 1-line block ×14, first 2 shown]
	v_writelane_b32 v118, s7, 1
	s_xor_b64 exec, exec, s[36:37]
	s_cbranch_execz .LBB114_46
; %bb.4:
	s_load_dwordx4 s[4:7], s[0:1], 0x0
	s_load_dwordx2 s[2:3], s[0:1], 0x10
	v_writelane_b32 v118, s36, 2
	s_mul_i32 s0, s8, s34
	s_ashr_i32 s1, s0, 31
	v_writelane_b32 v118, s37, 3
	v_writelane_b32 v118, s22, 4
	s_lshl_b64 s[64:65], s[0:1], 2
	s_waitcnt lgkmcnt(0)
	s_add_u32 s0, s4, s64
	v_writelane_b32 v118, s23, 5
	s_mul_i32 s22, s15, s11
	v_writelane_b32 v118, s24, 6
	s_addc_u32 s1, s5, s65
	s_ashr_i32 s23, s22, 31
	v_writelane_b32 v118, s25, 7
	s_lshl_b64 s[66:67], s[22:23], 2
	v_writelane_b32 v118, s11, 8
	s_add_u32 s0, s0, s66
	s_addc_u32 s1, s1, s67
	v_writelane_b32 v118, s30, 9
	s_lshl_b64 s[22:23], s[30:31], 2
	s_add_u32 s8, s2, s22
	s_addc_u32 s11, s3, s23
	s_movk_i32 s2, 0x1080
	s_cmp_lt_i32 s28, s26
	v_writelane_b32 v118, s31, 10
	v_mad_u32_u24 v1, v16, s2, 0
	s_cselect_b64 s[2:3], -1, 0
	v_writelane_b32 v118, s2, 11
	s_ashr_i32 s29, s28, 31
	s_mov_b32 s22, s15
	v_writelane_b32 v118, s3, 12
	s_lshl_b64 s[2:3], s[28:29], 2
	s_add_u32 s36, s8, s2
	s_addc_u32 s37, s11, s3
	s_add_i32 s2, s28, 1
	s_cmp_lt_i32 s2, s26
	s_cselect_b64 s[2:3], -1, 0
	v_writelane_b32 v118, s2, 13
	v_lshrrev_b32_e32 v3, 1, v17
	v_mov_b32_e32 v19, 0
	v_writelane_b32 v118, s3, 14
	s_add_i32 s2, s28, 2
	s_cmp_lt_i32 s2, s26
	s_cselect_b64 s[2:3], -1, 0
	v_writelane_b32 v118, s2, 15
	v_lshlrev_b32_e32 v0, 2, v17
	v_mul_u32_u24_e32 v2, 0x108, v87
	v_writelane_b32 v118, s3, 16
	s_add_i32 s2, s28, 3
	s_cmp_lt_i32 s2, s26
	s_cselect_b64 s[2:3], -1, 0
	v_writelane_b32 v118, s2, 17
	v_and_b32_e32 v3, 0x1f8, v3
	v_lshlrev_b32_e32 v18, 8, v16
	v_writelane_b32 v118, s3, 18
	s_add_i32 s2, s28, 4
	s_cmp_lt_i32 s2, s26
	s_cselect_b64 s[2:3], -1, 0
	v_writelane_b32 v118, s2, 19
	v_add_u32_e32 v89, v1, v0
	v_add3_u32 v90, v1, v2, v3
	v_writelane_b32 v118, s3, 20
	s_add_i32 s2, s28, 5
	s_cmp_lt_i32 s2, s26
	s_cselect_b64 s[2:3], -1, 0
	v_writelane_b32 v118, s2, 21
	v_mov_b32_e32 v1, v19
	s_mul_i32 s8, s15, 3
	v_writelane_b32 v118, s3, 22
	s_add_i32 s2, s28, 6
	s_cmp_lt_i32 s2, s26
	s_cselect_b64 s[48:49], -1, 0
	s_add_i32 s2, s28, 7
	s_cmp_lt_i32 s2, s26
	s_cselect_b64 s[50:51], -1, 0
	;; [unrolled: 3-line block ×5, first 2 shown]
	s_add_i32 s2, s28, 11
	s_cmp_lt_i32 s2, s26
	s_mov_b32 s2, s28
	v_writelane_b32 v118, s2, 23
	s_cselect_b64 s[58:59], -1, 0
	s_mul_i32 s69, s15, 5
	v_writelane_b32 v118, s3, 24
	s_add_i32 s2, s28, 12
	s_cmp_lt_i32 s2, s26
	s_cselect_b64 s[60:61], -1, 0
	s_ashr_i32 s23, s15, 31
	s_add_i32 s3, s15, s15
	s_lshl_b32 s68, s15, 2
	s_lshl_b32 s72, s15, 3
	;; [unrolled: 1-line block ×4, first 2 shown]
	s_lshl_b64 s[62:63], s[22:23], 2
	s_add_u32 s22, s64, s66
	s_addc_u32 s23, s65, s67
	v_lshl_add_u64 v[2:3], s[22:23], 0, v[18:19]
	v_lshl_add_u64 v[0:1], v[2:3], 0, v[0:1]
	v_writelane_b32 v118, s26, 25
	s_mul_i32 s70, s15, 6
	s_mul_i32 s71, s15, 7
	;; [unrolled: 1-line block ×21, first 2 shown]
	v_lshl_add_u64 v[20:21], s[4:5], 0, v[0:1]
	v_mov_b32_e32 v8, 0
	v_mov_b32_e32 v9, v19
	;; [unrolled: 1-line block ×16, first 2 shown]
	s_mul_i32 s90, s15, 29
	s_mul_i32 s91, s15, 30
	s_mul_i32 s92, s15, 31
	s_mul_i32 s93, s15, 33
	s_mul_i32 s94, s15, 34
	s_mul_i32 s95, s15, 35
	s_mul_i32 s96, s15, 36
	s_mul_i32 s97, s15, 37
	s_mul_i32 s98, s15, 38
	s_mul_i32 s99, s15, 39
	s_mul_i32 s24, s15, 40
	s_mul_i32 s25, s15, 41
	s_mul_i32 s11, s15, 42
	s_mul_i32 s22, s15, 43
	s_mul_i32 s23, s15, 44
	s_mul_i32 s28, s15, 45
	s_mul_i32 s29, s15, 46
	s_mul_i32 s30, s15, 47
	s_mul_i32 s31, s15, 48
	s_mul_i32 s26, s15, 49
	s_mul_i32 s27, s15, 50
	s_mul_i32 s2, s15, 51
	s_mul_i32 s33, s15, 52
	s_mul_i32 s34, s15, 53
	s_mul_i32 s35, s15, 54
	s_mul_i32 s38, s15, 55
	s_mul_i32 s39, s15, 56
	s_mul_i32 s40, s15, 57
	s_mul_i32 s41, s15, 58
	s_mul_i32 s42, s15, 59
	s_mul_i32 s43, s15, 60
	s_mul_i32 s44, s15, 61
	s_mul_i32 s45, s15, 62
	s_mul_i32 s15, s15, 63
	s_mov_b32 s46, 0x5040100
	s_mov_b64 s[4:5], 0
	s_branch .LBB114_6
.LBB114_5:                              ;   in Loop: Header=BB114_6 Depth=1
	v_perm_b32 v18, v18, v91, s46
	v_perm_b32 v91, v93, v94, s46
	ds_write2_b32 v89, v18, v91 offset1:66
	v_perm_b32 v18, v95, v92, s46
	v_perm_b32 v91, v97, v98, s46
	ds_write2_b32 v89, v18, v91 offset0:132 offset1:198
	v_perm_b32 v18, v99, v96, s46
	v_perm_b32 v91, v101, v102, s46
	v_add_u32_e32 v92, 0x400, v89
	ds_write2_b32 v92, v18, v91 offset0:8 offset1:74
	v_perm_b32 v18, v103, v100, s46
	v_perm_b32 v91, v105, v106, s46
	ds_write2_b32 v92, v18, v91 offset0:140 offset1:206
	v_perm_b32 v18, v107, v104, s46
	v_perm_b32 v91, v109, v110, s46
	v_add_u32_e32 v92, 0x800, v89
	ds_write2_b32 v92, v18, v91 offset0:16 offset1:82
	v_perm_b32 v18, v111, v108, s46
	v_perm_b32 v91, v113, v114, s46
	ds_write2_b32 v92, v18, v91 offset0:148 offset1:214
	v_perm_b32 v18, v115, v112, s46
	v_add_u32_e32 v91, 0xc00, v89
	ds_write2_b32 v91, v18, v19 offset0:24 offset1:90
	ds_write2_b32 v91, v19, v19 offset0:156 offset1:222
	ds_read2_b64 v[92:95], v90 offset1:4
	s_waitcnt lgkmcnt(0)
	v_mfma_f32_16x16x16_f16 v[0:3], v[54:55], v[92:93], v[0:3]
	v_add_u32_e32 v88, 0x180, v88
	s_mov_b64 vcc, 0x600
	v_lshl_add_u64 v[20:21], v[20:21], 0, vcc
	v_mfma_f32_16x16x16_f16 v[8:11], v[38:39], v[92:93], v[8:11]
	v_cmp_le_i32_e32 vcc, s12, v88
	s_or_b64 s[4:5], vcc, s[4:5]
	v_mfma_f32_16x16x16_f16 v[4:7], v[70:71], v[92:93], v[4:7]
	v_mfma_f32_16x16x16_f16 v[12:15], v[84:85], v[92:93], v[12:15]
	v_mfma_f32_16x16x16_f16 v[0:3], v[52:53], v[94:95], v[0:3]
	ds_read2_b64 v[52:55], v90 offset0:8 offset1:12
	v_mfma_f32_16x16x16_f16 v[8:11], v[34:35], v[94:95], v[8:11]
	v_mfma_f32_16x16x16_f16 v[4:7], v[68:69], v[94:95], v[4:7]
	v_mfma_f32_16x16x16_f16 v[12:15], v[82:83], v[94:95], v[12:15]
	s_waitcnt lgkmcnt(0)
	v_mfma_f32_16x16x16_f16 v[8:11], v[32:33], v[52:53], v[8:11]
	v_mfma_f32_16x16x16_f16 v[0:3], v[48:49], v[52:53], v[0:3]
	v_mfma_f32_16x16x16_f16 v[4:7], v[66:67], v[52:53], v[4:7]
	v_mfma_f32_16x16x16_f16 v[12:15], v[78:79], v[52:53], v[12:15]
	v_mfma_f32_16x16x16_f16 v[8:11], v[30:31], v[54:55], v[8:11]
	ds_read2_b64 v[30:33], v90 offset0:16 offset1:20
	v_mfma_f32_16x16x16_f16 v[0:3], v[46:47], v[54:55], v[0:3]
	v_mfma_f32_16x16x16_f16 v[4:7], v[64:65], v[54:55], v[4:7]
	v_mfma_f32_16x16x16_f16 v[12:15], v[74:75], v[54:55], v[12:15]
	s_waitcnt lgkmcnt(0)
	v_mfma_f32_16x16x16_f16 v[8:11], v[28:29], v[30:31], v[8:11]
	v_mfma_f32_16x16x16_f16 v[0:3], v[44:45], v[30:31], v[0:3]
	;; [unrolled: 10-line block ×3, first 2 shown]
	v_mfma_f32_16x16x16_f16 v[4:7], v[56:57], v[26:27], v[4:7]
	v_mfma_f32_16x16x16_f16 v[12:15], v[72:73], v[26:27], v[12:15]
	v_mfma_f32_16x16x16_f16 v[8:11], v[22:23], v[28:29], v[8:11]
	v_mfma_f32_16x16x16_f16 v[0:3], v[36:37], v[28:29], v[0:3]
	v_mfma_f32_16x16x16_f16 v[4:7], v[50:51], v[28:29], v[4:7]
	v_mfma_f32_16x16x16_f16 v[12:15], v[60:61], v[28:29], v[12:15]
	s_andn2_b64 exec, exec, s[4:5]
	s_cbranch_execz .LBB114_45
.LBB114_6:                              ; =>This Inner Loop Header: Depth=1
	v_lshl_add_u64 v[22:23], v[20:21], 0, s[62:63]
	global_load_dword v18, v[20:21], off
	global_load_dword v48, v[22:23], off
	v_add_u32_e32 v22, s3, v88
	v_ashrrev_i32_e32 v23, 31, v22
	v_add_u32_e32 v24, s8, v88
	v_add_u32_e32 v26, s68, v88
	v_add_u32_e32 v28, s69, v88
	v_add_u32_e32 v30, s70, v88
	v_add_u32_e32 v32, s71, v88
	v_lshl_add_u64 v[22:23], v[22:23], 2, s[0:1]
	v_ashrrev_i32_e32 v25, 31, v24
	v_ashrrev_i32_e32 v27, 31, v26
	;; [unrolled: 1-line block ×5, first 2 shown]
	v_lshl_add_u64 v[24:25], v[24:25], 2, s[0:1]
	v_lshl_add_u64 v[26:27], v[26:27], 2, s[0:1]
	v_lshl_add_u64 v[28:29], v[28:29], 2, s[0:1]
	v_lshl_add_u64 v[30:31], v[30:31], 2, s[0:1]
	v_lshl_add_u64 v[32:33], v[32:33], 2, s[0:1]
	global_load_dword v49, v[22:23], off
	global_load_dword v50, v[24:25], off
	;; [unrolled: 1-line block ×6, first 2 shown]
	v_add_u32_e32 v22, s72, v88
	v_add_u32_e32 v40, s81, v88
	v_add_u32_e32 v24, s73, v88
	v_add_u32_e32 v26, s74, v88
	v_add_u32_e32 v28, s75, v88
	v_add_u32_e32 v30, s76, v88
	v_add_u32_e32 v32, s77, v88
	v_add_u32_e32 v34, s78, v88
	v_add_u32_e32 v36, s79, v88
	v_add_u32_e32 v38, s80, v88
	v_ashrrev_i32_e32 v23, 31, v22
	v_ashrrev_i32_e32 v41, 31, v40
	;; [unrolled: 1-line block ×10, first 2 shown]
	v_lshl_add_u64 v[22:23], v[22:23], 2, s[0:1]
	v_lshl_add_u64 v[40:41], v[40:41], 2, s[0:1]
	v_add_u32_e32 v42, s82, v88
	v_add_u32_e32 v44, s83, v88
	;; [unrolled: 1-line block ×3, first 2 shown]
	v_lshl_add_u64 v[24:25], v[24:25], 2, s[0:1]
	v_lshl_add_u64 v[26:27], v[26:27], 2, s[0:1]
	;; [unrolled: 1-line block ×8, first 2 shown]
	global_load_dword v55, v[22:23], off
	global_load_dword v56, v[24:25], off
	;; [unrolled: 1-line block ×9, first 2 shown]
	s_nop 0
	global_load_dword v40, v[40:41], off
	v_add_u32_e32 v22, s64, v88
	v_ashrrev_i32_e32 v43, 31, v42
	v_ashrrev_i32_e32 v45, 31, v44
	;; [unrolled: 1-line block ×4, first 2 shown]
	v_add_u32_e32 v24, s65, v88
	v_add_u32_e32 v26, s66, v88
	;; [unrolled: 1-line block ×4, first 2 shown]
	v_lshl_add_u64 v[42:43], v[42:43], 2, s[0:1]
	v_lshl_add_u64 v[44:45], v[44:45], 2, s[0:1]
	;; [unrolled: 1-line block ×4, first 2 shown]
	v_ashrrev_i32_e32 v25, 31, v24
	v_ashrrev_i32_e32 v27, 31, v26
	;; [unrolled: 1-line block ×4, first 2 shown]
	v_lshl_add_u64 v[24:25], v[24:25], 2, s[0:1]
	v_lshl_add_u64 v[26:27], v[26:27], 2, s[0:1]
	;; [unrolled: 1-line block ×4, first 2 shown]
	v_add_u32_e32 v32, s92, v88
	v_add_u32_e32 v34, s85, v88
	;; [unrolled: 1-line block ×3, first 2 shown]
	v_ashrrev_i32_e32 v33, 31, v32
	v_ashrrev_i32_e32 v35, 31, v34
	;; [unrolled: 1-line block ×3, first 2 shown]
	v_lshl_add_u64 v[32:33], v[32:33], 2, s[0:1]
	s_waitcnt vmcnt(17)
	ds_write_b32 v89, v18
	s_waitcnt vmcnt(16)
	ds_write_b32 v89, v48 offset:264
	s_waitcnt vmcnt(15)
	ds_write_b32 v89, v49 offset:528
	;; [unrolled: 2-line block ×7, first 2 shown]
	global_load_dword v18, v[42:43], off
	global_load_dword v41, v[44:45], off
	s_nop 0
	global_load_dword v42, v[46:47], off
	global_load_dword v43, v[22:23], off
	;; [unrolled: 1-line block ×4, first 2 shown]
	s_nop 0
	global_load_dword v46, v[28:29], off
	global_load_dword v47, v[30:31], off
	v_add_u32_e32 v22, s87, v88
	v_ashrrev_i32_e32 v23, 31, v22
	v_add_u32_e32 v24, s88, v88
	v_add_u32_e32 v26, s89, v88
	;; [unrolled: 1-line block ×4, first 2 shown]
	v_lshl_add_u64 v[22:23], v[22:23], 2, s[0:1]
	v_ashrrev_i32_e32 v25, 31, v24
	v_ashrrev_i32_e32 v27, 31, v26
	;; [unrolled: 1-line block ×4, first 2 shown]
	v_lshl_add_u64 v[24:25], v[24:25], 2, s[0:1]
	v_lshl_add_u64 v[26:27], v[26:27], 2, s[0:1]
	v_lshl_add_u64 v[28:29], v[28:29], 2, s[0:1]
	v_lshl_add_u64 v[30:31], v[30:31], 2, s[0:1]
	v_lshl_add_u64 v[34:35], v[34:35], 2, s[0:1]
	v_lshl_add_u64 v[36:37], v[36:37], 2, s[0:1]
	global_load_dword v48, v[22:23], off
	global_load_dword v49, v[24:25], off
	global_load_dword v50, v[26:27], off
	global_load_dword v51, v[28:29], off
	global_load_dword v52, v[30:31], off
	global_load_dword v53, v[32:33], off
	global_load_dword v64, v[34:35], off
	global_load_dword v65, v[36:37], off
	v_add_u32_e32 v22, s94, v88
	v_ashrrev_i32_e32 v23, 31, v22
	v_add_u32_e32 v24, s95, v88
	v_add_u32_e32 v26, s96, v88
	v_add_u32_e32 v28, s97, v88
	v_add_u32_e32 v30, s98, v88
	v_add_u32_e32 v32, s99, v88
	v_add_u32_e32 v34, s24, v88
	v_add_u32_e32 v36, s25, v88
	v_lshl_add_u64 v[22:23], v[22:23], 2, s[0:1]
	v_ashrrev_i32_e32 v25, 31, v24
	v_ashrrev_i32_e32 v27, 31, v26
	v_ashrrev_i32_e32 v29, 31, v28
	v_ashrrev_i32_e32 v31, 31, v30
	v_ashrrev_i32_e32 v33, 31, v32
	v_ashrrev_i32_e32 v35, 31, v34
	v_ashrrev_i32_e32 v37, 31, v36
	v_lshl_add_u64 v[24:25], v[24:25], 2, s[0:1]
	v_lshl_add_u64 v[26:27], v[26:27], 2, s[0:1]
	v_lshl_add_u64 v[28:29], v[28:29], 2, s[0:1]
	v_lshl_add_u64 v[30:31], v[30:31], 2, s[0:1]
	v_lshl_add_u64 v[32:33], v[32:33], 2, s[0:1]
	v_lshl_add_u64 v[34:35], v[34:35], 2, s[0:1]
	v_lshl_add_u64 v[36:37], v[36:37], 2, s[0:1]
	global_load_dword v66, v[22:23], off
	global_load_dword v67, v[24:25], off
	global_load_dword v68, v[26:27], off
	global_load_dword v69, v[28:29], off
	global_load_dword v70, v[30:31], off
	global_load_dword v71, v[32:33], off
	global_load_dword v72, v[34:35], off
	global_load_dword v73, v[36:37], off
	v_add_u32_e32 v22, s11, v88
	v_ashrrev_i32_e32 v23, 31, v22
	v_add_u32_e32 v24, s22, v88
	v_add_u32_e32 v26, s23, v88
	v_add_u32_e32 v28, s28, v88
	v_add_u32_e32 v30, s29, v88
	v_add_u32_e32 v32, s30, v88
	v_add_u32_e32 v34, s31, v88
	v_add_u32_e32 v36, s26, v88
	v_lshl_add_u64 v[22:23], v[22:23], 2, s[0:1]
	v_ashrrev_i32_e32 v25, 31, v24
	v_ashrrev_i32_e32 v27, 31, v26
	v_ashrrev_i32_e32 v29, 31, v28
	v_ashrrev_i32_e32 v31, 31, v30
	v_ashrrev_i32_e32 v33, 31, v32
	v_ashrrev_i32_e32 v35, 31, v34
	v_ashrrev_i32_e32 v37, 31, v36
	v_lshl_add_u64 v[24:25], v[24:25], 2, s[0:1]
	;; [unrolled: 32-line block ×3, first 2 shown]
	v_lshl_add_u64 v[26:27], v[26:27], 2, s[0:1]
	v_lshl_add_u64 v[28:29], v[28:29], 2, s[0:1]
	;; [unrolled: 1-line block ×6, first 2 shown]
	global_load_dword v82, v[22:23], off
	global_load_dword v83, v[24:25], off
	;; [unrolled: 1-line block ×8, first 2 shown]
	v_add_u32_e32 v22, s41, v88
	v_ashrrev_i32_e32 v23, 31, v22
	v_add_u32_e32 v24, s42, v88
	v_add_u32_e32 v26, s43, v88
	;; [unrolled: 1-line block ×5, first 2 shown]
	v_lshl_add_u64 v[22:23], v[22:23], 2, s[0:1]
	v_ashrrev_i32_e32 v25, 31, v24
	v_ashrrev_i32_e32 v27, 31, v26
	;; [unrolled: 1-line block ×5, first 2 shown]
	v_lshl_add_u64 v[24:25], v[24:25], 2, s[0:1]
	v_lshl_add_u64 v[26:27], v[26:27], 2, s[0:1]
	;; [unrolled: 1-line block ×5, first 2 shown]
	global_load_dword v95, v[22:23], off
	global_load_dword v96, v[24:25], off
	global_load_dword v97, v[26:27], off
	global_load_dword v98, v[28:29], off
	global_load_dword v99, v[30:31], off
	global_load_dword v100, v[32:33], off
	s_waitcnt vmcnt(55)
	ds_write_b32 v89, v55 offset:2112
	s_waitcnt vmcnt(54)
	ds_write_b32 v89, v56 offset:2376
	s_waitcnt vmcnt(53)
	ds_write_b32 v89, v57 offset:2640
	s_waitcnt vmcnt(52)
	ds_write_b32 v89, v58 offset:2904
	s_waitcnt vmcnt(51)
	ds_write_b32 v89, v59 offset:3168
	s_waitcnt vmcnt(50)
	ds_write_b32 v89, v60 offset:3432
	s_waitcnt vmcnt(49)
	ds_write_b32 v89, v61 offset:3696
	s_waitcnt vmcnt(48)
	ds_write_b32 v89, v62 offset:3960
	ds_read_b64 v[38:39], v90
	ds_read_b64 v[34:35], v90 offset:32
	ds_read_b64 v[32:33], v90 offset:64
	ds_read_b64 v[30:31], v90 offset:96
	ds_read_b64 v[28:29], v90 offset:128
	ds_read_b64 v[26:27], v90 offset:160
	ds_read_b64 v[24:25], v90 offset:192
	ds_read_b64 v[22:23], v90 offset:224
	s_waitcnt vmcnt(47)
	ds_write_b32 v89, v63
	s_waitcnt vmcnt(46)
	ds_write_b32 v89, v40 offset:264
	s_waitcnt vmcnt(45)
	ds_write_b32 v89, v18 offset:528
	s_waitcnt vmcnt(44)
	ds_write_b32 v89, v41 offset:792
	s_waitcnt vmcnt(43)
	ds_write_b32 v89, v42 offset:1056
	s_waitcnt vmcnt(42)
	ds_write_b32 v89, v43 offset:1320
	s_waitcnt vmcnt(41)
	ds_write_b32 v89, v44 offset:1584
	s_waitcnt vmcnt(40)
	ds_write_b32 v89, v45 offset:1848
	s_waitcnt vmcnt(39)
	ds_write_b32 v89, v46 offset:2112
	s_waitcnt vmcnt(38)
	ds_write_b32 v89, v47 offset:2376
	s_waitcnt vmcnt(37)
	ds_write_b32 v89, v48 offset:2640
	s_waitcnt vmcnt(36)
	ds_write_b32 v89, v49 offset:2904
	s_waitcnt vmcnt(35)
	ds_write_b32 v89, v50 offset:3168
	s_waitcnt vmcnt(34)
	ds_write_b32 v89, v51 offset:3432
	s_waitcnt vmcnt(33)
	ds_write_b32 v89, v52 offset:3696
	s_waitcnt vmcnt(32)
	ds_write_b32 v89, v53 offset:3960
	ds_read_b64 v[54:55], v90
	ds_read_b64 v[52:53], v90 offset:32
	ds_read_b64 v[48:49], v90 offset:64
	ds_read_b64 v[46:47], v90 offset:96
	ds_read_b64 v[44:45], v90 offset:128
	ds_read_b64 v[42:43], v90 offset:160
	ds_read_b64 v[40:41], v90 offset:192
	ds_read_b64 v[36:37], v90 offset:224
	s_waitcnt vmcnt(31)
	ds_write_b32 v89, v64
	s_waitcnt vmcnt(30)
	ds_write_b32 v89, v65 offset:264
	s_waitcnt vmcnt(29)
	ds_write_b32 v89, v66 offset:528
	s_waitcnt vmcnt(28)
	ds_write_b32 v89, v67 offset:792
	s_waitcnt vmcnt(27)
	ds_write_b32 v89, v68 offset:1056
	s_waitcnt vmcnt(26)
	ds_write_b32 v89, v69 offset:1320
	s_waitcnt vmcnt(25)
	ds_write_b32 v89, v70 offset:1584
	s_waitcnt vmcnt(24)
	ds_write_b32 v89, v71 offset:1848
	;; [unrolled: 40-line block ×3, first 2 shown]
	s_waitcnt vmcnt(7)
	ds_write_b32 v89, v93 offset:2112
	s_waitcnt vmcnt(6)
	ds_write_b32 v89, v94 offset:2376
	s_waitcnt vmcnt(5)
	ds_write_b32 v89, v95 offset:2640
	s_waitcnt vmcnt(4)
	ds_write_b32 v89, v96 offset:2904
	s_waitcnt vmcnt(3)
	ds_write_b32 v89, v97 offset:3168
	s_waitcnt vmcnt(2)
	ds_write_b32 v89, v98 offset:3432
	s_waitcnt vmcnt(1)
	ds_write_b32 v89, v99 offset:3696
	s_waitcnt vmcnt(0)
	ds_write_b32 v89, v100 offset:3960
	ds_read_b64 v[84:85], v90
	ds_read_b64 v[82:83], v90 offset:32
	ds_read_b64 v[78:79], v90 offset:64
	;; [unrolled: 1-line block ×7, first 2 shown]
	v_readlane_b32 vcc_lo, v118, 11
	v_readlane_b32 vcc_hi, v118, 12
	s_andn2_b64 vcc, exec, vcc
	v_mov_b32_e32 v91, 0
	v_mov_b32_e32 v18, 0
	s_cbranch_vccnz .LBB114_9
; %bb.7:                                ;   in Loop: Header=BB114_6 Depth=1
	s_load_dword s47, s[36:37], 0x0
	v_mov_b32_e32 v18, 0
	v_mov_b32_e32 v91, 0
	s_waitcnt lgkmcnt(0)
	s_mul_hi_u32 vcc_lo, s47, s16
	s_add_i32 vcc_lo, s47, vcc_lo
	s_lshr_b32 vcc_lo, vcc_lo, s17
	s_cmp_ge_i32 vcc_lo, s13
	s_cbranch_scc1 .LBB114_9
; %bb.8:                                ;   in Loop: Header=BB114_6 Depth=1
	s_mul_i32 vcc_hi, vcc_lo, s18
	s_sub_i32 s47, s47, vcc_hi
	s_mul_i32 vcc_lo, vcc_lo, s20
	s_mul_i32 s47, s47, s9
	v_add_u32_e32 v18, vcc_lo, v88
	v_lshl_add_u32 v92, v18, 1, s47
	v_ashrrev_i32_e32 v93, 31, v92
	v_lshl_add_u64 v[92:93], v[92:93], 2, s[6:7]
	global_load_dwordx2 v[92:93], v[92:93], off
	s_waitcnt vmcnt(0)
	v_cvt_f16_f32_e32 v91, v92
	v_cvt_f16_f32_e32 v18, v93
.LBB114_9:                              ;   in Loop: Header=BB114_6 Depth=1
	v_readlane_b32 vcc_lo, v118, 13
	v_readlane_b32 vcc_hi, v118, 14
	v_mov_b32_e32 v92, 0
	s_andn2_b64 vcc, exec, vcc
	v_mov_b32_e32 v94, 0
	v_mov_b32_e32 v93, 0
	s_cbranch_vccnz .LBB114_12
; %bb.10:                               ;   in Loop: Header=BB114_6 Depth=1
	s_load_dword s47, s[36:37], 0x4
	v_mov_b32_e32 v93, 0
	v_mov_b32_e32 v94, 0
	s_waitcnt lgkmcnt(0)
	s_mul_hi_u32 vcc_lo, s47, s16
	s_add_i32 vcc_lo, s47, vcc_lo
	s_lshr_b32 vcc_lo, vcc_lo, s17
	s_cmp_ge_i32 vcc_lo, s13
	s_cbranch_scc1 .LBB114_12
; %bb.11:                               ;   in Loop: Header=BB114_6 Depth=1
	s_mul_i32 vcc_hi, vcc_lo, s18
	s_sub_i32 s47, s47, vcc_hi
	s_mul_i32 vcc_lo, vcc_lo, s20
	s_mul_i32 s47, s47, s9
	v_add_u32_e32 v93, vcc_lo, v88
	v_lshl_add_u32 v94, v93, 1, s47
	v_ashrrev_i32_e32 v95, 31, v94
	v_lshl_add_u64 v[94:95], v[94:95], 2, s[6:7]
	global_load_dwordx2 v[94:95], v[94:95], off
	s_waitcnt vmcnt(0)
	v_cvt_f16_f32_e32 v94, v94
	v_cvt_f16_f32_e32 v93, v95
.LBB114_12:                             ;   in Loop: Header=BB114_6 Depth=1
	v_readlane_b32 vcc_lo, v118, 15
	v_readlane_b32 vcc_hi, v118, 16
	s_andn2_b64 vcc, exec, vcc
	v_mov_b32_e32 v95, 0
	s_cbranch_vccnz .LBB114_15
; %bb.13:                               ;   in Loop: Header=BB114_6 Depth=1
	s_load_dword s47, s[36:37], 0x8
	v_mov_b32_e32 v95, 0
	v_mov_b32_e32 v92, 0
	s_waitcnt lgkmcnt(0)
	s_mul_hi_u32 vcc_lo, s47, s16
	s_add_i32 vcc_lo, s47, vcc_lo
	s_lshr_b32 vcc_lo, vcc_lo, s17
	s_cmp_ge_i32 vcc_lo, s13
	s_cbranch_scc1 .LBB114_15
; %bb.14:                               ;   in Loop: Header=BB114_6 Depth=1
	s_mul_i32 vcc_hi, vcc_lo, s18
	s_sub_i32 s47, s47, vcc_hi
	s_mul_i32 vcc_lo, vcc_lo, s20
	s_mul_i32 s47, s47, s9
	v_add_u32_e32 v92, vcc_lo, v88
	v_lshl_add_u32 v96, v92, 1, s47
	v_ashrrev_i32_e32 v97, 31, v96
	v_lshl_add_u64 v[96:97], v[96:97], 2, s[6:7]
	global_load_dwordx2 v[96:97], v[96:97], off
	s_waitcnt vmcnt(0)
	v_cvt_f16_f32_e32 v92, v96
	v_cvt_f16_f32_e32 v95, v97
.LBB114_15:                             ;   in Loop: Header=BB114_6 Depth=1
	v_readlane_b32 vcc_lo, v118, 17
	v_readlane_b32 vcc_hi, v118, 18
	v_mov_b32_e32 v96, 0
	s_andn2_b64 vcc, exec, vcc
	v_mov_b32_e32 v98, 0
	v_mov_b32_e32 v97, 0
	s_cbranch_vccnz .LBB114_18
; %bb.16:                               ;   in Loop: Header=BB114_6 Depth=1
	s_load_dword s47, s[36:37], 0xc
	v_mov_b32_e32 v97, 0
	v_mov_b32_e32 v98, 0
	s_waitcnt lgkmcnt(0)
	s_mul_hi_u32 vcc_lo, s47, s16
	s_add_i32 vcc_lo, s47, vcc_lo
	s_lshr_b32 vcc_lo, vcc_lo, s17
	s_cmp_ge_i32 vcc_lo, s13
	s_cbranch_scc1 .LBB114_18
; %bb.17:                               ;   in Loop: Header=BB114_6 Depth=1
	s_mul_i32 vcc_hi, vcc_lo, s18
	s_sub_i32 s47, s47, vcc_hi
	s_mul_i32 vcc_lo, vcc_lo, s20
	s_mul_i32 s47, s47, s9
	v_add_u32_e32 v97, vcc_lo, v88
	v_lshl_add_u32 v98, v97, 1, s47
	v_ashrrev_i32_e32 v99, 31, v98
	v_lshl_add_u64 v[98:99], v[98:99], 2, s[6:7]
	global_load_dwordx2 v[98:99], v[98:99], off
	s_waitcnt vmcnt(0)
	v_cvt_f16_f32_e32 v98, v98
	v_cvt_f16_f32_e32 v97, v99
.LBB114_18:                             ;   in Loop: Header=BB114_6 Depth=1
	v_readlane_b32 vcc_lo, v118, 19
	v_readlane_b32 vcc_hi, v118, 20
	s_andn2_b64 vcc, exec, vcc
	v_mov_b32_e32 v99, 0
	s_cbranch_vccnz .LBB114_21
; %bb.19:                               ;   in Loop: Header=BB114_6 Depth=1
	s_load_dword s47, s[36:37], 0x10
	v_mov_b32_e32 v99, 0
	v_mov_b32_e32 v96, 0
	s_waitcnt lgkmcnt(0)
	s_mul_hi_u32 vcc_lo, s47, s16
	s_add_i32 vcc_lo, s47, vcc_lo
	s_lshr_b32 vcc_lo, vcc_lo, s17
	s_cmp_ge_i32 vcc_lo, s13
	s_cbranch_scc1 .LBB114_21
; %bb.20:                               ;   in Loop: Header=BB114_6 Depth=1
	s_mul_i32 vcc_hi, vcc_lo, s18
	s_sub_i32 s47, s47, vcc_hi
	s_mul_i32 vcc_lo, vcc_lo, s20
	s_mul_i32 s47, s47, s9
	v_add_u32_e32 v96, vcc_lo, v88
	v_lshl_add_u32 v100, v96, 1, s47
	v_ashrrev_i32_e32 v101, 31, v100
	v_lshl_add_u64 v[100:101], v[100:101], 2, s[6:7]
	global_load_dwordx2 v[100:101], v[100:101], off
	s_waitcnt vmcnt(0)
	v_cvt_f16_f32_e32 v96, v100
	v_cvt_f16_f32_e32 v99, v101
.LBB114_21:                             ;   in Loop: Header=BB114_6 Depth=1
	v_readlane_b32 vcc_lo, v118, 21
	v_readlane_b32 vcc_hi, v118, 22
	v_mov_b32_e32 v100, 0
	s_andn2_b64 vcc, exec, vcc
	v_mov_b32_e32 v102, 0
	v_mov_b32_e32 v101, 0
	s_cbranch_vccnz .LBB114_24
; %bb.22:                               ;   in Loop: Header=BB114_6 Depth=1
	s_load_dword s47, s[36:37], 0x14
	v_mov_b32_e32 v101, 0
	v_mov_b32_e32 v102, 0
	s_waitcnt lgkmcnt(0)
	s_mul_hi_u32 vcc_lo, s47, s16
	s_add_i32 vcc_lo, s47, vcc_lo
	s_lshr_b32 vcc_lo, vcc_lo, s17
	s_cmp_ge_i32 vcc_lo, s13
	s_cbranch_scc1 .LBB114_24
; %bb.23:                               ;   in Loop: Header=BB114_6 Depth=1
	s_mul_i32 vcc_hi, vcc_lo, s18
	s_sub_i32 s47, s47, vcc_hi
	s_mul_i32 vcc_lo, vcc_lo, s20
	s_mul_i32 s47, s47, s9
	v_add_u32_e32 v101, vcc_lo, v88
	v_lshl_add_u32 v102, v101, 1, s47
	v_ashrrev_i32_e32 v103, 31, v102
	v_lshl_add_u64 v[102:103], v[102:103], 2, s[6:7]
	global_load_dwordx2 v[102:103], v[102:103], off
	s_waitcnt vmcnt(0)
	v_cvt_f16_f32_e32 v102, v102
	v_cvt_f16_f32_e32 v101, v103
.LBB114_24:                             ;   in Loop: Header=BB114_6 Depth=1
	s_andn2_b64 vcc, exec, s[48:49]
	v_mov_b32_e32 v103, 0
	s_cbranch_vccnz .LBB114_27
; %bb.25:                               ;   in Loop: Header=BB114_6 Depth=1
	s_load_dword s47, s[36:37], 0x18
	v_mov_b32_e32 v103, 0
	v_mov_b32_e32 v100, 0
	s_waitcnt lgkmcnt(0)
	s_mul_hi_u32 vcc_lo, s47, s16
	s_add_i32 vcc_lo, s47, vcc_lo
	s_lshr_b32 vcc_lo, vcc_lo, s17
	s_cmp_ge_i32 vcc_lo, s13
	s_cbranch_scc1 .LBB114_27
; %bb.26:                               ;   in Loop: Header=BB114_6 Depth=1
	s_mul_i32 vcc_hi, vcc_lo, s18
	s_sub_i32 s47, s47, vcc_hi
	s_mul_i32 vcc_lo, vcc_lo, s20
	s_mul_i32 s47, s47, s9
	v_add_u32_e32 v100, vcc_lo, v88
	v_lshl_add_u32 v104, v100, 1, s47
	v_ashrrev_i32_e32 v105, 31, v104
	v_lshl_add_u64 v[104:105], v[104:105], 2, s[6:7]
	global_load_dwordx2 v[104:105], v[104:105], off
	s_waitcnt vmcnt(0)
	v_cvt_f16_f32_e32 v100, v104
	v_cvt_f16_f32_e32 v103, v105
.LBB114_27:                             ;   in Loop: Header=BB114_6 Depth=1
	v_mov_b32_e32 v104, 0
	s_andn2_b64 vcc, exec, s[50:51]
	v_mov_b32_e32 v106, 0
	v_mov_b32_e32 v105, 0
	s_cbranch_vccnz .LBB114_30
; %bb.28:                               ;   in Loop: Header=BB114_6 Depth=1
	s_load_dword s47, s[36:37], 0x1c
	v_mov_b32_e32 v105, 0
	v_mov_b32_e32 v106, 0
	s_waitcnt lgkmcnt(0)
	s_mul_hi_u32 vcc_lo, s47, s16
	s_add_i32 vcc_lo, s47, vcc_lo
	s_lshr_b32 vcc_lo, vcc_lo, s17
	s_cmp_ge_i32 vcc_lo, s13
	s_cbranch_scc1 .LBB114_30
; %bb.29:                               ;   in Loop: Header=BB114_6 Depth=1
	s_mul_i32 vcc_hi, vcc_lo, s18
	s_sub_i32 s47, s47, vcc_hi
	s_mul_i32 vcc_lo, vcc_lo, s20
	s_mul_i32 s47, s47, s9
	v_add_u32_e32 v105, vcc_lo, v88
	v_lshl_add_u32 v106, v105, 1, s47
	v_ashrrev_i32_e32 v107, 31, v106
	v_lshl_add_u64 v[106:107], v[106:107], 2, s[6:7]
	global_load_dwordx2 v[106:107], v[106:107], off
	s_waitcnt vmcnt(0)
	v_cvt_f16_f32_e32 v106, v106
	v_cvt_f16_f32_e32 v105, v107
.LBB114_30:                             ;   in Loop: Header=BB114_6 Depth=1
	s_andn2_b64 vcc, exec, s[52:53]
	v_mov_b32_e32 v107, 0
	s_cbranch_vccnz .LBB114_33
; %bb.31:                               ;   in Loop: Header=BB114_6 Depth=1
	s_load_dword s47, s[36:37], 0x20
	v_mov_b32_e32 v107, 0
	v_mov_b32_e32 v104, 0
	s_waitcnt lgkmcnt(0)
	s_mul_hi_u32 vcc_lo, s47, s16
	s_add_i32 vcc_lo, s47, vcc_lo
	s_lshr_b32 vcc_lo, vcc_lo, s17
	s_cmp_ge_i32 vcc_lo, s13
	s_cbranch_scc1 .LBB114_33
; %bb.32:                               ;   in Loop: Header=BB114_6 Depth=1
	s_mul_i32 vcc_hi, vcc_lo, s18
	s_sub_i32 s47, s47, vcc_hi
	s_mul_i32 vcc_lo, vcc_lo, s20
	s_mul_i32 s47, s47, s9
	v_add_u32_e32 v104, vcc_lo, v88
	v_lshl_add_u32 v108, v104, 1, s47
	v_ashrrev_i32_e32 v109, 31, v108
	v_lshl_add_u64 v[108:109], v[108:109], 2, s[6:7]
	global_load_dwordx2 v[108:109], v[108:109], off
	s_waitcnt vmcnt(0)
	v_cvt_f16_f32_e32 v104, v108
	v_cvt_f16_f32_e32 v107, v109
.LBB114_33:                             ;   in Loop: Header=BB114_6 Depth=1
	v_mov_b32_e32 v108, 0
	s_andn2_b64 vcc, exec, s[54:55]
	;; [unrolled: 56-line block ×3, first 2 shown]
	v_mov_b32_e32 v114, 0
	v_mov_b32_e32 v113, 0
	s_cbranch_vccnz .LBB114_42
; %bb.40:                               ;   in Loop: Header=BB114_6 Depth=1
	s_load_dword s47, s[36:37], 0x2c
	v_mov_b32_e32 v113, 0
	v_mov_b32_e32 v114, 0
	s_waitcnt lgkmcnt(0)
	s_mul_hi_u32 vcc_lo, s47, s16
	s_add_i32 vcc_lo, s47, vcc_lo
	s_lshr_b32 vcc_lo, vcc_lo, s17
	s_cmp_ge_i32 vcc_lo, s13
	s_cbranch_scc1 .LBB114_42
; %bb.41:                               ;   in Loop: Header=BB114_6 Depth=1
	s_mul_i32 vcc_hi, vcc_lo, s18
	s_sub_i32 s47, s47, vcc_hi
	s_mul_i32 vcc_lo, vcc_lo, s20
	s_mul_i32 s47, s47, s9
	v_add_u32_e32 v113, vcc_lo, v88
	v_lshl_add_u32 v114, v113, 1, s47
	v_ashrrev_i32_e32 v115, 31, v114
	v_lshl_add_u64 v[114:115], v[114:115], 2, s[6:7]
	global_load_dwordx2 v[114:115], v[114:115], off
	s_waitcnt vmcnt(0)
	v_cvt_f16_f32_e32 v114, v114
	v_cvt_f16_f32_e32 v113, v115
.LBB114_42:                             ;   in Loop: Header=BB114_6 Depth=1
	s_andn2_b64 vcc, exec, s[60:61]
	v_mov_b32_e32 v115, 0
	s_cbranch_vccnz .LBB114_5
; %bb.43:                               ;   in Loop: Header=BB114_6 Depth=1
	s_load_dword s47, s[36:37], 0x30
	v_mov_b32_e32 v115, 0
	v_mov_b32_e32 v112, 0
	s_waitcnt lgkmcnt(0)
	s_mul_hi_u32 vcc_lo, s47, s16
	s_add_i32 vcc_lo, s47, vcc_lo
	s_lshr_b32 vcc_lo, vcc_lo, s17
	s_cmp_ge_i32 vcc_lo, s13
	s_cbranch_scc1 .LBB114_5
; %bb.44:                               ;   in Loop: Header=BB114_6 Depth=1
	s_mul_i32 vcc_hi, vcc_lo, s18
	s_sub_i32 s47, s47, vcc_hi
	s_mul_i32 vcc_lo, vcc_lo, s20
	s_mul_i32 s47, s47, s9
	v_add_u32_e32 v112, vcc_lo, v88
	v_lshl_add_u32 v116, v112, 1, s47
	v_ashrrev_i32_e32 v117, 31, v116
	v_lshl_add_u64 v[116:117], v[116:117], 2, s[6:7]
	global_load_dwordx2 v[116:117], v[116:117], off
	s_waitcnt vmcnt(0)
	v_cvt_f16_f32_e32 v112, v116
	v_cvt_f16_f32_e32 v115, v117
	s_branch .LBB114_5
.LBB114_45:
	s_or_b64 exec, exec, s[4:5]
	v_readlane_b32 s24, v118, 6
	v_readlane_b32 s30, v118, 9
	;; [unrolled: 1-line block ×12, first 2 shown]
.LBB114_46:
	s_or_b64 exec, exec, s[36:37]
	s_lshl_b64 s[0:1], s[30:31], 2
	s_add_u32 s4, s22, s0
	v_lshl_add_u32 v18, v86, 2, 0
	v_mul_u32_u24_e32 v19, 0x608, v87
	v_and_b32_e32 v20, 0x3f0, v17
	s_addc_u32 s5, s23, s1
	v_add3_u32 v18, v18, v19, v20
	s_barrier
	ds_write2_b32 v18, v8, v9 offset1:1
	ds_write2_b32 v18, v10, v11 offset0:2 offset1:3
	ds_write2_b32 v18, v0, v1 offset0:16 offset1:17
	;; [unrolled: 1-line block ×7, first 2 shown]
	s_cmp_gt_i32 s14, 0
	v_add_u32_e32 v0, s28, v16
	s_cselect_b64 s[6:7], -1, 0
	v_cmp_gt_i32_e64 s[0:1], s26, v0
	v_cmp_gt_u32_e32 vcc, 13, v16
	s_and_b64 s[0:1], s[6:7], s[0:1]
	v_lshl_add_u32 v3, v17, 2, 0
	v_add_u32_e32 v2, s11, v17
	v_mul_u32_u24_e32 v4, 0x608, v16
	s_and_b64 s[2:3], vcc, s[0:1]
	s_waitcnt lgkmcnt(0)
	s_barrier
	s_and_saveexec_b64 s[0:1], s[2:3]
	s_cbranch_execz .LBB114_49
; %bb.47:
	v_ashrrev_i32_e32 v1, 31, v0
	v_lshl_add_u64 v[6:7], v[0:1], 2, s[4:5]
	global_load_dword v5, v[6:7], off
	s_waitcnt vmcnt(0)
	v_mul_hi_u32 v1, v5, s19
	v_add_u32_e32 v1, v5, v1
	v_lshrrev_b32_e32 v1, s24, v1
	v_cmp_gt_i32_e32 vcc, s13, v1
	s_and_b64 exec, exec, vcc
	s_cbranch_execz .LBB114_49
; %bb.48:
	v_add_u32_e32 v10, v3, v4
	ds_read2st64_b32 v[6:7], v10 offset1:1
	ds_read2st64_b32 v[8:9], v10 offset0:2 offset1:3
	ds_read2st64_b32 v[10:11], v10 offset0:4 offset1:5
	v_mul_lo_u32 v12, v1, s25
	v_sub_u32_e32 v5, v5, v12
	v_mul_lo_u32 v5, v5, s10
	s_waitcnt lgkmcnt(2)
	v_add_f32_e32 v6, 0, v6
	v_add_f32_e32 v6, v6, v7
	s_waitcnt lgkmcnt(1)
	v_add_f32_e32 v6, v6, v8
	v_add_f32_e32 v6, v6, v9
	s_waitcnt lgkmcnt(0)
	v_add_f32_e32 v6, v6, v10
	v_mul_lo_u32 v1, v1, s21
	v_readlane_b32 s2, v118, 0
	v_add_f32_e32 v8, v6, v11
	v_add3_u32 v6, v2, v1, v5
	v_mov_b32_e32 v7, 0
	v_readlane_b32 s3, v118, 1
	s_nop 1
	v_lshl_add_u64 v[6:7], v[6:7], 2, s[2:3]
	global_store_dword v[6:7], v8, off
.LBB114_49:
	s_or_b64 exec, exec, s[0:1]
	v_add_u32_e32 v0, 6, v0
	v_cmp_gt_i32_e64 s[0:1], s26, v0
	v_cmp_gt_u32_e32 vcc, 7, v16
	s_and_b64 s[0:1], s[6:7], s[0:1]
	s_and_b64 s[2:3], vcc, s[0:1]
	s_and_saveexec_b64 s[0:1], s[2:3]
	s_cbranch_execz .LBB114_52
; %bb.50:
	s_ashr_i32 s29, s28, 31
	v_mov_b32_e32 v17, 0
	v_lshl_add_u64 v[0:1], v[16:17], 0, s[28:29]
	v_lshl_add_u64 v[0:1], v[0:1], 2, s[4:5]
	global_load_dword v1, v[0:1], off offset:24
	s_waitcnt vmcnt(0)
	v_mul_hi_u32 v0, v1, s19
	v_add_u32_e32 v0, v1, v0
	v_lshrrev_b32_e32 v0, s24, v0
	v_cmp_gt_i32_e32 vcc, s13, v0
	s_and_b64 exec, exec, vcc
	s_cbranch_execz .LBB114_52
; %bb.51:
	v_add_u32_e32 v4, v4, v3
	v_add_u32_e32 v8, 48, v4
	ds_read2st64_b32 v[4:5], v8 offset0:36 offset1:37
	ds_read2st64_b32 v[6:7], v8 offset0:38 offset1:39
	v_mul_lo_u32 v9, v0, s25
	v_sub_u32_e32 v1, v1, v9
	ds_read2st64_b32 v[8:9], v8 offset0:40 offset1:41
	s_waitcnt lgkmcnt(2)
	v_add_f32_e32 v4, 0, v4
	v_add_f32_e32 v4, v4, v5
	s_waitcnt lgkmcnt(1)
	v_add_f32_e32 v4, v4, v6
	v_add_f32_e32 v4, v4, v7
	v_mul_lo_u32 v1, v1, s10
	v_mul_lo_u32 v0, v0, s21
	v_readlane_b32 s2, v118, 0
	s_waitcnt lgkmcnt(0)
	v_add_f32_e32 v4, v4, v8
	v_add3_u32 v0, v2, v0, v1
	v_mov_b32_e32 v1, v17
	v_readlane_b32 s3, v118, 1
	v_add_f32_e32 v4, v4, v9
	s_nop 0
	v_lshl_add_u64 v[0:1], v[0:1], 2, s[2:3]
	global_store_dword v[0:1], v4, off
.LBB114_52:
	s_or_b64 exec, exec, s[0:1]
	v_cmp_eq_u32_e32 vcc, 0, v16
	s_and_saveexec_b64 s[0:1], vcc
	s_cbranch_execz .LBB114_56
; %bb.53:
	s_add_i32 s0, s28, 12
	s_cmp_ge_i32 s0, s26
	s_cselect_b64 s[0:1], -1, 0
	s_xor_b64 s[2:3], s[6:7], -1
	s_or_b64 s[0:1], s[2:3], s[0:1]
	s_and_b64 vcc, exec, s[0:1]
	s_cbranch_vccnz .LBB114_56
; %bb.54:
	s_ashr_i32 s29, s28, 31
	s_lshl_b64 s[0:1], s[28:29], 2
	s_add_u32 s0, s4, s0
	s_addc_u32 s1, s5, s1
	s_load_dword s1, s[0:1], 0x30
	s_waitcnt lgkmcnt(0)
	s_mul_hi_u32 s0, s1, s19
	s_add_i32 s0, s1, s0
	s_lshr_b32 s0, s0, s24
	s_cmp_ge_i32 s0, s13
	s_cbranch_scc1 .LBB114_56
; %bb.55:
	v_add_u32_e32 v3, 0x60, v3
	ds_read2st64_b32 v[0:1], v3 offset0:72 offset1:73
	ds_read2st64_b32 v[4:5], v3 offset0:74 offset1:75
	;; [unrolled: 1-line block ×3, first 2 shown]
	s_mul_i32 s2, s0, s25
	s_sub_i32 s1, s1, s2
	s_mul_i32 s1, s1, s10
	s_waitcnt lgkmcnt(2)
	v_add_f32_e32 v0, 0, v0
	v_add_f32_e32 v0, v0, v1
	s_waitcnt lgkmcnt(1)
	v_add_f32_e32 v0, v0, v4
	v_add_f32_e32 v0, v0, v5
	s_mul_i32 s0, s0, s21
	s_waitcnt lgkmcnt(0)
	v_add_f32_e32 v0, v0, v6
	s_add_i32 s1, s1, s0
	v_add_f32_e32 v3, v0, v7
	v_add_u32_e32 v0, s1, v2
	v_readlane_b32 s0, v118, 0
	v_mov_b32_e32 v1, 0
	v_readlane_b32 s1, v118, 1
	s_nop 1
	v_lshl_add_u64 v[0:1], v[0:1], 2, s[0:1]
	global_store_dword v[0:1], v3, off
.LBB114_56:
	s_endpgm
	.section	.rodata,"a",@progbits
	.p2align	6, 0x0
	.amdhsa_kernel _ZL13mul_mat_f_idsI7__half2Li64ELi13ELi6EEvPKT_PKfPKiS7_S7_Pfiiiiiiiiiiiiii15HIP_vector_typeIjLj3EESA_
		.amdhsa_group_segment_fixed_size 0
		.amdhsa_private_segment_fixed_size 0
		.amdhsa_kernarg_size 128
		.amdhsa_user_sgpr_count 2
		.amdhsa_user_sgpr_dispatch_ptr 0
		.amdhsa_user_sgpr_queue_ptr 0
		.amdhsa_user_sgpr_kernarg_segment_ptr 1
		.amdhsa_user_sgpr_dispatch_id 0
		.amdhsa_user_sgpr_kernarg_preload_length 0
		.amdhsa_user_sgpr_kernarg_preload_offset 0
		.amdhsa_user_sgpr_private_segment_size 0
		.amdhsa_uses_dynamic_stack 0
		.amdhsa_enable_private_segment 0
		.amdhsa_system_sgpr_workgroup_id_x 1
		.amdhsa_system_sgpr_workgroup_id_y 1
		.amdhsa_system_sgpr_workgroup_id_z 1
		.amdhsa_system_sgpr_workgroup_info 0
		.amdhsa_system_vgpr_workitem_id 1
		.amdhsa_next_free_vgpr 119
		.amdhsa_next_free_sgpr 100
		.amdhsa_accum_offset 120
		.amdhsa_reserve_vcc 1
		.amdhsa_float_round_mode_32 0
		.amdhsa_float_round_mode_16_64 0
		.amdhsa_float_denorm_mode_32 3
		.amdhsa_float_denorm_mode_16_64 3
		.amdhsa_dx10_clamp 1
		.amdhsa_ieee_mode 1
		.amdhsa_fp16_overflow 0
		.amdhsa_tg_split 0
		.amdhsa_exception_fp_ieee_invalid_op 0
		.amdhsa_exception_fp_denorm_src 0
		.amdhsa_exception_fp_ieee_div_zero 0
		.amdhsa_exception_fp_ieee_overflow 0
		.amdhsa_exception_fp_ieee_underflow 0
		.amdhsa_exception_fp_ieee_inexact 0
		.amdhsa_exception_int_div_zero 0
	.end_amdhsa_kernel
	.section	.text._ZL13mul_mat_f_idsI7__half2Li64ELi13ELi6EEvPKT_PKfPKiS7_S7_Pfiiiiiiiiiiiiii15HIP_vector_typeIjLj3EESA_,"axG",@progbits,_ZL13mul_mat_f_idsI7__half2Li64ELi13ELi6EEvPKT_PKfPKiS7_S7_Pfiiiiiiiiiiiiii15HIP_vector_typeIjLj3EESA_,comdat
.Lfunc_end114:
	.size	_ZL13mul_mat_f_idsI7__half2Li64ELi13ELi6EEvPKT_PKfPKiS7_S7_Pfiiiiiiiiiiiiii15HIP_vector_typeIjLj3EESA_, .Lfunc_end114-_ZL13mul_mat_f_idsI7__half2Li64ELi13ELi6EEvPKT_PKfPKiS7_S7_Pfiiiiiiiiiiiiii15HIP_vector_typeIjLj3EESA_
                                        ; -- End function
	.set _ZL13mul_mat_f_idsI7__half2Li64ELi13ELi6EEvPKT_PKfPKiS7_S7_Pfiiiiiiiiiiiiii15HIP_vector_typeIjLj3EESA_.num_vgpr, 119
	.set _ZL13mul_mat_f_idsI7__half2Li64ELi13ELi6EEvPKT_PKfPKiS7_S7_Pfiiiiiiiiiiiiii15HIP_vector_typeIjLj3EESA_.num_agpr, 0
	.set _ZL13mul_mat_f_idsI7__half2Li64ELi13ELi6EEvPKT_PKfPKiS7_S7_Pfiiiiiiiiiiiiii15HIP_vector_typeIjLj3EESA_.numbered_sgpr, 100
	.set _ZL13mul_mat_f_idsI7__half2Li64ELi13ELi6EEvPKT_PKfPKiS7_S7_Pfiiiiiiiiiiiiii15HIP_vector_typeIjLj3EESA_.num_named_barrier, 0
	.set _ZL13mul_mat_f_idsI7__half2Li64ELi13ELi6EEvPKT_PKfPKiS7_S7_Pfiiiiiiiiiiiiii15HIP_vector_typeIjLj3EESA_.private_seg_size, 0
	.set _ZL13mul_mat_f_idsI7__half2Li64ELi13ELi6EEvPKT_PKfPKiS7_S7_Pfiiiiiiiiiiiiii15HIP_vector_typeIjLj3EESA_.uses_vcc, 1
	.set _ZL13mul_mat_f_idsI7__half2Li64ELi13ELi6EEvPKT_PKfPKiS7_S7_Pfiiiiiiiiiiiiii15HIP_vector_typeIjLj3EESA_.uses_flat_scratch, 0
	.set _ZL13mul_mat_f_idsI7__half2Li64ELi13ELi6EEvPKT_PKfPKiS7_S7_Pfiiiiiiiiiiiiii15HIP_vector_typeIjLj3EESA_.has_dyn_sized_stack, 0
	.set _ZL13mul_mat_f_idsI7__half2Li64ELi13ELi6EEvPKT_PKfPKiS7_S7_Pfiiiiiiiiiiiiii15HIP_vector_typeIjLj3EESA_.has_recursion, 0
	.set _ZL13mul_mat_f_idsI7__half2Li64ELi13ELi6EEvPKT_PKfPKiS7_S7_Pfiiiiiiiiiiiiii15HIP_vector_typeIjLj3EESA_.has_indirect_call, 0
	.section	.AMDGPU.csdata,"",@progbits
; Kernel info:
; codeLenInByte = 6800
; TotalNumSgprs: 106
; NumVgprs: 119
; NumAgprs: 0
; TotalNumVgprs: 119
; ScratchSize: 0
; MemoryBound: 0
; FloatMode: 240
; IeeeMode: 1
; LDSByteSize: 0 bytes/workgroup (compile time only)
; SGPRBlocks: 13
; VGPRBlocks: 14
; NumSGPRsForWavesPerEU: 106
; NumVGPRsForWavesPerEU: 119
; AccumOffset: 120
; Occupancy: 4
; WaveLimiterHint : 1
; COMPUTE_PGM_RSRC2:SCRATCH_EN: 0
; COMPUTE_PGM_RSRC2:USER_SGPR: 2
; COMPUTE_PGM_RSRC2:TRAP_HANDLER: 0
; COMPUTE_PGM_RSRC2:TGID_X_EN: 1
; COMPUTE_PGM_RSRC2:TGID_Y_EN: 1
; COMPUTE_PGM_RSRC2:TGID_Z_EN: 1
; COMPUTE_PGM_RSRC2:TIDIG_COMP_CNT: 1
; COMPUTE_PGM_RSRC3_GFX90A:ACCUM_OFFSET: 29
; COMPUTE_PGM_RSRC3_GFX90A:TG_SPLIT: 0
	.section	.text._ZL9mul_mat_fI7__half2Li64ELi13ELi6ELb1EEvPKT_PKfPKiPfiiiiiiiiiiiiiiii,"axG",@progbits,_ZL9mul_mat_fI7__half2Li64ELi13ELi6ELb1EEvPKT_PKfPKiPfiiiiiiiiiiiiiiii,comdat
	.globl	_ZL9mul_mat_fI7__half2Li64ELi13ELi6ELb1EEvPKT_PKfPKiPfiiiiiiiiiiiiiiii ; -- Begin function _ZL9mul_mat_fI7__half2Li64ELi13ELi6ELb1EEvPKT_PKfPKiPfiiiiiiiiiiiiiiii
	.p2align	8
	.type	_ZL9mul_mat_fI7__half2Li64ELi13ELi6ELb1EEvPKT_PKfPKiPfiiiiiiiiiiiiiiii,@function
_ZL9mul_mat_fI7__half2Li64ELi13ELi6ELb1EEvPKT_PKfPKiPfiiiiiiiiiiiiiiii: ; @_ZL9mul_mat_fI7__half2Li64ELi13ELi6ELb1EEvPKT_PKfPKiPfiiiiiiiiiiiiiiii
; %bb.0:
	s_load_dwordx8 s[40:47], s[0:1], 0x20
	s_mov_b32 s22, s4
	v_and_b32_e32 v16, 0x3ff, v0
	v_bfe_u32 v17, v0, 10, 10
	s_waitcnt lgkmcnt(0)
	s_add_i32 s4, s41, 12
	s_mul_hi_i32 s4, s4, 0x4ec4ec4f
	s_lshr_b32 s5, s4, 31
	s_ashr_i32 s4, s4, 2
	s_add_i32 s4, s4, s5
	v_cvt_f32_u32_e32 v1, s4
	s_load_dword s5, s[0:1], 0x64
	s_add_u32 s12, s0, 0x60
	s_addc_u32 s13, s1, 0
	v_rcp_iflag_f32_e32 v1, v1
	s_sub_i32 s6, 0, s4
	s_load_dwordx4 s[48:51], s[0:1], 0x44
	s_load_dwordx2 s[8:9], s[0:1], 0x10
	v_mul_f32_e32 v1, 0x4f7ffffe, v1
	v_cvt_u32_f32_e32 v1, v1
	v_mul_lo_u32 v2, s6, v1
	v_mul_hi_u32 v2, v1, v2
	v_add_u32_e32 v1, v1, v2
	s_waitcnt lgkmcnt(0)
	v_mul_hi_u32 v1, s5, v1
	v_mul_lo_u32 v2, v1, s4
	v_sub_u32_e32 v2, s5, v2
	v_add_u32_e32 v3, 1, v1
	v_subrev_u32_e32 v4, s4, v2
	v_cmp_le_u32_e32 vcc, s4, v2
	s_nop 1
	v_cndmask_b32_e32 v1, v1, v3, vcc
	v_cndmask_b32_e32 v2, v2, v4, vcc
	v_add_u32_e32 v3, 1, v1
	v_cmp_le_u32_e32 vcc, s4, v2
	s_abs_i32 s4, s51
	s_nop 0
	v_cndmask_b32_e32 v1, v1, v3, vcc
	v_cvt_f32_u32_e32 v2, v1
	v_cvt_f32_u32_e32 v3, s4
	v_sub_u32_e32 v4, 0, v1
	v_cmp_eq_u32_e32 vcc, 0, v16
	v_rcp_iflag_f32_e32 v2, v2
	v_rcp_iflag_f32_e32 v3, v3
	v_mul_f32_e32 v2, 0x4f7ffffe, v2
	v_cvt_u32_f32_e32 v2, v2
	v_mul_lo_u32 v4, v4, v2
	v_mul_hi_u32 v4, v2, v4
	v_add_u32_e32 v2, v2, v4
	v_mul_hi_u32 v2, s3, v2
	s_and_saveexec_b64 s[6:7], vcc
; %bb.1:
	v_mov_b32_e32 v4, 0x100
	v_lshl_add_u32 v4, v17, 2, v4
	v_mov_b32_e32 v5, -1
	ds_write_b32 v4, v5
; %bb.2:
	s_or_b64 exec, exec, s[6:7]
	v_mul_f32_e32 v8, 0x4f7ffffe, v3
	v_mul_lo_u32 v3, v2, v1
	v_sub_u32_e32 v3, s3, v3
	v_add_u32_e32 v4, 1, v2
	v_sub_u32_e32 v5, v3, v1
	v_cmp_ge_u32_e64 s[6:7], v3, v1
	s_nop 1
	v_cndmask_b32_e64 v2, v2, v4, s[6:7]
	v_cndmask_b32_e64 v3, v3, v5, s[6:7]
	v_add_u32_e32 v4, 1, v2
	v_cmp_ge_u32_e64 s[6:7], v3, v1
	s_nop 1
	v_cndmask_b32_e64 v2, v2, v4, s[6:7]
	v_mul_lo_u32 v94, v2, 13
	v_mul_lo_u32 v1, v2, v1
	v_mul_hi_i32 v3, v94, s47
	v_mul_lo_u32 v2, v94, s47
	v_sub_u32_e32 v18, s3, v1
	v_lshlrev_b64 v[2:3], 2, v[2:3]
	v_add_u32_e32 v1, v17, v94
	v_lshl_add_u64 v[2:3], s[8:9], 0, v[2:3]
	v_cmp_gt_i32_e64 s[6:7], s42, v16
	v_cmp_gt_i32_e64 s[24:25], s41, v1
	v_mov_b32_e32 v1, 0
	s_and_saveexec_b64 s[14:15], s[24:25]
	s_cbranch_execz .LBB115_10
; %bb.3:
	v_mov_b32_e32 v1, 0
	s_and_saveexec_b64 s[16:17], s[6:7]
	s_cbranch_execz .LBB115_9
; %bb.4:
	v_mul_lo_u32 v4, v17, s47
	v_ashrrev_i32_e32 v5, 31, v4
	v_mov_b32_e32 v1, 0x100
	v_lshl_add_u64 v[4:5], v[4:5], 2, v[2:3]
	v_lshl_add_u32 v9, v17, 2, v1
	v_mul_lo_u32 v6, v16, s46
	s_lshl_b32 s3, s46, 6
	v_mov_b32_e32 v1, 0
	s_mov_b64 s[18:19], 0
	v_mov_b32_e32 v10, v16
	s_branch .LBB115_6
.LBB115_5:                              ;   in Loop: Header=BB115_6 Depth=1
	s_or_b64 exec, exec, s[20:21]
	v_add_u32_e32 v10, 64, v10
	v_cmp_le_i32_e64 s[10:11], s42, v10
	s_xor_b64 s[8:9], s[8:9], -1
	s_or_b64 s[8:9], s[8:9], s[10:11]
	s_and_b64 s[8:9], exec, s[8:9]
	s_or_b64 s[18:19], s[8:9], s[18:19]
	v_add_u32_e32 v6, s3, v6
	s_andn2_b64 exec, exec, s[18:19]
	s_cbranch_execz .LBB115_8
.LBB115_6:                              ; =>This Inner Loop Header: Depth=1
	v_ashrrev_i32_e32 v7, 31, v6
	v_lshl_add_u64 v[12:13], v[6:7], 2, v[4:5]
	global_load_dword v7, v[12:13], off
	s_waitcnt vmcnt(0)
	v_cmp_ne_u32_e64 s[8:9], v7, v18
	v_cmp_eq_u32_e64 s[10:11], v7, v18
	s_and_saveexec_b64 s[20:21], s[10:11]
	s_cbranch_execz .LBB115_5
; %bb.7:                                ;   in Loop: Header=BB115_6 Depth=1
	v_mov_b32_e32 v1, 1
	ds_write_b32 v9, v10
	s_branch .LBB115_5
.LBB115_8:
	s_or_b64 exec, exec, s[18:19]
.LBB115_9:
	s_or_b64 exec, exec, s[16:17]
.LBB115_10:
	s_or_b64 exec, exec, s[14:15]
	v_cvt_u32_f32_e32 v8, v8
	s_sub_i32 s3, 0, s4
	s_and_saveexec_b64 s[8:9], vcc
; %bb.11:
	v_mov_b32_e32 v4, 0x100
	v_lshl_add_u32 v4, v17, 2, v4
	v_mov_b32_e32 v5, -1
	ds_write_b32 v4, v5 offset:24
; %bb.12:
	s_or_b64 exec, exec, s[8:9]
	v_add_u32_e32 v95, 6, v17
	v_mul_lo_u32 v9, s3, v8
	v_add_u32_e32 v4, v95, v94
	v_cmp_gt_i32_e64 s[8:9], s41, v4
	s_mov_b64 s[14:15], exec
                                        ; implicit-def: $vgpr109 : SGPR spill to VGPR lane
	s_nop 0
	v_writelane_b32 v109, s8, 0
	s_nop 1
	v_writelane_b32 v109, s9, 1
	s_and_b64 s[8:9], s[14:15], s[8:9]
	s_mov_b64 exec, s[8:9]
	s_cbranch_execz .LBB115_20
; %bb.13:
	s_and_saveexec_b64 s[16:17], s[6:7]
	s_cbranch_execz .LBB115_19
; %bb.14:
	v_mul_lo_u32 v4, v95, s47
	v_ashrrev_i32_e32 v5, 31, v4
	v_mov_b32_e32 v6, 0x100
	v_lshl_add_u64 v[4:5], v[4:5], 2, v[2:3]
	v_lshl_add_u32 v10, v17, 2, v6
	v_mul_lo_u32 v6, v16, s46
	s_lshl_b32 s3, s46, 6
	s_mov_b64 s[18:19], 0
	v_mov_b32_e32 v11, v16
	s_branch .LBB115_16
.LBB115_15:                             ;   in Loop: Header=BB115_16 Depth=1
	s_or_b64 exec, exec, s[20:21]
	v_add_u32_e32 v11, 64, v11
	v_cmp_le_i32_e64 s[10:11], s42, v11
	s_xor_b64 s[8:9], s[8:9], -1
	s_or_b64 s[8:9], s[8:9], s[10:11]
	s_and_b64 s[8:9], exec, s[8:9]
	s_or_b64 s[18:19], s[8:9], s[18:19]
	v_add_u32_e32 v6, s3, v6
	s_andn2_b64 exec, exec, s[18:19]
	s_cbranch_execz .LBB115_18
.LBB115_16:                             ; =>This Inner Loop Header: Depth=1
	v_ashrrev_i32_e32 v7, 31, v6
	v_lshl_add_u64 v[12:13], v[6:7], 2, v[4:5]
	global_load_dword v7, v[12:13], off
	s_waitcnt vmcnt(0)
	v_cmp_ne_u32_e64 s[8:9], v7, v18
	v_cmp_eq_u32_e64 s[10:11], v7, v18
	s_and_saveexec_b64 s[20:21], s[10:11]
	s_cbranch_execz .LBB115_15
; %bb.17:                               ;   in Loop: Header=BB115_16 Depth=1
	v_mov_b32_e32 v1, 1
	ds_write_b32 v10, v11 offset:24
	s_branch .LBB115_15
.LBB115_18:
	s_or_b64 exec, exec, s[18:19]
.LBB115_19:
	s_or_b64 exec, exec, s[16:17]
.LBB115_20:
	s_or_b64 exec, exec, s[14:15]
	v_mul_hi_u32 v4, v8, v9
	s_and_saveexec_b64 s[8:9], vcc
; %bb.21:
	v_mov_b32_e32 v5, 0x100
	v_lshl_add_u32 v5, v17, 2, v5
	v_mov_b32_e32 v6, -1
	ds_write_b32 v5, v6 offset:48
; %bb.22:
	s_or_b64 exec, exec, s[8:9]
	s_load_dwordx4 s[28:31], s[0:1], 0x54
	v_add_u32_e32 v6, v8, v4
	v_add_u32_e32 v4, 12, v17
	s_abs_i32 s3, s22
	v_add_u32_e32 v5, v4, v94
	v_cmp_gt_i32_e64 s[10:11], s41, v5
	s_mov_b64 s[8:9], exec
	s_nop 0
	v_writelane_b32 v109, s10, 2
	s_nop 1
	v_writelane_b32 v109, s11, 3
	s_and_b64 s[10:11], s[8:9], s[10:11]
	s_mov_b64 exec, s[10:11]
	s_cbranch_execz .LBB115_30
; %bb.23:
	s_and_saveexec_b64 s[10:11], s[6:7]
	s_cbranch_execz .LBB115_29
; %bb.24:
	v_mul_lo_u32 v4, v4, s47
	v_ashrrev_i32_e32 v5, 31, v4
	v_lshl_add_u64 v[2:3], v[4:5], 2, v[2:3]
	v_mov_b32_e32 v4, 0x100
	v_lshl_add_u32 v7, v17, 2, v4
	v_mul_lo_u32 v4, v16, s46
	s_lshl_b32 s5, s46, 6
	s_mov_b64 s[14:15], 0
	v_mov_b32_e32 v8, v16
	s_branch .LBB115_26
.LBB115_25:                             ;   in Loop: Header=BB115_26 Depth=1
	s_or_b64 exec, exec, s[16:17]
	v_add_u32_e32 v8, 64, v8
	v_cmp_le_i32_e64 s[6:7], s42, v8
	s_xor_b64 s[16:17], vcc, -1
	s_or_b64 s[6:7], s[16:17], s[6:7]
	s_and_b64 s[6:7], exec, s[6:7]
	s_or_b64 s[14:15], s[6:7], s[14:15]
	v_add_u32_e32 v4, s5, v4
	s_andn2_b64 exec, exec, s[14:15]
	s_cbranch_execz .LBB115_28
.LBB115_26:                             ; =>This Inner Loop Header: Depth=1
	v_ashrrev_i32_e32 v5, 31, v4
	v_lshl_add_u64 v[10:11], v[4:5], 2, v[2:3]
	global_load_dword v5, v[10:11], off
	s_waitcnt vmcnt(0)
	v_cmp_ne_u32_e32 vcc, v5, v18
	v_cmp_eq_u32_e64 s[6:7], v5, v18
	s_and_saveexec_b64 s[16:17], s[6:7]
	s_cbranch_execz .LBB115_25
; %bb.27:                               ;   in Loop: Header=BB115_26 Depth=1
	v_mov_b32_e32 v1, 1
	ds_write_b32 v7, v8 offset:48
	s_branch .LBB115_25
.LBB115_28:
	s_or_b64 exec, exec, s[14:15]
.LBB115_29:
	s_or_b64 exec, exec, s[10:11]
.LBB115_30:
	s_or_b64 exec, exec, s[8:9]
	s_load_dwordx2 s[6:7], s[12:13], 0xc
	s_load_dwordx2 s[8:9], s[0:1], 0x8
	;; [unrolled: 1-line block ×3, first 2 shown]
	v_or_b32_dpp v1, v1, v1 row_shl:1 row_mask:0xf bank_mask:0xf bound_ctrl:1
	v_mul_hi_u32 v19, s3, v6
	s_waitcnt lgkmcnt(0)
	s_and_b32 s5, s7, 0xffff
	s_lshr_b32 s7, s6, 16
	v_writelane_b32 v109, s10, 4
	s_and_b32 s6, s6, 0xffff
	v_or_b32_dpp v1, v1, v1 row_shl:2 row_mask:0xf bank_mask:0xf bound_ctrl:1
	v_writelane_b32 v109, s11, 5
	s_mul_i32 s10, s7, s6
	v_or_b32_dpp v1, v1, v1 row_shl:4 row_mask:0xf bank_mask:0xf bound_ctrl:1
	s_bfe_i32 s10, s10, 0x180000
	s_mul_i32 s5, s10, s5
	v_or_b32_dpp v1, v1, v1 row_shl:8 row_mask:0xf bank_mask:0xf bound_ctrl:1
	s_add_i32 s10, s5, 63
	s_bitcmp1_b32 exec_hi, 0
	v_mov_b32_dpp v2, v1 wave_shl:1 row_mask:0xf bank_mask:0xf bound_ctrl:1
                                        ; kill: killed $sgpr12 killed $sgpr13
	s_nop 1
	v_or_b32_dpp v1, v2, v1 row_mirror row_mask:0xf bank_mask:0xf bound_ctrl:1
	s_nop 0
	v_readlane_b32 s5, v1, 32
	s_cselect_b32 s5, s5, 0
	v_readlane_b32 s11, v1, 0
	s_or_b32 s5, s5, s11
	s_andn2_b32 s10, s10, 63
	s_cmp_lg_u32 s10, 64
	v_mov_b32_e32 v1, s5
	s_cbranch_scc0 .LBB115_37
; %bb.31:
	v_bfe_u32 v0, v0, 20, 10
	v_mbcnt_lo_u32_b32 v1, -1, 0
	v_mad_u32_u24 v0, v0, s7, v17
	v_mbcnt_hi_u32_b32 v2, -1, v1
	v_mad_u64_u32 v[0:1], s[6:7], v0, s6, v[16:17]
	v_lshrrev_b32_e32 v1, 6, v0
	v_or_b32_e32 v1, v2, v1
	v_cmp_eq_u32_e32 vcc, 0, v1
	s_and_saveexec_b64 s[6:7], vcc
; %bb.32:
	v_mov_b32_e32 v1, 0
	v_mov_b32_e32 v3, s5
	ds_write_b32 v1, v3
; %bb.33:
	s_or_b64 exec, exec, s[6:7]
	v_cmp_eq_u32_e32 vcc, 0, v2
	v_cmp_lt_u32_e64 s[6:7], 63, v0
	s_and_b64 s[10:11], s[6:7], vcc
	s_waitcnt lgkmcnt(0)
	s_barrier
	s_and_saveexec_b64 s[6:7], s[10:11]
	s_cbranch_execz .LBB115_36
; %bb.34:
	v_mbcnt_lo_u32_b32 v0, exec_lo, 0
	v_mbcnt_hi_u32_b32 v0, exec_hi, v0
	v_cmp_eq_u32_e32 vcc, 0, v0
	s_and_b64 exec, exec, vcc
; %bb.35:
	v_mov_b32_e32 v0, 0
	v_mov_b32_e32 v1, s5
	ds_or_b32 v0, v1
.LBB115_36:
	s_or_b64 exec, exec, s[6:7]
	v_mov_b32_e32 v0, 0
	s_waitcnt lgkmcnt(0)
	s_barrier
	ds_read_b32 v1, v0
	s_waitcnt lgkmcnt(0)
	s_barrier
.LBB115_37:
	s_load_dwordx2 s[6:7], s[0:1], 0x0
	v_cmp_ne_u32_e32 vcc, 0, v1
	s_ashr_i32 s5, s22, 31
	s_ashr_i32 s10, s51, 31
	s_cbranch_vccz .LBB115_107
; %bb.38:
	v_lshlrev_b32_e32 v96, 6, v17
	v_add_u32_e32 v98, v96, v16
	v_cmp_le_i32_e32 vcc, s40, v98
	v_and_b32_e32 v97, 15, v16
	s_and_saveexec_b64 s[0:1], vcc
	s_xor_b64 s[0:1], exec, s[0:1]
; %bb.39:
	v_and_b32_e32 v97, 15, v16
                                        ; implicit-def: $vgpr98
                                        ; implicit-def: $vgpr19
                                        ; implicit-def: $vgpr18
; %bb.40:
	s_or_saveexec_b64 s[0:1], s[0:1]
	v_mov_b32_e32 v7, 0
	s_lshl_b32 s11, s2, 6
	v_mov_b32_e32 v6, v7
	v_mov_b32_e32 v5, v7
	;; [unrolled: 1-line block ×15, first 2 shown]
	v_writelane_b32 v109, s0, 6
	s_nop 1
	v_writelane_b32 v109, s1, 7
	s_xor_b64 exec, exec, s[0:1]
	s_cbranch_execz .LBB115_96
; %bb.41:
	v_mul_lo_u32 v0, v19, s4
	v_sub_u32_e32 v0, s3, v0
	v_add_u32_e32 v1, 1, v19
	v_subrev_u32_e32 v2, s4, v0
	v_cmp_le_u32_e32 vcc, s4, v0
	s_xor_b32 s0, s5, s10
	v_writelane_b32 v109, s24, 8
	v_cndmask_b32_e32 v1, v19, v1, vcc
	v_cndmask_b32_e32 v0, v0, v2, vcc
	v_add_u32_e32 v2, 1, v1
	v_cmp_le_u32_e32 vcc, s4, v0
	v_writelane_b32 v109, s25, 9
	v_writelane_b32 v109, s11, 10
	v_cndmask_b32_e32 v0, v1, v2, vcc
	v_xor_b32_e32 v0, s0, v0
	v_subrev_u32_e32 v0, s0, v0
	s_mul_i32 s0, s43, s11
	v_mul_hi_i32 v1, v0, s28
	v_mul_lo_u32 v0, v0, s28
	v_mul_lo_u32 v2, v18, s48
	s_ashr_i32 s1, s0, 31
	v_ashrrev_i32_e32 v3, 31, v2
	v_lshlrev_b64 v[0:1], 2, v[0:1]
	s_lshl_b64 s[2:3], s[0:1], 2
	s_movk_i32 s0, 0x1080
	v_mov_b32_e32 v99, 0x100
	v_writelane_b32 v109, s22, 11
	s_waitcnt lgkmcnt(0)
	v_lshl_add_u64 v[4:5], s[6:7], 0, v[0:1]
	v_lshlrev_b64 v[2:3], 2, v[2:3]
	v_mad_u32_u24 v6, v17, s0, v99
	s_mul_hi_i32 s1, s29, s22
	v_writelane_b32 v109, s28, 12
	s_mul_i32 s0, s29, s22
	v_lshl_add_u64 v[4:5], v[4:5], 0, v[2:3]
	s_lshl_b64 s[0:1], s[0:1], 2
	v_lshl_add_u64 v[18:19], v[4:5], 0, s[2:3]
	v_writelane_b32 v109, s29, 13
	v_mul_hi_i32 v5, s44, v94
	v_mul_lo_u32 v4, s44, v94
	s_add_u32 s0, s8, s0
	v_writelane_b32 v109, s30, 14
	v_lshlrev_b64 v[4:5], 3, v[4:5]
	s_addc_u32 s1, s9, s1
	v_writelane_b32 v109, s31, 15
	v_lshl_add_u64 v[20:21], s[0:1], 0, v[4:5]
	s_lshl_b32 s0, s44, 3
	v_writelane_b32 v109, s0, 16
	s_mul_i32 s0, s44, 6
	v_writelane_b32 v109, s0, 17
	s_lshl_b32 s0, s44, 4
	v_writelane_b32 v109, s0, 18
	s_mul_i32 s0, s44, 10
	v_writelane_b32 v109, s0, 19
	s_mul_i32 s0, s44, 12
	s_ashr_i32 s9, s43, 31
	s_mov_b32 s8, s43
	v_writelane_b32 v109, s0, 20
	v_lshl_add_u64 v[0:1], v[0:1], 0, s[2:3]
	s_lshl_b64 s[2:3], s[8:9], 2
	s_mul_i32 s8, s44, 24
	v_writelane_b32 v109, s8, 21
	s_mul_i32 s8, s44, 22
	v_lshrrev_b32_e32 v5, 1, v16
	v_lshl_add_u64 v[0:1], v[0:1], 0, v[2:3]
	v_writelane_b32 v109, s8, 22
	s_mul_i32 s8, s44, 20
	v_mul_u32_u24_e32 v4, 0x108, v97
	v_and_b32_e32 v5, 0x1f8, v5
	v_add_u32_e32 v26, 1, v94
	v_add_u32_e32 v27, 2, v94
	s_lshl_b32 s42, s44, 2
	v_add_u32_e32 v28, 3, v94
	v_add_u32_e32 v29, 4, v94
	;; [unrolled: 1-line block ×10, first 2 shown]
	v_lshl_add_u64 v[0:1], s[6:7], 0, v[0:1]
	v_lshlrev_b32_e32 v2, 1, v16
	v_lshlrev_b32_e32 v22, 2, v98
	v_mov_b32_e32 v23, 0
	v_writelane_b32 v109, s8, 23
	s_mul_i32 s8, s44, 18
	v_lshl_add_u32 v100, v16, 2, v6
	v_add3_u32 v101, v6, v4, v5
	s_add_i32 s56, s43, s43
	s_mul_i32 s57, s43, 3
	s_lshl_b32 s58, s43, 2
	s_mul_i32 s59, s43, 5
	s_mul_i32 s60, s43, 6
	;; [unrolled: 1-line block ×3, first 2 shown]
	s_lshl_b32 s62, s43, 3
	s_mul_i32 s63, s43, 9
	s_mul_i32 s64, s43, 10
	;; [unrolled: 1-line block ×7, first 2 shown]
	s_lshl_b32 s70, s43, 4
	s_mul_i32 s71, s43, 17
	s_mul_i32 s72, s43, 18
	;; [unrolled: 1-line block ×15, first 2 shown]
	s_lshl_b32 s86, s43, 5
	s_mul_i32 s87, s43, 33
	s_mul_i32 s88, s43, 34
	;; [unrolled: 1-line block ×17, first 2 shown]
	v_cmp_gt_i32_e64 s[6:7], s41, v94
	s_mul_i32 s37, s43, 50
	s_mul_i32 s46, s43, 51
	v_lshl_add_u32 v102, v17, 7, v2
	v_lshl_add_u64 v[24:25], v[0:1], 0, v[22:23]
	v_mov_b32_e32 v12, 0
	v_mov_b32_e32 v13, v23
	;; [unrolled: 1-line block ×16, first 2 shown]
	s_mul_i32 s47, s43, 52
	s_mul_i32 s34, s43, 53
	;; [unrolled: 1-line block ×12, first 2 shown]
	v_writelane_b32 v109, s8, 24
	s_mul_i32 s55, s44, 14
	s_lshl_b32 s44, s44, 1
	v_cmp_gt_i32_e64 s[8:9], s41, v26
	v_cmp_gt_i32_e64 s[10:11], s41, v27
	;; [unrolled: 1-line block ×12, first 2 shown]
	s_mov_b32 s41, s42
	s_mov_b64 s[42:43], 0
	s_branch .LBB115_44
.LBB115_42:                             ;   in Loop: Header=BB115_44 Depth=1
	v_mul_lo_u32 v22, v22, s49
	v_readlane_b32 vcc_lo, v109, 21
	s_nop 1
	v_add_u32_e32 v22, vcc_lo, v22
	v_add_u32_e32 v90, v22, v102
	v_ashrrev_i32_e32 v91, 31, v90
	v_lshl_add_u64 v[90:91], v[90:91], 2, v[20:21]
	global_load_dwordx2 v[90:91], v[90:91], off
.LBB115_43:                             ;   in Loop: Header=BB115_44 Depth=1
	s_waitcnt vmcnt(0)
	v_cvt_pk_f16_f32 v22, v90, v91
	v_add_u32_e32 v90, 0xc00, v100
	ds_write2_b32 v90, v22, v23 offset0:40 offset1:106
	ds_write2_b32 v90, v23, v23 offset0:172 offset1:238
	ds_read2_b64 v[90:93], v101 offset0:8 offset1:12
	v_add_u32_e32 v98, 0x180, v98
	s_mov_b64 vcc, 0x600
	v_lshl_add_u64 v[24:25], v[24:25], 0, vcc
	s_waitcnt lgkmcnt(0)
	v_mfma_f32_16x16x16_f16 v[0:3], v[58:59], v[90:91], v[0:3]
	v_cmp_le_i32_e32 vcc, s40, v98
	v_add_u32_e32 v102, 0x300, v102
	s_or_b64 s[42:43], vcc, s[42:43]
	v_mfma_f32_16x16x16_f16 v[4:7], v[42:43], v[90:91], v[4:7]
	v_mfma_f32_16x16x16_f16 v[8:11], v[74:75], v[90:91], v[8:11]
	v_mfma_f32_16x16x16_f16 v[12:15], v[88:89], v[90:91], v[12:15]
	v_mfma_f32_16x16x16_f16 v[0:3], v[56:57], v[92:93], v[0:3]
	ds_read2_b64 v[56:59], v101 offset0:16 offset1:20
	v_mfma_f32_16x16x16_f16 v[4:7], v[38:39], v[92:93], v[4:7]
	v_mfma_f32_16x16x16_f16 v[8:11], v[72:73], v[92:93], v[8:11]
	v_mfma_f32_16x16x16_f16 v[12:15], v[86:87], v[92:93], v[12:15]
	s_waitcnt lgkmcnt(0)
	v_mfma_f32_16x16x16_f16 v[4:7], v[36:37], v[56:57], v[4:7]
	v_mfma_f32_16x16x16_f16 v[0:3], v[54:55], v[56:57], v[0:3]
	v_mfma_f32_16x16x16_f16 v[8:11], v[70:71], v[56:57], v[8:11]
	v_mfma_f32_16x16x16_f16 v[12:15], v[82:83], v[56:57], v[12:15]
	v_mfma_f32_16x16x16_f16 v[4:7], v[34:35], v[58:59], v[4:7]
	ds_read2_b64 v[34:37], v101 offset0:24 offset1:28
	v_mfma_f32_16x16x16_f16 v[0:3], v[52:53], v[58:59], v[0:3]
	v_mfma_f32_16x16x16_f16 v[8:11], v[68:69], v[58:59], v[8:11]
	v_mfma_f32_16x16x16_f16 v[12:15], v[78:79], v[58:59], v[12:15]
	s_waitcnt lgkmcnt(0)
	v_mfma_f32_16x16x16_f16 v[4:7], v[32:33], v[34:35], v[4:7]
	;; [unrolled: 10-line block ×3, first 2 shown]
	v_mfma_f32_16x16x16_f16 v[0:3], v[46:47], v[30:31], v[0:3]
	v_mfma_f32_16x16x16_f16 v[8:11], v[60:61], v[30:31], v[8:11]
	;; [unrolled: 1-line block ×7, first 2 shown]
	s_andn2_b64 exec, exec, s[42:43]
	s_cbranch_execz .LBB115_95
.LBB115_44:                             ; =>This Inner Loop Header: Depth=1
	v_lshl_add_u64 v[26:27], v[24:25], 0, s[2:3]
	global_load_dword v22, v[24:25], off
	global_load_dword v52, v[26:27], off
	v_add_u32_e32 v26, s56, v98
	v_ashrrev_i32_e32 v27, 31, v26
	v_add_u32_e32 v28, s57, v98
	v_add_u32_e32 v30, s58, v98
	;; [unrolled: 1-line block ×5, first 2 shown]
	v_lshl_add_u64 v[26:27], v[26:27], 2, v[18:19]
	v_ashrrev_i32_e32 v29, 31, v28
	v_ashrrev_i32_e32 v31, 31, v30
	;; [unrolled: 1-line block ×5, first 2 shown]
	v_lshl_add_u64 v[28:29], v[28:29], 2, v[18:19]
	v_lshl_add_u64 v[30:31], v[30:31], 2, v[18:19]
	;; [unrolled: 1-line block ×5, first 2 shown]
	global_load_dword v53, v[26:27], off
	global_load_dword v54, v[28:29], off
	;; [unrolled: 1-line block ×6, first 2 shown]
	v_add_u32_e32 v26, s62, v98
	v_add_u32_e32 v44, s71, v98
	;; [unrolled: 1-line block ×10, first 2 shown]
	v_ashrrev_i32_e32 v27, 31, v26
	v_ashrrev_i32_e32 v45, 31, v44
	;; [unrolled: 1-line block ×10, first 2 shown]
	v_lshl_add_u64 v[26:27], v[26:27], 2, v[18:19]
	v_lshl_add_u64 v[44:45], v[44:45], 2, v[18:19]
	v_add_u32_e32 v46, s72, v98
	v_add_u32_e32 v48, s73, v98
	v_add_u32_e32 v50, s74, v98
	v_lshl_add_u64 v[28:29], v[28:29], 2, v[18:19]
	v_lshl_add_u64 v[30:31], v[30:31], 2, v[18:19]
	;; [unrolled: 1-line block ×8, first 2 shown]
	global_load_dword v59, v[26:27], off
	global_load_dword v60, v[28:29], off
	;; [unrolled: 1-line block ×9, first 2 shown]
	s_nop 0
	global_load_dword v44, v[44:45], off
	v_add_u32_e32 v26, s75, v98
	v_ashrrev_i32_e32 v47, 31, v46
	v_ashrrev_i32_e32 v49, 31, v48
	;; [unrolled: 1-line block ×4, first 2 shown]
	v_add_u32_e32 v28, s76, v98
	v_add_u32_e32 v30, s77, v98
	;; [unrolled: 1-line block ×4, first 2 shown]
	v_lshl_add_u64 v[46:47], v[46:47], 2, v[18:19]
	v_lshl_add_u64 v[48:49], v[48:49], 2, v[18:19]
	;; [unrolled: 1-line block ×4, first 2 shown]
	v_ashrrev_i32_e32 v29, 31, v28
	v_ashrrev_i32_e32 v31, 31, v30
	;; [unrolled: 1-line block ×4, first 2 shown]
	v_lshl_add_u64 v[28:29], v[28:29], 2, v[18:19]
	v_lshl_add_u64 v[30:31], v[30:31], 2, v[18:19]
	;; [unrolled: 1-line block ×4, first 2 shown]
	v_add_u32_e32 v36, s85, v98
	v_add_u32_e32 v38, s86, v98
	;; [unrolled: 1-line block ×3, first 2 shown]
	v_ashrrev_i32_e32 v37, 31, v36
	v_ashrrev_i32_e32 v39, 31, v38
	;; [unrolled: 1-line block ×3, first 2 shown]
	v_lshl_add_u64 v[36:37], v[36:37], 2, v[18:19]
	s_waitcnt vmcnt(17)
	ds_write_b32 v100, v22 offset:64
	s_waitcnt vmcnt(16)
	ds_write_b32 v100, v52 offset:328
	;; [unrolled: 2-line block ×8, first 2 shown]
	global_load_dword v22, v[46:47], off
	global_load_dword v45, v[48:49], off
	s_nop 0
	global_load_dword v46, v[50:51], off
	global_load_dword v47, v[26:27], off
	;; [unrolled: 1-line block ×4, first 2 shown]
	s_nop 0
	global_load_dword v50, v[32:33], off
	global_load_dword v51, v[34:35], off
	v_add_u32_e32 v26, s80, v98
	v_ashrrev_i32_e32 v27, 31, v26
	v_add_u32_e32 v28, s81, v98
	v_add_u32_e32 v30, s82, v98
	;; [unrolled: 1-line block ×4, first 2 shown]
	v_lshl_add_u64 v[26:27], v[26:27], 2, v[18:19]
	v_ashrrev_i32_e32 v29, 31, v28
	v_ashrrev_i32_e32 v31, 31, v30
	;; [unrolled: 1-line block ×4, first 2 shown]
	v_lshl_add_u64 v[28:29], v[28:29], 2, v[18:19]
	v_lshl_add_u64 v[30:31], v[30:31], 2, v[18:19]
	v_lshl_add_u64 v[32:33], v[32:33], 2, v[18:19]
	v_lshl_add_u64 v[34:35], v[34:35], 2, v[18:19]
	v_lshl_add_u64 v[38:39], v[38:39], 2, v[18:19]
	v_lshl_add_u64 v[40:41], v[40:41], 2, v[18:19]
	global_load_dword v52, v[26:27], off
	global_load_dword v53, v[28:29], off
	global_load_dword v54, v[30:31], off
	global_load_dword v55, v[32:33], off
	global_load_dword v56, v[34:35], off
	global_load_dword v57, v[36:37], off
	global_load_dword v68, v[38:39], off
	global_load_dword v69, v[40:41], off
	v_add_u32_e32 v26, s88, v98
	v_ashrrev_i32_e32 v27, 31, v26
	v_add_u32_e32 v28, s89, v98
	v_add_u32_e32 v30, s90, v98
	v_add_u32_e32 v32, s91, v98
	v_add_u32_e32 v34, s92, v98
	v_add_u32_e32 v36, s93, v98
	v_add_u32_e32 v38, s94, v98
	v_add_u32_e32 v40, s95, v98
	v_lshl_add_u64 v[26:27], v[26:27], 2, v[18:19]
	v_ashrrev_i32_e32 v29, 31, v28
	v_ashrrev_i32_e32 v31, 31, v30
	v_ashrrev_i32_e32 v33, 31, v32
	v_ashrrev_i32_e32 v35, 31, v34
	v_ashrrev_i32_e32 v37, 31, v36
	v_ashrrev_i32_e32 v39, 31, v38
	v_ashrrev_i32_e32 v41, 31, v40
	v_lshl_add_u64 v[28:29], v[28:29], 2, v[18:19]
	v_lshl_add_u64 v[30:31], v[30:31], 2, v[18:19]
	v_lshl_add_u64 v[32:33], v[32:33], 2, v[18:19]
	v_lshl_add_u64 v[34:35], v[34:35], 2, v[18:19]
	v_lshl_add_u64 v[36:37], v[36:37], 2, v[18:19]
	v_lshl_add_u64 v[38:39], v[38:39], 2, v[18:19]
	v_lshl_add_u64 v[40:41], v[40:41], 2, v[18:19]
	global_load_dword v70, v[26:27], off
	global_load_dword v71, v[28:29], off
	global_load_dword v72, v[30:31], off
	global_load_dword v73, v[32:33], off
	global_load_dword v74, v[34:35], off
	global_load_dword v75, v[36:37], off
	global_load_dword v76, v[38:39], off
	global_load_dword v77, v[40:41], off
	v_add_u32_e32 v26, s96, v98
	v_ashrrev_i32_e32 v27, 31, v26
	v_add_u32_e32 v28, s97, v98
	v_add_u32_e32 v30, s98, v98
	v_add_u32_e32 v32, s99, v98
	v_add_u32_e32 v34, s5, v98
	v_add_u32_e32 v36, s0, v98
	v_add_u32_e32 v38, s1, v98
	v_add_u32_e32 v40, s36, v98
	v_lshl_add_u64 v[26:27], v[26:27], 2, v[18:19]
	v_ashrrev_i32_e32 v29, 31, v28
	v_ashrrev_i32_e32 v31, 31, v30
	v_ashrrev_i32_e32 v33, 31, v32
	v_ashrrev_i32_e32 v35, 31, v34
	v_ashrrev_i32_e32 v37, 31, v36
	v_ashrrev_i32_e32 v39, 31, v38
	v_ashrrev_i32_e32 v41, 31, v40
	v_lshl_add_u64 v[28:29], v[28:29], 2, v[18:19]
	v_lshl_add_u64 v[30:31], v[30:31], 2, v[18:19]
	v_lshl_add_u64 v[32:33], v[32:33], 2, v[18:19]
	v_lshl_add_u64 v[34:35], v[34:35], 2, v[18:19]
	v_lshl_add_u64 v[36:37], v[36:37], 2, v[18:19]
	v_lshl_add_u64 v[38:39], v[38:39], 2, v[18:19]
	v_lshl_add_u64 v[40:41], v[40:41], 2, v[18:19]
	global_load_dword v78, v[26:27], off
	global_load_dword v79, v[28:29], off
	global_load_dword v80, v[30:31], off
	global_load_dword v81, v[32:33], off
	global_load_dword v82, v[34:35], off
	global_load_dword v83, v[36:37], off
	global_load_dword v84, v[38:39], off
	global_load_dword v85, v[40:41], off
	v_add_u32_e32 v26, s37, v98
	v_ashrrev_i32_e32 v27, 31, v26
	v_add_u32_e32 v28, s46, v98
	v_add_u32_e32 v30, s47, v98
	v_add_u32_e32 v32, s34, v98
	v_add_u32_e32 v34, s35, v98
	v_add_u32_e32 v36, s38, v98
	v_add_u32_e32 v38, s39, v98
	v_add_u32_e32 v40, s54, v98
	v_lshl_add_u64 v[26:27], v[26:27], 2, v[18:19]
	v_ashrrev_i32_e32 v29, 31, v28
	v_ashrrev_i32_e32 v31, 31, v30
	v_ashrrev_i32_e32 v33, 31, v32
	v_ashrrev_i32_e32 v35, 31, v34
	v_ashrrev_i32_e32 v37, 31, v36
	v_ashrrev_i32_e32 v39, 31, v38
	v_ashrrev_i32_e32 v41, 31, v40
	v_lshl_add_u64 v[28:29], v[28:29], 2, v[18:19]
	v_lshl_add_u64 v[30:31], v[30:31], 2, v[18:19]
	v_lshl_add_u64 v[32:33], v[32:33], 2, v[18:19]
	v_lshl_add_u64 v[34:35], v[34:35], 2, v[18:19]
	v_lshl_add_u64 v[36:37], v[36:37], 2, v[18:19]
	v_lshl_add_u64 v[38:39], v[38:39], 2, v[18:19]
	v_lshl_add_u64 v[40:41], v[40:41], 2, v[18:19]
	global_load_dword v86, v[26:27], off
	global_load_dword v87, v[28:29], off
	;; [unrolled: 1-line block ×8, first 2 shown]
	v_add_u32_e32 v26, s33, v98
	v_ashrrev_i32_e32 v27, 31, v26
	v_add_u32_e32 v28, s4, v98
	v_add_u32_e32 v30, s48, v98
	;; [unrolled: 1-line block ×5, first 2 shown]
	v_lshl_add_u64 v[26:27], v[26:27], 2, v[18:19]
	v_ashrrev_i32_e32 v29, 31, v28
	v_ashrrev_i32_e32 v31, 31, v30
	;; [unrolled: 1-line block ×5, first 2 shown]
	v_lshl_add_u64 v[28:29], v[28:29], 2, v[18:19]
	v_lshl_add_u64 v[30:31], v[30:31], 2, v[18:19]
	;; [unrolled: 1-line block ×5, first 2 shown]
	global_load_dword v103, v[26:27], off
	global_load_dword v104, v[28:29], off
	;; [unrolled: 1-line block ×6, first 2 shown]
	s_waitcnt vmcnt(55)
	ds_write_b32 v100, v59 offset:2176
	s_waitcnt vmcnt(54)
	ds_write_b32 v100, v60 offset:2440
	s_waitcnt vmcnt(53)
	ds_write_b32 v100, v61 offset:2704
	s_waitcnt vmcnt(52)
	ds_write_b32 v100, v62 offset:2968
	s_waitcnt vmcnt(51)
	ds_write_b32 v100, v63 offset:3232
	s_waitcnt vmcnt(50)
	ds_write_b32 v100, v64 offset:3496
	s_waitcnt vmcnt(49)
	ds_write_b32 v100, v65 offset:3760
	s_waitcnt vmcnt(48)
	ds_write_b32 v100, v66 offset:4024
	ds_read_b64 v[42:43], v101 offset:64
	ds_read_b64 v[38:39], v101 offset:96
	ds_read_b64 v[36:37], v101 offset:128
	ds_read_b64 v[34:35], v101 offset:160
	ds_read_b64 v[32:33], v101 offset:192
	ds_read_b64 v[30:31], v101 offset:224
	ds_read_b64 v[28:29], v101 offset:256
	ds_read_b64 v[26:27], v101 offset:288
	s_waitcnt vmcnt(47)
	ds_write_b32 v100, v67 offset:64
	s_waitcnt vmcnt(46)
	ds_write_b32 v100, v44 offset:328
	s_waitcnt vmcnt(45)
	ds_write_b32 v100, v22 offset:592
	s_waitcnt vmcnt(44)
	ds_write_b32 v100, v45 offset:856
	s_waitcnt vmcnt(43)
	ds_write_b32 v100, v46 offset:1120
	s_waitcnt vmcnt(42)
	ds_write_b32 v100, v47 offset:1384
	s_waitcnt vmcnt(41)
	ds_write_b32 v100, v48 offset:1648
	s_waitcnt vmcnt(40)
	ds_write_b32 v100, v49 offset:1912
	s_waitcnt vmcnt(39)
	ds_write_b32 v100, v50 offset:2176
	s_waitcnt vmcnt(38)
	ds_write_b32 v100, v51 offset:2440
	s_waitcnt vmcnt(37)
	ds_write_b32 v100, v52 offset:2704
	s_waitcnt vmcnt(36)
	ds_write_b32 v100, v53 offset:2968
	s_waitcnt vmcnt(35)
	ds_write_b32 v100, v54 offset:3232
	s_waitcnt vmcnt(34)
	ds_write_b32 v100, v55 offset:3496
	s_waitcnt vmcnt(33)
	ds_write_b32 v100, v56 offset:3760
	s_waitcnt vmcnt(32)
	ds_write_b32 v100, v57 offset:4024
	ds_read_b64 v[58:59], v101 offset:64
	ds_read_b64 v[56:57], v101 offset:96
	ds_read_b64 v[54:55], v101 offset:128
	ds_read_b64 v[52:53], v101 offset:160
	ds_read_b64 v[50:51], v101 offset:192
	ds_read_b64 v[48:49], v101 offset:224
	ds_read_b64 v[46:47], v101 offset:256
	ds_read_b64 v[40:41], v101 offset:288
	s_waitcnt vmcnt(31)
	ds_write_b32 v100, v68 offset:64
	s_waitcnt vmcnt(30)
	ds_write_b32 v100, v69 offset:328
	s_waitcnt vmcnt(29)
	ds_write_b32 v100, v70 offset:592
	s_waitcnt vmcnt(28)
	ds_write_b32 v100, v71 offset:856
	s_waitcnt vmcnt(27)
	ds_write_b32 v100, v72 offset:1120
	s_waitcnt vmcnt(26)
	ds_write_b32 v100, v73 offset:1384
	s_waitcnt vmcnt(25)
	ds_write_b32 v100, v74 offset:1648
	s_waitcnt vmcnt(24)
	ds_write_b32 v100, v75 offset:1912
	;; [unrolled: 40-line block ×3, first 2 shown]
	s_waitcnt vmcnt(7)
	ds_write_b32 v100, v92 offset:2176
	s_waitcnt vmcnt(6)
	ds_write_b32 v100, v93 offset:2440
	;; [unrolled: 2-line block ×8, first 2 shown]
	ds_read_b64 v[88:89], v101 offset:64
	ds_read_b64 v[86:87], v101 offset:96
	;; [unrolled: 1-line block ×8, first 2 shown]
	s_andn2_b64 vcc, exec, s[6:7]
	v_mov_b32_e32 v90, 0
	v_mov_b32_e32 v91, 0
	s_cbranch_vccnz .LBB115_48
; %bb.45:                               ;   in Loop: Header=BB115_44 Depth=1
	ds_read_b32 v22, v99
	s_waitcnt lgkmcnt(0)
	v_cmp_gt_i32_e32 vcc, 0, v22
	s_cbranch_vccnz .LBB115_47
; %bb.46:                               ;   in Loop: Header=BB115_44 Depth=1
	v_mul_lo_u32 v22, v22, s49
	v_add_u32_e32 v90, v102, v22
	v_ashrrev_i32_e32 v91, 31, v90
	v_lshl_add_u64 v[90:91], v[90:91], 2, v[20:21]
	global_load_dwordx2 v[90:91], v[90:91], off
	s_branch .LBB115_48
.LBB115_47:                             ;   in Loop: Header=BB115_44 Depth=1
	v_mov_b32_e32 v90, 0
	v_mov_b32_e32 v91, 0
.LBB115_48:                             ;   in Loop: Header=BB115_44 Depth=1
	s_waitcnt vmcnt(0)
	v_cvt_pk_f16_f32 v22, v90, v91
	v_mov_b32_e32 v90, 0
	s_andn2_b64 vcc, exec, s[8:9]
	v_mov_b32_e32 v92, 0
	v_mov_b32_e32 v93, 0
	ds_write_b32 v100, v22 offset:64
	s_cbranch_vccnz .LBB115_52
; %bb.49:                               ;   in Loop: Header=BB115_44 Depth=1
	ds_read_b32 v22, v99 offset:4
	s_waitcnt lgkmcnt(0)
	v_cmp_gt_i32_e32 vcc, 0, v22
	s_cbranch_vccnz .LBB115_51
; %bb.50:                               ;   in Loop: Header=BB115_44 Depth=1
	v_mul_lo_u32 v22, v22, s49
	v_add_u32_e32 v22, s44, v22
	v_add_u32_e32 v92, v22, v102
	v_ashrrev_i32_e32 v93, 31, v92
	v_lshl_add_u64 v[92:93], v[92:93], 2, v[20:21]
	global_load_dwordx2 v[92:93], v[92:93], off
	s_branch .LBB115_52
.LBB115_51:                             ;   in Loop: Header=BB115_44 Depth=1
	v_mov_b32_e32 v92, 0
	v_mov_b32_e32 v93, 0
.LBB115_52:                             ;   in Loop: Header=BB115_44 Depth=1
	s_waitcnt vmcnt(0)
	v_cvt_pk_f16_f32 v22, v92, v93
	s_andn2_b64 vcc, exec, s[10:11]
	v_mov_b32_e32 v91, 0
	ds_write_b32 v100, v22 offset:328
	s_cbranch_vccnz .LBB115_56
; %bb.53:                               ;   in Loop: Header=BB115_44 Depth=1
	ds_read_b32 v22, v99 offset:8
	s_waitcnt lgkmcnt(0)
	v_cmp_gt_i32_e32 vcc, 0, v22
	s_cbranch_vccnz .LBB115_55
; %bb.54:                               ;   in Loop: Header=BB115_44 Depth=1
	v_mul_lo_u32 v22, v22, s49
	v_add_u32_e32 v22, s41, v22
	v_add_u32_e32 v90, v22, v102
	v_ashrrev_i32_e32 v91, 31, v90
	v_lshl_add_u64 v[90:91], v[90:91], 2, v[20:21]
	global_load_dwordx2 v[90:91], v[90:91], off
	s_branch .LBB115_56
.LBB115_55:                             ;   in Loop: Header=BB115_44 Depth=1
	v_mov_b32_e32 v90, 0
	v_mov_b32_e32 v91, 0
.LBB115_56:                             ;   in Loop: Header=BB115_44 Depth=1
	s_waitcnt vmcnt(0)
	v_cvt_pk_f16_f32 v22, v90, v91
	v_mov_b32_e32 v90, 0
	s_andn2_b64 vcc, exec, s[12:13]
	v_mov_b32_e32 v92, 0
	v_mov_b32_e32 v93, 0
	ds_write_b32 v100, v22 offset:592
	s_cbranch_vccnz .LBB115_60
; %bb.57:                               ;   in Loop: Header=BB115_44 Depth=1
	ds_read_b32 v22, v99 offset:12
	s_waitcnt lgkmcnt(0)
	v_cmp_gt_i32_e32 vcc, 0, v22
	s_cbranch_vccnz .LBB115_59
; %bb.58:                               ;   in Loop: Header=BB115_44 Depth=1
	v_mul_lo_u32 v22, v22, s49
	v_readlane_b32 vcc_lo, v109, 17
	s_nop 1
	v_add_u32_e32 v22, vcc_lo, v22
	v_add_u32_e32 v92, v22, v102
	v_ashrrev_i32_e32 v93, 31, v92
	v_lshl_add_u64 v[92:93], v[92:93], 2, v[20:21]
	global_load_dwordx2 v[92:93], v[92:93], off
	s_branch .LBB115_60
.LBB115_59:                             ;   in Loop: Header=BB115_44 Depth=1
	v_mov_b32_e32 v92, 0
	v_mov_b32_e32 v93, 0
.LBB115_60:                             ;   in Loop: Header=BB115_44 Depth=1
	s_waitcnt vmcnt(0)
	v_cvt_pk_f16_f32 v22, v92, v93
	s_andn2_b64 vcc, exec, s[14:15]
	v_mov_b32_e32 v91, 0
	ds_write_b32 v100, v22 offset:856
	s_cbranch_vccnz .LBB115_64
; %bb.61:                               ;   in Loop: Header=BB115_44 Depth=1
	ds_read_b32 v22, v99 offset:16
	s_waitcnt lgkmcnt(0)
	v_cmp_gt_i32_e32 vcc, 0, v22
	s_cbranch_vccnz .LBB115_63
; %bb.62:                               ;   in Loop: Header=BB115_44 Depth=1
	v_mul_lo_u32 v22, v22, s49
	v_readlane_b32 vcc_lo, v109, 16
	s_nop 1
	v_add_u32_e32 v22, vcc_lo, v22
	v_add_u32_e32 v90, v22, v102
	v_ashrrev_i32_e32 v91, 31, v90
	v_lshl_add_u64 v[90:91], v[90:91], 2, v[20:21]
	global_load_dwordx2 v[90:91], v[90:91], off
	s_branch .LBB115_64
.LBB115_63:                             ;   in Loop: Header=BB115_44 Depth=1
	v_mov_b32_e32 v90, 0
	v_mov_b32_e32 v91, 0
.LBB115_64:                             ;   in Loop: Header=BB115_44 Depth=1
	s_waitcnt vmcnt(0)
	v_cvt_pk_f16_f32 v22, v90, v91
	v_mov_b32_e32 v90, 0
	s_andn2_b64 vcc, exec, s[16:17]
	v_mov_b32_e32 v92, 0
	v_mov_b32_e32 v93, 0
	ds_write_b32 v100, v22 offset:1120
	s_cbranch_vccnz .LBB115_68
; %bb.65:                               ;   in Loop: Header=BB115_44 Depth=1
	ds_read_b32 v22, v99 offset:20
	s_waitcnt lgkmcnt(0)
	v_cmp_gt_i32_e32 vcc, 0, v22
	s_cbranch_vccnz .LBB115_67
; %bb.66:                               ;   in Loop: Header=BB115_44 Depth=1
	v_mul_lo_u32 v22, v22, s49
	v_readlane_b32 vcc_lo, v109, 19
	s_nop 1
	v_add_u32_e32 v22, vcc_lo, v22
	v_add_u32_e32 v92, v22, v102
	v_ashrrev_i32_e32 v93, 31, v92
	v_lshl_add_u64 v[92:93], v[92:93], 2, v[20:21]
	global_load_dwordx2 v[92:93], v[92:93], off
	s_branch .LBB115_68
.LBB115_67:                             ;   in Loop: Header=BB115_44 Depth=1
	v_mov_b32_e32 v92, 0
	v_mov_b32_e32 v93, 0
.LBB115_68:                             ;   in Loop: Header=BB115_44 Depth=1
	s_waitcnt vmcnt(0)
	v_cvt_pk_f16_f32 v22, v92, v93
	s_andn2_b64 vcc, exec, s[18:19]
	v_mov_b32_e32 v91, 0
	ds_write_b32 v100, v22 offset:1384
	s_cbranch_vccnz .LBB115_72
; %bb.69:                               ;   in Loop: Header=BB115_44 Depth=1
	ds_read_b32 v22, v99 offset:24
	s_waitcnt lgkmcnt(0)
	v_cmp_gt_i32_e32 vcc, 0, v22
	s_cbranch_vccnz .LBB115_71
; %bb.70:                               ;   in Loop: Header=BB115_44 Depth=1
	v_mul_lo_u32 v22, v22, s49
	v_readlane_b32 vcc_lo, v109, 20
	s_nop 1
	v_add_u32_e32 v22, vcc_lo, v22
	v_add_u32_e32 v90, v22, v102
	v_ashrrev_i32_e32 v91, 31, v90
	v_lshl_add_u64 v[90:91], v[90:91], 2, v[20:21]
	global_load_dwordx2 v[90:91], v[90:91], off
	s_branch .LBB115_72
.LBB115_71:                             ;   in Loop: Header=BB115_44 Depth=1
	v_mov_b32_e32 v90, 0
	v_mov_b32_e32 v91, 0
.LBB115_72:                             ;   in Loop: Header=BB115_44 Depth=1
	s_waitcnt vmcnt(0)
	v_cvt_pk_f16_f32 v22, v90, v91
	v_mov_b32_e32 v90, 0
	s_andn2_b64 vcc, exec, s[20:21]
	v_mov_b32_e32 v92, 0
	v_mov_b32_e32 v93, 0
	ds_write_b32 v100, v22 offset:1648
	s_cbranch_vccnz .LBB115_76
; %bb.73:                               ;   in Loop: Header=BB115_44 Depth=1
	ds_read_b32 v22, v99 offset:28
	s_waitcnt lgkmcnt(0)
	v_cmp_gt_i32_e32 vcc, 0, v22
	s_cbranch_vccnz .LBB115_75
; %bb.74:                               ;   in Loop: Header=BB115_44 Depth=1
	v_mul_lo_u32 v22, v22, s49
	v_add_u32_e32 v22, s55, v22
	v_add_u32_e32 v92, v22, v102
	v_ashrrev_i32_e32 v93, 31, v92
	v_lshl_add_u64 v[92:93], v[92:93], 2, v[20:21]
	global_load_dwordx2 v[92:93], v[92:93], off
	s_branch .LBB115_76
.LBB115_75:                             ;   in Loop: Header=BB115_44 Depth=1
	v_mov_b32_e32 v92, 0
	v_mov_b32_e32 v93, 0
.LBB115_76:                             ;   in Loop: Header=BB115_44 Depth=1
	s_waitcnt vmcnt(0)
	v_cvt_pk_f16_f32 v22, v92, v93
	s_andn2_b64 vcc, exec, s[22:23]
	v_mov_b32_e32 v91, 0
	ds_write_b32 v100, v22 offset:1912
	s_cbranch_vccnz .LBB115_80
; %bb.77:                               ;   in Loop: Header=BB115_44 Depth=1
	ds_read_b32 v22, v99 offset:32
	s_waitcnt lgkmcnt(0)
	v_cmp_gt_i32_e32 vcc, 0, v22
	s_cbranch_vccnz .LBB115_79
; %bb.78:                               ;   in Loop: Header=BB115_44 Depth=1
	v_mul_lo_u32 v22, v22, s49
	v_readlane_b32 vcc_lo, v109, 18
	s_nop 1
	v_add_u32_e32 v22, vcc_lo, v22
	v_add_u32_e32 v90, v22, v102
	v_ashrrev_i32_e32 v91, 31, v90
	v_lshl_add_u64 v[90:91], v[90:91], 2, v[20:21]
	global_load_dwordx2 v[90:91], v[90:91], off
	s_branch .LBB115_80
.LBB115_79:                             ;   in Loop: Header=BB115_44 Depth=1
	v_mov_b32_e32 v90, 0
	v_mov_b32_e32 v91, 0
.LBB115_80:                             ;   in Loop: Header=BB115_44 Depth=1
	s_waitcnt vmcnt(0)
	v_cvt_pk_f16_f32 v22, v90, v91
	v_mov_b32_e32 v90, 0
	s_andn2_b64 vcc, exec, s[24:25]
	v_mov_b32_e32 v92, 0
	v_mov_b32_e32 v93, 0
	ds_write_b32 v100, v22 offset:2176
	s_cbranch_vccnz .LBB115_84
; %bb.81:                               ;   in Loop: Header=BB115_44 Depth=1
	ds_read_b32 v22, v99 offset:36
	s_waitcnt lgkmcnt(0)
	v_cmp_gt_i32_e32 vcc, 0, v22
	s_cbranch_vccnz .LBB115_83
; %bb.82:                               ;   in Loop: Header=BB115_44 Depth=1
	v_mul_lo_u32 v22, v22, s49
	v_readlane_b32 vcc_lo, v109, 24
	s_nop 1
	v_add_u32_e32 v22, vcc_lo, v22
	v_add_u32_e32 v92, v22, v102
	v_ashrrev_i32_e32 v93, 31, v92
	v_lshl_add_u64 v[92:93], v[92:93], 2, v[20:21]
	global_load_dwordx2 v[92:93], v[92:93], off
	s_branch .LBB115_84
.LBB115_83:                             ;   in Loop: Header=BB115_44 Depth=1
	v_mov_b32_e32 v92, 0
	v_mov_b32_e32 v93, 0
.LBB115_84:                             ;   in Loop: Header=BB115_44 Depth=1
	s_waitcnt vmcnt(0)
	v_cvt_pk_f16_f32 v22, v92, v93
	s_andn2_b64 vcc, exec, s[26:27]
	v_mov_b32_e32 v91, 0
	ds_write_b32 v100, v22 offset:2440
	s_cbranch_vccnz .LBB115_88
; %bb.85:                               ;   in Loop: Header=BB115_44 Depth=1
	ds_read_b32 v22, v99 offset:40
	s_waitcnt lgkmcnt(0)
	v_cmp_gt_i32_e32 vcc, 0, v22
	s_cbranch_vccnz .LBB115_87
; %bb.86:                               ;   in Loop: Header=BB115_44 Depth=1
	v_mul_lo_u32 v22, v22, s49
	v_readlane_b32 vcc_lo, v109, 23
	s_nop 1
	v_add_u32_e32 v22, vcc_lo, v22
	v_add_u32_e32 v90, v22, v102
	v_ashrrev_i32_e32 v91, 31, v90
	v_lshl_add_u64 v[90:91], v[90:91], 2, v[20:21]
	global_load_dwordx2 v[90:91], v[90:91], off
	s_branch .LBB115_88
.LBB115_87:                             ;   in Loop: Header=BB115_44 Depth=1
	v_mov_b32_e32 v90, 0
	v_mov_b32_e32 v91, 0
.LBB115_88:                             ;   in Loop: Header=BB115_44 Depth=1
	s_waitcnt vmcnt(0)
	v_cvt_pk_f16_f32 v22, v90, v91
	v_mov_b32_e32 v90, 0
	s_andn2_b64 vcc, exec, s[28:29]
	v_mov_b32_e32 v92, 0
	v_mov_b32_e32 v93, 0
	ds_write_b32 v100, v22 offset:2704
	s_cbranch_vccnz .LBB115_92
; %bb.89:                               ;   in Loop: Header=BB115_44 Depth=1
	ds_read_b32 v22, v99 offset:44
	s_waitcnt lgkmcnt(0)
	v_cmp_gt_i32_e32 vcc, 0, v22
	s_cbranch_vccnz .LBB115_91
; %bb.90:                               ;   in Loop: Header=BB115_44 Depth=1
	v_mul_lo_u32 v22, v22, s49
	v_readlane_b32 vcc_lo, v109, 22
	s_nop 1
	v_add_u32_e32 v22, vcc_lo, v22
	v_add_u32_e32 v92, v22, v102
	v_ashrrev_i32_e32 v93, 31, v92
	v_lshl_add_u64 v[92:93], v[92:93], 2, v[20:21]
	global_load_dwordx2 v[92:93], v[92:93], off
	s_branch .LBB115_92
.LBB115_91:                             ;   in Loop: Header=BB115_44 Depth=1
	v_mov_b32_e32 v92, 0
	v_mov_b32_e32 v93, 0
.LBB115_92:                             ;   in Loop: Header=BB115_44 Depth=1
	s_waitcnt vmcnt(0)
	v_cvt_pk_f16_f32 v22, v92, v93
	s_andn2_b64 vcc, exec, s[30:31]
	v_mov_b32_e32 v91, 0
	ds_write_b32 v100, v22 offset:2968
	s_cbranch_vccnz .LBB115_43
; %bb.93:                               ;   in Loop: Header=BB115_44 Depth=1
	ds_read_b32 v22, v99 offset:48
	s_waitcnt lgkmcnt(0)
	v_cmp_gt_i32_e32 vcc, 0, v22
	s_cbranch_vccz .LBB115_42
; %bb.94:                               ;   in Loop: Header=BB115_44 Depth=1
	v_mov_b32_e32 v90, 0
	v_mov_b32_e32 v91, 0
	s_branch .LBB115_43
.LBB115_95:
	s_or_b64 exec, exec, s[42:43]
	v_readlane_b32 s24, v109, 8
	v_readlane_b32 s28, v109, 12
	;; [unrolled: 1-line block ×8, first 2 shown]
.LBB115_96:
	v_readlane_b32 s0, v109, 6
	v_readlane_b32 s1, v109, 7
	s_or_b64 exec, exec, s[0:1]
	v_mov_b32_e32 v19, 0x100
	v_lshl_add_u32 v18, v96, 2, v19
	v_mul_u32_u24_e32 v20, 0x608, v97
	v_and_b32_e32 v21, 0x3f0, v16
	v_add3_u32 v20, v18, v20, v21
	s_waitcnt lgkmcnt(0)
	s_barrier
	s_movk_i32 s0, 0x608
	ds_write2_b32 v20, v4, v5 offset0:16 offset1:17
	ds_write2_b32 v20, v6, v7 offset0:18 offset1:19
	;; [unrolled: 1-line block ×8, first 2 shown]
	v_lshl_add_u32 v8, v16, 2, v19
	v_mad_u32_u24 v0, v17, s0, v8
	s_waitcnt lgkmcnt(0)
	s_barrier
	ds_read2_b32 v[6:7], v0 offset0:16 offset1:80
	ds_read2_b32 v[2:3], v0 offset0:144 offset1:208
	v_add_u32_e32 v0, 64, v0
	ds_read2st64_b32 v[4:5], v0 offset0:4 offset1:5
	v_cmp_gt_u32_e32 vcc, 13, v17
	v_mov_b32_e32 v10, -1
	s_and_saveexec_b64 s[0:1], vcc
; %bb.97:
	s_movk_i32 s2, 0xff04
	v_mad_i32_i24 v0, v17, s2, v18
	ds_read_b32 v10, v0
; %bb.98:
	s_or_b64 exec, exec, s[0:1]
	s_mul_hi_i32 s1, s30, s22
	s_mul_i32 s0, s30, s22
	s_lshl_b64 s[0:1], s[0:1], 2
	v_readlane_b32 s2, v109, 4
	v_mul_hi_i32 v1, v94, s45
	v_mul_lo_u32 v0, v94, s45
	v_readlane_b32 s3, v109, 5
	s_add_u32 s0, s2, s0
	s_addc_u32 s1, s3, s1
	v_lshlrev_b64 v[0:1], 2, v[0:1]
	s_waitcnt lgkmcnt(0)
	v_cmp_lt_i32_e32 vcc, -1, v10
	v_mul_u32_u24_e32 v11, 0x608, v17
	v_add_u32_e32 v9, s11, v16
	v_lshl_add_u64 v[0:1], s[0:1], 0, v[0:1]
	s_and_b64 s[2:3], vcc, s[24:25]
	s_and_saveexec_b64 s[0:1], s[2:3]
	s_cbranch_execz .LBB115_100
; %bb.99:
	v_add_f32_e32 v6, 0, v6
	v_add_f32_e32 v6, v6, v7
	v_add_f32_e32 v2, v6, v2
	v_add_f32_e32 v2, v2, v3
	v_add_f32_e32 v2, v2, v4
	v_add_f32_e32 v4, v2, v5
	v_mul_lo_u32 v2, v10, s50
	v_mul_lo_u32 v3, v17, s45
	v_add3_u32 v2, v9, v3, v2
	v_mov_b32_e32 v3, 0
	v_lshl_add_u64 v[2:3], v[2:3], 2, v[0:1]
	global_store_dword v[2:3], v4, off
.LBB115_100:
	s_or_b64 exec, exec, s[0:1]
	v_add_u32_e32 v2, v11, v8
	v_add_u32_e32 v2, 0x70, v2
	ds_read2st64_b32 v[6:7], v2 offset0:36 offset1:37
	ds_read2st64_b32 v[4:5], v2 offset0:38 offset1:39
	;; [unrolled: 1-line block ×3, first 2 shown]
	v_cmp_gt_u32_e32 vcc, 7, v17
	v_mov_b32_e32 v10, -1
	s_and_saveexec_b64 s[0:1], vcc
; %bb.101:
	v_mov_b32_e32 v10, 0x100
	v_lshl_add_u32 v10, v17, 2, v10
	ds_read_b32 v10, v10 offset:24
; %bb.102:
	s_or_b64 exec, exec, s[0:1]
	v_readlane_b32 s0, v109, 0
	s_waitcnt lgkmcnt(0)
	v_cmp_lt_i32_e32 vcc, -1, v10
	v_readlane_b32 s1, v109, 1
	s_and_b64 s[2:3], vcc, s[0:1]
	s_and_saveexec_b64 s[0:1], s[2:3]
	s_cbranch_execz .LBB115_104
; %bb.103:
	v_add_f32_e32 v6, 0, v6
	v_add_f32_e32 v6, v6, v7
	;; [unrolled: 1-line block ×6, first 2 shown]
	v_mul_lo_u32 v2, v10, s50
	v_mul_lo_u32 v3, v95, s45
	v_add3_u32 v2, v9, v3, v2
	v_mov_b32_e32 v3, 0
	v_lshl_add_u64 v[2:3], v[2:3], 2, v[0:1]
	global_store_dword v[2:3], v4, off
.LBB115_104:
	s_or_b64 exec, exec, s[0:1]
	v_cmp_eq_u32_e32 vcc, 0, v17
	s_and_saveexec_b64 s[0:1], vcc
	s_cbranch_execz .LBB115_107
; %bb.105:
	v_mov_b32_e32 v2, 0x100
	ds_read_b32 v2, v2 offset:48
	v_readlane_b32 s2, v109, 2
	v_readlane_b32 s3, v109, 3
	s_waitcnt lgkmcnt(0)
	v_readfirstlane_b32 s0, v2
	s_cmp_gt_i32 s0, -1
	s_cselect_b64 s[0:1], -1, 0
	s_and_b64 s[0:1], s[0:1], s[2:3]
	s_and_b64 exec, exec, s[0:1]
	s_cbranch_execz .LBB115_107
; %bb.106:
	v_add_u32_e32 v6, 0xa0, v8
	ds_read2st64_b32 v[4:5], v6 offset0:72 offset1:73
	v_mul_lo_u32 v8, v2, s50
	ds_read2st64_b32 v[2:3], v6 offset0:74 offset1:75
	ds_read2st64_b32 v[6:7], v6 offset0:76 offset1:77
	s_mul_i32 s0, s45, 12
	s_waitcnt lgkmcnt(2)
	v_add_f32_e32 v4, 0, v4
	v_add_f32_e32 v4, v4, v5
	s_waitcnt lgkmcnt(1)
	v_add_f32_e32 v2, v4, v2
	v_add_f32_e32 v2, v2, v3
	;; [unrolled: 3-line block ×3, first 2 shown]
	v_add_u32_e32 v2, s0, v8
	v_add_u32_e32 v2, v2, v9
	v_mov_b32_e32 v3, 0
	v_lshl_add_u64 v[0:1], v[2:3], 2, v[0:1]
	global_store_dword v[0:1], v4, off
.LBB115_107:
	s_endpgm
	.section	.rodata,"a",@progbits
	.p2align	6, 0x0
	.amdhsa_kernel _ZL9mul_mat_fI7__half2Li64ELi13ELi6ELb1EEvPKT_PKfPKiPfiiiiiiiiiiiiiiii
		.amdhsa_group_segment_fixed_size 256
		.amdhsa_private_segment_fixed_size 0
		.amdhsa_kernarg_size 352
		.amdhsa_user_sgpr_count 2
		.amdhsa_user_sgpr_dispatch_ptr 0
		.amdhsa_user_sgpr_queue_ptr 0
		.amdhsa_user_sgpr_kernarg_segment_ptr 1
		.amdhsa_user_sgpr_dispatch_id 0
		.amdhsa_user_sgpr_kernarg_preload_length 0
		.amdhsa_user_sgpr_kernarg_preload_offset 0
		.amdhsa_user_sgpr_private_segment_size 0
		.amdhsa_uses_dynamic_stack 0
		.amdhsa_enable_private_segment 0
		.amdhsa_system_sgpr_workgroup_id_x 1
		.amdhsa_system_sgpr_workgroup_id_y 1
		.amdhsa_system_sgpr_workgroup_id_z 1
		.amdhsa_system_sgpr_workgroup_info 0
		.amdhsa_system_vgpr_workitem_id 2
		.amdhsa_next_free_vgpr 110
		.amdhsa_next_free_sgpr 100
		.amdhsa_accum_offset 112
		.amdhsa_reserve_vcc 1
		.amdhsa_float_round_mode_32 0
		.amdhsa_float_round_mode_16_64 0
		.amdhsa_float_denorm_mode_32 3
		.amdhsa_float_denorm_mode_16_64 3
		.amdhsa_dx10_clamp 1
		.amdhsa_ieee_mode 1
		.amdhsa_fp16_overflow 0
		.amdhsa_tg_split 0
		.amdhsa_exception_fp_ieee_invalid_op 0
		.amdhsa_exception_fp_denorm_src 0
		.amdhsa_exception_fp_ieee_div_zero 0
		.amdhsa_exception_fp_ieee_overflow 0
		.amdhsa_exception_fp_ieee_underflow 0
		.amdhsa_exception_fp_ieee_inexact 0
		.amdhsa_exception_int_div_zero 0
	.end_amdhsa_kernel
	.section	.text._ZL9mul_mat_fI7__half2Li64ELi13ELi6ELb1EEvPKT_PKfPKiPfiiiiiiiiiiiiiiii,"axG",@progbits,_ZL9mul_mat_fI7__half2Li64ELi13ELi6ELb1EEvPKT_PKfPKiPfiiiiiiiiiiiiiiii,comdat
.Lfunc_end115:
	.size	_ZL9mul_mat_fI7__half2Li64ELi13ELi6ELb1EEvPKT_PKfPKiPfiiiiiiiiiiiiiiii, .Lfunc_end115-_ZL9mul_mat_fI7__half2Li64ELi13ELi6ELb1EEvPKT_PKfPKiPfiiiiiiiiiiiiiiii
                                        ; -- End function
	.set _ZL9mul_mat_fI7__half2Li64ELi13ELi6ELb1EEvPKT_PKfPKiPfiiiiiiiiiiiiiiii.num_vgpr, 110
	.set _ZL9mul_mat_fI7__half2Li64ELi13ELi6ELb1EEvPKT_PKfPKiPfiiiiiiiiiiiiiiii.num_agpr, 0
	.set _ZL9mul_mat_fI7__half2Li64ELi13ELi6ELb1EEvPKT_PKfPKiPfiiiiiiiiiiiiiiii.numbered_sgpr, 100
	.set _ZL9mul_mat_fI7__half2Li64ELi13ELi6ELb1EEvPKT_PKfPKiPfiiiiiiiiiiiiiiii.num_named_barrier, 0
	.set _ZL9mul_mat_fI7__half2Li64ELi13ELi6ELb1EEvPKT_PKfPKiPfiiiiiiiiiiiiiiii.private_seg_size, 0
	.set _ZL9mul_mat_fI7__half2Li64ELi13ELi6ELb1EEvPKT_PKfPKiPfiiiiiiiiiiiiiiii.uses_vcc, 1
	.set _ZL9mul_mat_fI7__half2Li64ELi13ELi6ELb1EEvPKT_PKfPKiPfiiiiiiiiiiiiiiii.uses_flat_scratch, 0
	.set _ZL9mul_mat_fI7__half2Li64ELi13ELi6ELb1EEvPKT_PKfPKiPfiiiiiiiiiiiiiiii.has_dyn_sized_stack, 0
	.set _ZL9mul_mat_fI7__half2Li64ELi13ELi6ELb1EEvPKT_PKfPKiPfiiiiiiiiiiiiiiii.has_recursion, 0
	.set _ZL9mul_mat_fI7__half2Li64ELi13ELi6ELb1EEvPKT_PKfPKiPfiiiiiiiiiiiiiiii.has_indirect_call, 0
	.section	.AMDGPU.csdata,"",@progbits
; Kernel info:
; codeLenInByte = 7960
; TotalNumSgprs: 106
; NumVgprs: 110
; NumAgprs: 0
; TotalNumVgprs: 110
; ScratchSize: 0
; MemoryBound: 0
; FloatMode: 240
; IeeeMode: 1
; LDSByteSize: 256 bytes/workgroup (compile time only)
; SGPRBlocks: 13
; VGPRBlocks: 13
; NumSGPRsForWavesPerEU: 106
; NumVGPRsForWavesPerEU: 110
; AccumOffset: 112
; Occupancy: 4
; WaveLimiterHint : 0
; COMPUTE_PGM_RSRC2:SCRATCH_EN: 0
; COMPUTE_PGM_RSRC2:USER_SGPR: 2
; COMPUTE_PGM_RSRC2:TRAP_HANDLER: 0
; COMPUTE_PGM_RSRC2:TGID_X_EN: 1
; COMPUTE_PGM_RSRC2:TGID_Y_EN: 1
; COMPUTE_PGM_RSRC2:TGID_Z_EN: 1
; COMPUTE_PGM_RSRC2:TIDIG_COMP_CNT: 2
; COMPUTE_PGM_RSRC3_GFX90A:ACCUM_OFFSET: 27
; COMPUTE_PGM_RSRC3_GFX90A:TG_SPLIT: 0
	.section	.text._ZL9mul_mat_fI7__half2Li64ELi13ELi6ELb0EEvPKT_PKfPKiPfiiiiiiiiiiiiiiii,"axG",@progbits,_ZL9mul_mat_fI7__half2Li64ELi13ELi6ELb0EEvPKT_PKfPKiPfiiiiiiiiiiiiiiii,comdat
	.globl	_ZL9mul_mat_fI7__half2Li64ELi13ELi6ELb0EEvPKT_PKfPKiPfiiiiiiiiiiiiiiii ; -- Begin function _ZL9mul_mat_fI7__half2Li64ELi13ELi6ELb0EEvPKT_PKfPKiPfiiiiiiiiiiiiiiii
	.p2align	8
	.type	_ZL9mul_mat_fI7__half2Li64ELi13ELi6ELb0EEvPKT_PKfPKiPfiiiiiiiiiiiiiiii,@function
_ZL9mul_mat_fI7__half2Li64ELi13ELi6ELb0EEvPKT_PKfPKiPfiiiiiiiiiiiiiiii: ; @_ZL9mul_mat_fI7__half2Li64ELi13ELi6ELb0EEvPKT_PKfPKiPfiiiiiiiiiiiiiiii
; %bb.0:
	s_load_dword s5, s[0:1], 0x20
	s_load_dwordx4 s[16:19], s[0:1], 0x2c
	v_bfe_u32 v34, v0, 10, 10
	v_lshlrev_b32_e32 v36, 6, v34
	v_and_b32_e32 v35, 0x3ff, v0
	v_add_u32_e32 v38, v36, v35
	s_waitcnt lgkmcnt(0)
	s_ashr_i32 s19, s4, 31
	v_cmp_le_i32_e32 vcc, s5, v38
	v_and_b32_e32 v37, 15, v35
	s_and_saveexec_b64 s[6:7], vcc
	s_xor_b64 s[6:7], exec, s[6:7]
; %bb.1:
	v_and_b32_e32 v37, 15, v35
                                        ; implicit-def: $vgpr38
; %bb.2:
	s_or_saveexec_b64 s[24:25], s[6:7]
	s_load_dwordx8 s[8:15], s[0:1], 0x40
	s_load_dwordx2 s[6:7], s[0:1], 0x18
	v_mov_b32_e32 v15, 0
	s_lshl_b32 s2, s2, 6
	v_mov_b32_e32 v14, v15
	v_mov_b32_e32 v13, v15
	;; [unrolled: 1-line block ×15, first 2 shown]
	s_xor_b64 exec, exec, s[24:25]
	s_cbranch_execz .LBB116_6
; %bb.3:
	s_waitcnt lgkmcnt(0)
	s_abs_i32 s26, s8
	v_cvt_f32_u32_e32 v0, s26
	s_abs_i32 s27, s12
	v_cvt_f32_u32_e32 v1, s27
	s_sub_i32 s20, 0, s26
	v_rcp_iflag_f32_e32 v0, v0
	s_abs_i32 s28, s3
	v_rcp_iflag_f32_e32 v1, v1
	s_sub_i32 s21, 0, s27
	v_mul_f32_e32 v0, 0x4f7ffffe, v0
	v_cvt_u32_f32_e32 v0, v0
	v_mul_f32_e32 v1, 0x4f7ffffe, v1
	v_cvt_u32_f32_e32 v1, v1
	s_abs_i32 s29, s4
	v_mul_lo_u32 v2, s20, v0
	v_mul_hi_u32 v2, v0, v2
	v_add_u32_e32 v0, v0, v2
	v_mul_hi_u32 v0, s28, v0
	v_mul_lo_u32 v3, s21, v1
	v_mul_lo_u32 v2, v0, s26
	v_mul_hi_u32 v3, v1, v3
	v_sub_u32_e32 v2, s28, v2
	v_add_u32_e32 v1, v1, v3
	v_add_u32_e32 v3, 1, v0
	v_subrev_u32_e32 v4, s26, v2
	v_cmp_le_u32_e32 vcc, s26, v2
	s_load_dwordx4 s[20:23], s[0:1], 0x0
	s_ashr_i32 s0, s3, 31
	v_cndmask_b32_e32 v0, v0, v3, vcc
	v_cndmask_b32_e32 v2, v2, v4, vcc
	s_ashr_i32 s1, s8, 31
	v_add_u32_e32 v3, 1, v0
	v_cmp_le_u32_e32 vcc, s26, v2
	s_xor_b32 s0, s0, s1
	v_mul_hi_u32 v1, s29, v1
	v_cndmask_b32_e32 v0, v0, v3, vcc
	v_xor_b32_e32 v0, s0, v0
	v_subrev_u32_e32 v2, s0, v0
	v_mul_lo_u32 v0, v1, s27
	v_sub_u32_e32 v0, s29, v0
	v_add_u32_e32 v3, 1, v1
	v_subrev_u32_e32 v4, s27, v0
	v_cmp_le_u32_e32 vcc, s27, v0
	s_ashr_i32 s8, s12, 31
	s_xor_b32 s0, s19, s8
	v_cndmask_b32_e32 v1, v1, v3, vcc
	v_cndmask_b32_e32 v0, v0, v4, vcc
	v_add_u32_e32 v3, 1, v1
	v_cmp_le_u32_e32 vcc, s27, v0
	v_mul_lo_u32 v2, v2, s9
	s_mul_hi_i32 s9, s14, s4
	v_cndmask_b32_e32 v0, v1, v3, vcc
	v_xor_b32_e32 v0, s0, v0
	s_mul_i32 s8, s14, s4
	v_subrev_u32_e32 v0, s0, v0
	s_lshl_b64 s[26:27], s[8:9], 2
	v_mul_hi_i32 v1, v0, s13
	v_mul_lo_u32 v0, v0, s13
	s_mul_i32 s0, s16, s2
	s_mul_i32 s28, s10, s3
	s_waitcnt lgkmcnt(0)
	s_add_u32 s8, s22, s26
	v_ashrrev_i32_e32 v3, 31, v2
	v_lshlrev_b64 v[0:1], 2, v[0:1]
	s_addc_u32 s9, s23, s27
	s_ashr_i32 s1, s0, 31
	s_ashr_i32 s29, s28, 31
	v_lshl_add_u64 v[4:5], s[20:21], 0, v[0:1]
	v_lshlrev_b64 v[2:3], 2, v[2:3]
	s_lshl_b64 s[12:13], s[0:1], 2
	s_lshl_b64 s[28:29], s[28:29], 2
	v_lshl_add_u64 v[4:5], v[4:5], 0, v[2:3]
	s_add_u32 s0, s8, s28
	s_movk_i32 s8, 0x1080
	v_lshrrev_b32_e32 v7, 1, v35
	v_lshl_add_u64 v[2:3], v[2:3], 0, s[12:13]
	v_lshl_add_u64 v[16:17], v[4:5], 0, s[12:13]
	v_mov_b32_e32 v19, 0
	v_mad_u32_u24 v5, v34, s8, 0
	v_lshlrev_b32_e32 v4, 2, v35
	v_mul_u32_u24_e32 v6, 0x108, v37
	v_and_b32_e32 v7, 0x1f8, v7
	v_lshlrev_b32_e32 v18, 8, v34
	v_lshl_add_u64 v[0:1], v[2:3], 0, v[0:1]
	s_addc_u32 s1, s9, s29
	v_add_u32_e32 v39, v5, v4
	v_add3_u32 v40, v5, v6, v7
	s_ashr_i32 s9, s16, 31
	s_mov_b32 s8, s16
	s_ashr_i32 s75, s17, 31
	s_mov_b32 s74, s17
	v_lshl_add_u64 v[0:1], v[0:1], 0, v[18:19]
	v_mov_b32_e32 v5, v19
	s_add_i32 s10, s16, s16
	s_add_i32 s14, s17, s17
	s_lshl_b32 s30, s17, 2
	s_lshl_b32 s35, s17, 3
	;; [unrolled: 1-line block ×6, first 2 shown]
	s_lshl_b64 s[8:9], s[8:9], 2
	s_lshl_b64 s[12:13], s[74:75], 3
	v_lshl_add_u64 v[0:1], v[0:1], 0, v[4:5]
	v_lshlrev_b32_e32 v18, 9, v34
	s_add_u32 s22, s22, s28
	v_lshl_add_u64 v[20:21], s[20:21], 0, v[0:1]
	v_lshl_add_u64 v[0:1], s[26:27], 0, v[18:19]
	v_lshlrev_b32_e32 v18, 3, v35
	s_addc_u32 s23, s23, s29
	v_lshl_add_u64 v[0:1], v[0:1], 0, v[18:19]
	s_mul_i32 s19, s17, 3
	s_mul_i32 s31, s17, 5
	;; [unrolled: 1-line block ×45, first 2 shown]
	v_lshl_add_u64 v[22:23], s[22:23], 0, v[0:1]
	s_mul_i32 s77, s16, 44
	s_mul_i32 s78, s16, 45
	v_mov_b32_e32 v4, 0
	v_mov_b32_e32 v6, v19
	;; [unrolled: 1-line block ×15, first 2 shown]
	s_mul_i32 s79, s16, 46
	s_mul_i32 s80, s16, 47
	;; [unrolled: 1-line block ×18, first 2 shown]
	s_mov_b64 s[16:17], 0
	s_mov_b64 s[20:21], 0x600
	;; [unrolled: 1-line block ×3, first 2 shown]
.LBB116_4:                              ; =>This Inner Loop Header: Depth=1
	v_add_u32_e32 v30, s10, v38
	v_add_u32_e32 v26, s58, v38
	v_lshl_add_u64 v[24:25], v[20:21], 0, s[8:9]
	v_add_u32_e32 v32, s40, v38
	v_ashrrev_i32_e32 v31, 31, v30
	v_ashrrev_i32_e32 v27, 31, v26
	v_add_u32_e32 v28, s59, v38
	global_load_dword v45, v[24:25], off
	v_lshl_add_u64 v[30:31], v[30:31], 2, v[16:17]
	v_add_u32_e32 v24, s60, v38
	v_ashrrev_i32_e32 v33, 31, v32
	v_lshl_add_u64 v[26:27], v[26:27], 2, v[16:17]
	v_add_u32_e32 v42, s41, v38
	global_load_dword v46, v[30:31], off
	v_ashrrev_i32_e32 v29, 31, v28
	global_load_dword v26, v[26:27], off
	v_lshl_add_u64 v[30:31], v[32:33], 2, v[16:17]
	v_add_u32_e32 v32, s61, v38
	v_ashrrev_i32_e32 v25, 31, v24
	v_add_u32_e32 v48, s42, v38
	v_ashrrev_i32_e32 v43, 31, v42
	v_lshl_add_u64 v[28:29], v[28:29], 2, v[16:17]
	v_lshl_add_u64 v[24:25], v[24:25], 2, v[16:17]
	v_ashrrev_i32_e32 v33, 31, v32
	global_load_dword v47, v[30:31], off
	v_ashrrev_i32_e32 v49, 31, v48
	global_load_dword v24, v[24:25], off
	v_add_u32_e32 v54, s43, v38
	global_load_dword v27, v[28:29], off
	v_lshl_add_u64 v[30:31], v[42:43], 2, v[16:17]
	v_lshl_add_u64 v[28:29], v[32:33], 2, v[16:17]
	global_load_dword v50, v[30:31], off
	global_load_dword v25, v[28:29], off
	v_lshl_add_u64 v[30:31], v[48:49], 2, v[16:17]
	global_load_dword v52, v[30:31], off
	v_add_u32_e32 v30, s62, v38
	v_add_u32_e32 v56, s44, v38
	v_ashrrev_i32_e32 v55, 31, v54
	v_add_u32_e32 v48, s63, v38
	v_ashrrev_i32_e32 v31, 31, v30
	v_add_u32_e32 v58, s45, v38
	v_lshl_add_u64 v[42:43], v[54:55], 2, v[16:17]
	v_ashrrev_i32_e32 v57, 31, v56
	v_add_u32_e32 v84, s64, v38
	v_lshl_add_u64 v[28:29], v[30:31], 2, v[16:17]
	v_ashrrev_i32_e32 v49, 31, v48
	v_add_u32_e32 v60, s46, v38
	global_load_dword v53, v[42:43], off
	v_ashrrev_i32_e32 v59, 31, v58
	v_add_u32_e32 v86, s65, v38
	global_load_dword v28, v[28:29], off
	v_lshl_add_u64 v[42:43], v[56:57], 2, v[16:17]
	v_lshl_add_u64 v[30:31], v[48:49], 2, v[16:17]
	v_ashrrev_i32_e32 v85, 31, v84
	v_add_u32_e32 v62, s47, v38
	global_load_dword v54, v[42:43], off
	global_load_dword v29, v[30:31], off
	v_lshl_add_u64 v[42:43], v[58:59], 2, v[16:17]
	v_ashrrev_i32_e32 v61, 31, v60
	v_add_u32_e32 v88, s66, v38
	v_lshl_add_u64 v[30:31], v[84:85], 2, v[16:17]
	v_ashrrev_i32_e32 v87, 31, v86
	v_add_u32_e32 v64, s48, v38
	global_load_dword v57, v[42:43], off
	v_ashrrev_i32_e32 v63, 31, v62
	global_load_dword v30, v[30:31], off
	v_lshl_add_u64 v[42:43], v[60:61], 2, v[16:17]
	v_lshl_add_u64 v[32:33], v[86:87], 2, v[16:17]
	v_ashrrev_i32_e32 v89, 31, v88
	v_add_u32_e32 v66, s49, v38
	global_load_dword v58, v[42:43], off
	global_load_dword v31, v[32:33], off
	v_lshl_add_u64 v[42:43], v[62:63], 2, v[16:17]
	v_ashrrev_i32_e32 v65, 31, v64
	v_lshl_add_u64 v[32:33], v[88:89], 2, v[16:17]
	v_add_u32_e32 v68, s50, v38
	global_load_dword v61, v[42:43], off
	v_ashrrev_i32_e32 v67, 31, v66
	global_load_dword v32, v[32:33], off
	v_lshl_add_u64 v[42:43], v[64:65], 2, v[16:17]
	v_add_u32_e32 v70, s51, v38
	global_load_dword v62, v[42:43], off
	v_lshl_add_u64 v[42:43], v[66:67], 2, v[16:17]
	v_ashrrev_i32_e32 v69, 31, v68
	v_add_u32_e32 v72, s52, v38
	global_load_dword v65, v[42:43], off
	v_lshl_add_u64 v[42:43], v[68:69], 2, v[16:17]
	v_ashrrev_i32_e32 v71, 31, v70
	global_load_dword v66, v[42:43], off
	v_lshl_add_u64 v[42:43], v[70:71], 2, v[16:17]
	v_ashrrev_i32_e32 v73, 31, v72
	global_load_dword v68, v[42:43], off
	v_lshl_add_u64 v[42:43], v[72:73], 2, v[16:17]
	v_add_u32_e32 v72, s67, v38
	v_add_u32_e32 v74, s53, v38
	v_ashrrev_i32_e32 v73, 31, v72
	v_ashrrev_i32_e32 v75, 31, v74
	v_lshl_add_u64 v[48:49], v[72:73], 2, v[16:17]
	global_load_dword v70, v[42:43], off
	global_load_dword v33, v[48:49], off
	v_lshl_add_u64 v[42:43], v[74:75], 2, v[16:17]
	v_add_u32_e32 v74, s68, v38
	v_add_u32_e32 v76, s54, v38
	;; [unrolled: 1-line block ×3, first 2 shown]
	v_ashrrev_i32_e32 v75, 31, v74
	v_add_u32_e32 v78, s55, v38
	v_ashrrev_i32_e32 v77, 31, v76
	v_lshl_add_u64 v[48:49], v[74:75], 2, v[16:17]
	v_ashrrev_i32_e32 v73, 31, v72
	global_load_dword v18, v[42:43], off
	v_ashrrev_i32_e32 v79, 31, v78
	global_load_dword v48, v[48:49], off
	v_lshl_add_u64 v[42:43], v[76:77], 2, v[16:17]
	v_lshl_add_u64 v[72:73], v[72:73], 2, v[16:17]
	global_load_dword v41, v[42:43], off
	global_load_dword v60, v[72:73], off
	v_lshl_add_u64 v[42:43], v[78:79], 2, v[16:17]
	v_add_u32_e32 v78, s69, v38
	v_ashrrev_i32_e32 v79, 31, v78
	v_add_u32_e32 v80, s56, v38
	v_lshl_add_u64 v[74:75], v[78:79], 2, v[16:17]
	v_add_u32_e32 v78, s73, v38
	v_add_u32_e32 v82, s57, v38
	v_ashrrev_i32_e32 v81, 31, v80
	v_ashrrev_i32_e32 v79, 31, v78
	v_lshl_add_u64 v[76:77], v[80:81], 2, v[16:17]
	v_ashrrev_i32_e32 v83, 31, v82
	v_lshl_add_u64 v[72:73], v[78:79], 2, v[16:17]
	global_load_dword v42, v[42:43], off
	v_add_u32_e32 v80, s71, v38
	global_load_dword v49, v[74:75], off
	global_load_dword v63, v[72:73], off
	;; [unrolled: 1-line block ×3, first 2 shown]
	v_lshl_add_u64 v[76:77], v[82:83], 2, v[16:17]
	global_load_dword v44, v[76:77], off
	v_add_u32_e32 v76, s70, v38
	v_ashrrev_i32_e32 v77, 31, v76
	v_lshl_add_u64 v[74:75], v[76:77], 2, v[16:17]
	v_add_u32_e32 v76, s74, v38
	v_ashrrev_i32_e32 v77, 31, v76
	v_ashrrev_i32_e32 v81, 31, v80
	v_lshl_add_u64 v[72:73], v[76:77], 2, v[16:17]
	global_load_dword v51, v[74:75], off
	global_load_dword v64, v[72:73], off
	v_lshl_add_u64 v[74:75], v[80:81], 2, v[16:17]
	v_add_u32_e32 v80, s75, v38
	v_add_u32_e32 v82, s72, v38
	v_ashrrev_i32_e32 v81, 31, v80
	v_add_u32_e32 v84, s28, v38
	v_ashrrev_i32_e32 v83, 31, v82
	v_lshl_add_u64 v[72:73], v[80:81], 2, v[16:17]
	global_load_dword v55, v[74:75], off
	global_load_dword v67, v[72:73], off
	v_lshl_add_u64 v[74:75], v[82:83], 2, v[16:17]
	v_ashrrev_i32_e32 v85, 31, v84
	global_load_dword v56, v[74:75], off
	v_lshl_add_u64 v[74:75], v[84:85], 2, v[16:17]
	global_load_dword v59, v[74:75], off
	v_add_u32_e32 v74, s76, v38
	v_add_u32_e32 v76, s26, v38
	v_ashrrev_i32_e32 v75, 31, v74
	v_lshl_add_u64 v[72:73], v[74:75], 2, v[16:17]
	v_ashrrev_i32_e32 v77, 31, v76
	v_add_u32_e32 v74, s27, v38
	global_load_dword v69, v[72:73], off
	v_lshl_add_u64 v[72:73], v[76:77], 2, v[16:17]
	v_ashrrev_i32_e32 v75, 31, v74
	global_load_dword v71, v[72:73], off
	v_lshl_add_u64 v[72:73], v[74:75], 2, v[16:17]
	v_add_u32_e32 v74, s77, v38
	v_ashrrev_i32_e32 v75, 31, v74
	v_lshl_add_u64 v[74:75], v[74:75], 2, v[16:17]
	global_load_dword v72, v[72:73], off
	v_add_u32_e32 v76, s79, v38
	global_load_dword v73, v[74:75], off
	v_add_u32_e32 v74, s78, v38
	v_ashrrev_i32_e32 v75, 31, v74
	v_ashrrev_i32_e32 v77, 31, v76
	v_lshl_add_u64 v[74:75], v[74:75], 2, v[16:17]
	v_lshl_add_u64 v[76:77], v[76:77], 2, v[16:17]
	global_load_dword v74, v[74:75], off
	v_add_u32_e32 v78, s81, v38
	global_load_dword v75, v[76:77], off
	v_add_u32_e32 v76, s80, v38
	v_ashrrev_i32_e32 v77, 31, v76
	v_ashrrev_i32_e32 v79, 31, v78
	v_lshl_add_u64 v[76:77], v[76:77], 2, v[16:17]
	;; [unrolled: 8-line block ×9, first 2 shown]
	v_lshl_add_u64 v[92:93], v[92:93], 2, v[16:17]
	global_load_dword v90, v[90:91], off
	v_add_u32_e32 v94, s31, v38
	global_load_dword v91, v[92:93], off
	v_add_u32_e32 v92, s96, v38
	v_ashrrev_i32_e32 v93, 31, v92
	v_lshl_add_u64 v[92:93], v[92:93], 2, v[16:17]
	global_load_dword v106, v[92:93], off
	s_nop 0
	global_load_dword v92, v[20:21], off
	s_waitcnt vmcnt(62)
	ds_write_b32 v39, v45 offset:264
	v_ashrrev_i32_e32 v95, 31, v94
	v_lshl_add_u64 v[94:95], v[94:95], 3, s[0:1]
	v_lshl_add_u64 v[20:21], v[20:21], 0, s[20:21]
	s_waitcnt vmcnt(0)
	ds_write_b32 v39, v92
	global_load_dwordx2 v[92:93], v[22:23], off
	s_waitcnt vmcnt(0)
	v_cvt_pk_f16_f32 v107, v92, v93
	v_lshl_add_u64 v[92:93], v[22:23], 0, s[12:13]
	global_load_dwordx2 v[92:93], v[92:93], off
	ds_write_b32 v39, v46 offset:528
	ds_write_b32 v39, v47 offset:792
	ds_write_b32 v39, v50 offset:1056
	ds_write_b32 v39, v52 offset:1320
	ds_write_b32 v39, v53 offset:1584
	ds_write_b32 v39, v54 offset:1848
	ds_write_b32 v39, v57 offset:2112
	ds_write_b32 v39, v58 offset:2376
	ds_write_b32 v39, v61 offset:2640
	ds_write_b32 v39, v62 offset:2904
	ds_write_b32 v39, v65 offset:3168
	ds_write_b32 v39, v66 offset:3432
	ds_write_b32 v39, v68 offset:3696
	ds_write_b32 v39, v70 offset:3960
	v_add_u32_e32 v46, s14, v38
	v_add_u32_e32 v52, s19, v38
	v_ashrrev_i32_e32 v47, 31, v46
	v_ashrrev_i32_e32 v53, 31, v52
	v_lshl_add_u64 v[46:47], v[46:47], 3, s[0:1]
	v_lshl_add_u64 v[52:53], v[52:53], 3, s[0:1]
	v_lshl_add_u64 v[22:23], v[22:23], 0, s[22:23]
	s_waitcnt vmcnt(0)
	v_cvt_pk_f16_f32 v108, v92, v93
	v_add_u32_e32 v92, s30, v38
	v_ashrrev_i32_e32 v93, 31, v92
	v_lshl_add_u64 v[92:93], v[92:93], 3, s[0:1]
	global_load_dwordx2 v[46:47], v[46:47], off
	s_nop 0
	global_load_dwordx2 v[52:53], v[52:53], off
	s_nop 0
	;; [unrolled: 2-line block ×3, first 2 shown]
	global_load_dwordx2 v[94:95], v[94:95], off
	s_waitcnt vmcnt(3)
	v_cvt_pk_f16_f32 v109, v46, v47
	s_waitcnt vmcnt(2)
	v_cvt_pk_f16_f32 v110, v52, v53
	s_waitcnt vmcnt(1)
	v_cvt_pk_f16_f32 v111, v92, v93
	s_waitcnt vmcnt(0)
	v_cvt_pk_f16_f32 v112, v94, v95
	v_add_u32_e32 v46, s33, v38
	v_add_u32_e32 v52, s34, v38
	;; [unrolled: 1-line block ×4, first 2 shown]
	v_ashrrev_i32_e32 v47, 31, v46
	v_ashrrev_i32_e32 v53, 31, v52
	;; [unrolled: 1-line block ×4, first 2 shown]
	v_lshl_add_u64 v[46:47], v[46:47], 3, s[0:1]
	v_lshl_add_u64 v[52:53], v[52:53], 3, s[0:1]
	;; [unrolled: 1-line block ×4, first 2 shown]
	global_load_dwordx2 v[46:47], v[46:47], off
	s_nop 0
	global_load_dwordx2 v[52:53], v[52:53], off
	s_nop 0
	;; [unrolled: 2-line block ×3, first 2 shown]
	global_load_dwordx2 v[94:95], v[94:95], off
	s_waitcnt vmcnt(3)
	v_cvt_pk_f16_f32 v113, v46, v47
	s_waitcnt vmcnt(2)
	v_cvt_pk_f16_f32 v114, v52, v53
	;; [unrolled: 2-line block ×3, first 2 shown]
	v_add_u32_e32 v46, s37, v38
	v_add_u32_e32 v52, s38, v38
	;; [unrolled: 1-line block ×3, first 2 shown]
	v_ashrrev_i32_e32 v47, 31, v46
	v_ashrrev_i32_e32 v53, 31, v52
	;; [unrolled: 1-line block ×3, first 2 shown]
	v_lshl_add_u64 v[46:47], v[46:47], 3, s[0:1]
	v_lshl_add_u64 v[52:53], v[52:53], 3, s[0:1]
	;; [unrolled: 1-line block ×3, first 2 shown]
	global_load_dwordx2 v[46:47], v[46:47], off
	s_nop 0
	global_load_dwordx2 v[52:53], v[52:53], off
	s_nop 0
	global_load_dwordx2 v[92:93], v[92:93], off
	s_waitcnt vmcnt(3)
	v_cvt_pk_f16_f32 v116, v94, v95
	v_add_u32_e32 v38, 0x180, v38
	v_cmp_le_i32_e32 vcc, s5, v38
	s_or_b64 s[16:17], vcc, s[16:17]
	s_waitcnt vmcnt(2)
	v_cvt_pk_f16_f32 v117, v46, v47
	s_waitcnt vmcnt(1)
	v_cvt_pk_f16_f32 v118, v52, v53
	;; [unrolled: 2-line block ×3, first 2 shown]
	ds_read_b64 v[46:47], v40
	ds_read_b64 v[52:53], v40 offset:32
	ds_read_b64 v[92:93], v40 offset:64
	ds_read_b64 v[94:95], v40 offset:96
	ds_read_b64 v[96:97], v40 offset:128
	ds_read_b64 v[98:99], v40 offset:160
	ds_read_b64 v[100:101], v40 offset:192
	ds_read_b64 v[102:103], v40 offset:224
	ds_write_b32 v39, v18
	ds_write_b32 v39, v41 offset:264
	ds_write_b32 v39, v42 offset:528
	ds_write_b32 v39, v43 offset:792
	ds_write_b32 v39, v44 offset:1056
	ds_write_b32 v39, v26 offset:1320
	ds_write_b32 v39, v27 offset:1584
	ds_write_b32 v39, v24 offset:1848
	ds_write_b32 v39, v25 offset:2112
	ds_write_b32 v39, v28 offset:2376
	ds_write_b32 v39, v29 offset:2640
	ds_write_b32 v39, v30 offset:2904
	ds_write_b32 v39, v31 offset:3168
	ds_write_b32 v39, v32 offset:3432
	ds_write_b32 v39, v33 offset:3696
	ds_write_b32 v39, v48 offset:3960
	ds_read_b64 v[24:25], v40
	ds_read_b64 v[26:27], v40 offset:32
	ds_read_b64 v[28:29], v40 offset:64
	ds_read_b64 v[30:31], v40 offset:96
	ds_read_b64 v[32:33], v40 offset:128
	ds_read_b64 v[42:43], v40 offset:160
	ds_read_b64 v[44:45], v40 offset:192
	ds_read_b64 v[104:105], v40 offset:224
	ds_write_b32 v39, v49
	ds_write_b32 v39, v51 offset:264
	ds_write_b32 v39, v55 offset:528
	ds_write_b32 v39, v56 offset:792
	ds_write_b32 v39, v59 offset:1056
	ds_write_b32 v39, v60 offset:1320
	ds_write_b32 v39, v63 offset:1584
	ds_write_b32 v39, v64 offset:1848
	ds_write_b32 v39, v67 offset:2112
	ds_write_b32 v39, v69 offset:2376
	ds_write_b32 v39, v71 offset:2640
	ds_write_b32 v39, v72 offset:2904
	ds_write_b32 v39, v73 offset:3168
	ds_write_b32 v39, v74 offset:3432
	ds_write_b32 v39, v75 offset:3696
	ds_write_b32 v39, v76 offset:3960
	ds_read_b64 v[48:49], v40
	ds_read_b64 v[50:51], v40 offset:32
	ds_read_b64 v[54:55], v40 offset:64
	ds_read_b64 v[56:57], v40 offset:96
	ds_read_b64 v[58:59], v40 offset:128
	ds_read_b64 v[60:61], v40 offset:160
	ds_read_b64 v[62:63], v40 offset:192
	ds_read_b64 v[64:65], v40 offset:224
	ds_write_b32 v39, v77
	ds_write_b32 v39, v78 offset:264
	ds_write_b32 v39, v79 offset:528
	ds_write_b32 v39, v80 offset:792
	ds_write_b32 v39, v81 offset:1056
	ds_write_b32 v39, v82 offset:1320
	ds_write_b32 v39, v83 offset:1584
	ds_write_b32 v39, v84 offset:1848
	ds_write_b32 v39, v85 offset:2112
	ds_write_b32 v39, v86 offset:2376
	ds_write_b32 v39, v87 offset:2640
	ds_write_b32 v39, v88 offset:2904
	ds_write_b32 v39, v89 offset:3168
	ds_write_b32 v39, v90 offset:3432
	ds_write_b32 v39, v91 offset:3696
	ds_write_b32 v39, v106 offset:3960
	ds_read_b64 v[66:67], v40
	ds_read_b64 v[68:69], v40 offset:32
	ds_read_b64 v[70:71], v40 offset:64
	ds_read_b64 v[72:73], v40 offset:96
	ds_read_b64 v[74:75], v40 offset:128
	ds_read_b64 v[76:77], v40 offset:160
	ds_read_b64 v[78:79], v40 offset:192
	ds_read_b64 v[80:81], v40 offset:224
	ds_write_b32 v39, v107
	ds_write_b32 v39, v108 offset:264
	ds_write_b32 v39, v109 offset:528
	ds_write_b32 v39, v110 offset:792
	ds_write_b32 v39, v111 offset:1056
	ds_write_b32 v39, v112 offset:1320
	ds_write_b32 v39, v113 offset:1584
	ds_write_b32 v39, v114 offset:1848
	ds_write_b32 v39, v115 offset:2112
	ds_write_b32 v39, v116 offset:2376
	ds_write_b32 v39, v117 offset:2640
	ds_write_b32 v39, v118 offset:2904
	ds_write_b32 v39, v119 offset:3168
	ds_write_b32 v39, v19 offset:3432
	ds_write_b32 v39, v19 offset:3696
	ds_write_b32 v39, v19 offset:3960
	ds_read_b64 v[82:83], v40
	ds_read_b64 v[84:85], v40 offset:32
	ds_read_b64 v[86:87], v40 offset:64
	;; [unrolled: 1-line block ×3, first 2 shown]
	s_waitcnt lgkmcnt(3)
	v_mfma_f32_16x16x16_f16 v[12:15], v[46:47], v[82:83], v[12:15]
	v_mfma_f32_16x16x16_f16 v[8:11], v[24:25], v[82:83], v[8:11]
	ds_read_b64 v[24:25], v40 offset:128
	v_mfma_f32_16x16x16_f16 v[0:3], v[48:49], v[82:83], v[0:3]
	v_mfma_f32_16x16x16_f16 v[4:7], v[66:67], v[82:83], v[4:7]
	s_waitcnt lgkmcnt(3)
	v_mfma_f32_16x16x16_f16 v[12:15], v[52:53], v[84:85], v[12:15]
	v_mfma_f32_16x16x16_f16 v[8:11], v[26:27], v[84:85], v[8:11]
	v_mfma_f32_16x16x16_f16 v[0:3], v[50:51], v[84:85], v[0:3]
	v_mfma_f32_16x16x16_f16 v[4:7], v[68:69], v[84:85], v[4:7]
	s_waitcnt lgkmcnt(2)
	v_mfma_f32_16x16x16_f16 v[12:15], v[92:93], v[86:87], v[12:15]
	v_mfma_f32_16x16x16_f16 v[8:11], v[28:29], v[86:87], v[8:11]
	;; [unrolled: 5-line block ×3, first 2 shown]
	ds_read_b64 v[26:27], v40 offset:160
	ds_read_b64 v[28:29], v40 offset:192
	;; [unrolled: 1-line block ×3, first 2 shown]
	v_mfma_f32_16x16x16_f16 v[0:3], v[56:57], v[88:89], v[0:3]
	v_mfma_f32_16x16x16_f16 v[4:7], v[72:73], v[88:89], v[4:7]
	s_waitcnt lgkmcnt(3)
	v_mfma_f32_16x16x16_f16 v[12:15], v[96:97], v[24:25], v[12:15]
	v_mfma_f32_16x16x16_f16 v[8:11], v[32:33], v[24:25], v[8:11]
	v_mfma_f32_16x16x16_f16 v[0:3], v[58:59], v[24:25], v[0:3]
	v_mfma_f32_16x16x16_f16 v[4:7], v[74:75], v[24:25], v[4:7]
	s_waitcnt lgkmcnt(2)
	v_mfma_f32_16x16x16_f16 v[12:15], v[98:99], v[26:27], v[12:15]
	v_mfma_f32_16x16x16_f16 v[8:11], v[42:43], v[26:27], v[8:11]
	;; [unrolled: 5-line block ×4, first 2 shown]
	v_mfma_f32_16x16x16_f16 v[0:3], v[64:65], v[30:31], v[0:3]
	v_mfma_f32_16x16x16_f16 v[4:7], v[80:81], v[30:31], v[4:7]
	s_andn2_b64 exec, exec, s[16:17]
	s_cbranch_execnz .LBB116_4
; %bb.5:
	s_or_b64 exec, exec, s[16:17]
.LBB116_6:
	s_or_b64 exec, exec, s[24:25]
	s_waitcnt lgkmcnt(0)
	s_mul_hi_i32 s1, s15, s4
	s_mul_i32 s0, s15, s4
	s_lshl_b64 s[0:1], s[0:1], 2
	s_mul_i32 s4, s11, s3
	s_add_u32 s3, s6, s0
	s_addc_u32 s6, s7, s1
	s_ashr_i32 s5, s4, 31
	v_lshl_add_u32 v16, v36, 2, 0
	v_mul_u32_u24_e32 v17, 0x608, v37
	v_and_b32_e32 v18, 0x3f0, v35
	s_lshl_b64 s[0:1], s[4:5], 2
	v_add3_u32 v16, v16, v17, v18
	s_add_u32 s0, s3, s0
	s_barrier
	s_movk_i32 s3, 0x608
	ds_write2_b32 v16, v12, v13 offset1:1
	ds_write2_b32 v16, v14, v15 offset0:2 offset1:3
	ds_write2_b32 v16, v8, v9 offset0:16 offset1:17
	;; [unrolled: 1-line block ×7, first 2 shown]
	v_lshl_add_u32 v1, v35, 2, 0
	v_mad_u32_u24 v8, v34, s3, v1
	s_waitcnt lgkmcnt(0)
	s_barrier
	ds_read2st64_b32 v[2:3], v8 offset1:1
	ds_read2st64_b32 v[4:5], v8 offset0:2 offset1:3
	ds_read2st64_b32 v[6:7], v8 offset0:4 offset1:5
	v_add_u32_e32 v11, 48, v8
	v_add_u32_e32 v0, s2, v35
	s_waitcnt lgkmcnt(2)
	v_add_f32_e32 v2, 0, v2
	v_add_f32_e32 v2, v2, v3
	s_waitcnt lgkmcnt(1)
	v_add_f32_e32 v2, v2, v4
	v_add_f32_e32 v2, v2, v5
	s_waitcnt lgkmcnt(0)
	v_add_f32_e32 v2, v2, v6
	ds_read2st64_b32 v[4:5], v11 offset0:36 offset1:37
	ds_read2st64_b32 v[8:9], v11 offset0:38 offset1:39
	v_add_f32_e32 v10, v2, v7
	v_mad_u64_u32 v[2:3], s[2:3], v34, s18, v[0:1]
	s_addc_u32 s1, s6, s1
	v_mov_b32_e32 v3, 0
	v_lshl_add_u64 v[6:7], v[2:3], 2, s[0:1]
	global_store_dword v[6:7], v10, off
	ds_read2st64_b32 v[6:7], v11 offset0:40 offset1:41
	s_waitcnt lgkmcnt(2)
	v_add_f32_e32 v4, 0, v4
	v_add_f32_e32 v4, v4, v5
	s_waitcnt lgkmcnt(1)
	v_add_f32_e32 v4, v4, v8
	v_add_f32_e32 v4, v4, v9
	;; [unrolled: 3-line block ×3, first 2 shown]
	v_mad_u64_u32 v[4:5], s[2:3], s18, 6, v[2:3]
	v_mov_b32_e32 v5, v3
	v_lshl_add_u64 v[4:5], v[4:5], 2, s[0:1]
	v_cmp_eq_u32_e32 vcc, 0, v34
	global_store_dword v[4:5], v6, off
	s_and_saveexec_b64 s[2:3], vcc
	s_cbranch_execz .LBB116_8
; %bb.7:
	v_add_u32_e32 v2, 0x60, v1
	ds_read2st64_b32 v[4:5], v2 offset0:72 offset1:73
	ds_read2st64_b32 v[6:7], v2 offset0:74 offset1:75
	v_mad_u64_u32 v[0:1], s[2:3], s18, 12, v[0:1]
	ds_read2st64_b32 v[8:9], v2 offset0:76 offset1:77
	s_waitcnt lgkmcnt(2)
	v_add_f32_e32 v1, 0, v4
	v_add_f32_e32 v1, v1, v5
	s_waitcnt lgkmcnt(1)
	v_add_f32_e32 v1, v1, v6
	v_add_f32_e32 v1, v1, v7
	;; [unrolled: 3-line block ×3, first 2 shown]
	v_mov_b32_e32 v1, v3
	v_lshl_add_u64 v[0:1], v[0:1], 2, s[0:1]
	global_store_dword v[0:1], v2, off
.LBB116_8:
	s_endpgm
	.section	.rodata,"a",@progbits
	.p2align	6, 0x0
	.amdhsa_kernel _ZL9mul_mat_fI7__half2Li64ELi13ELi6ELb0EEvPKT_PKfPKiPfiiiiiiiiiiiiiiii
		.amdhsa_group_segment_fixed_size 0
		.amdhsa_private_segment_fixed_size 0
		.amdhsa_kernarg_size 96
		.amdhsa_user_sgpr_count 2
		.amdhsa_user_sgpr_dispatch_ptr 0
		.amdhsa_user_sgpr_queue_ptr 0
		.amdhsa_user_sgpr_kernarg_segment_ptr 1
		.amdhsa_user_sgpr_dispatch_id 0
		.amdhsa_user_sgpr_kernarg_preload_length 0
		.amdhsa_user_sgpr_kernarg_preload_offset 0
		.amdhsa_user_sgpr_private_segment_size 0
		.amdhsa_uses_dynamic_stack 0
		.amdhsa_enable_private_segment 0
		.amdhsa_system_sgpr_workgroup_id_x 1
		.amdhsa_system_sgpr_workgroup_id_y 1
		.amdhsa_system_sgpr_workgroup_id_z 1
		.amdhsa_system_sgpr_workgroup_info 0
		.amdhsa_system_vgpr_workitem_id 1
		.amdhsa_next_free_vgpr 120
		.amdhsa_next_free_sgpr 97
		.amdhsa_accum_offset 120
		.amdhsa_reserve_vcc 1
		.amdhsa_float_round_mode_32 0
		.amdhsa_float_round_mode_16_64 0
		.amdhsa_float_denorm_mode_32 3
		.amdhsa_float_denorm_mode_16_64 3
		.amdhsa_dx10_clamp 1
		.amdhsa_ieee_mode 1
		.amdhsa_fp16_overflow 0
		.amdhsa_tg_split 0
		.amdhsa_exception_fp_ieee_invalid_op 0
		.amdhsa_exception_fp_denorm_src 0
		.amdhsa_exception_fp_ieee_div_zero 0
		.amdhsa_exception_fp_ieee_overflow 0
		.amdhsa_exception_fp_ieee_underflow 0
		.amdhsa_exception_fp_ieee_inexact 0
		.amdhsa_exception_int_div_zero 0
	.end_amdhsa_kernel
	.section	.text._ZL9mul_mat_fI7__half2Li64ELi13ELi6ELb0EEvPKT_PKfPKiPfiiiiiiiiiiiiiiii,"axG",@progbits,_ZL9mul_mat_fI7__half2Li64ELi13ELi6ELb0EEvPKT_PKfPKiPfiiiiiiiiiiiiiiii,comdat
.Lfunc_end116:
	.size	_ZL9mul_mat_fI7__half2Li64ELi13ELi6ELb0EEvPKT_PKfPKiPfiiiiiiiiiiiiiiii, .Lfunc_end116-_ZL9mul_mat_fI7__half2Li64ELi13ELi6ELb0EEvPKT_PKfPKiPfiiiiiiiiiiiiiiii
                                        ; -- End function
	.set _ZL9mul_mat_fI7__half2Li64ELi13ELi6ELb0EEvPKT_PKfPKiPfiiiiiiiiiiiiiiii.num_vgpr, 120
	.set _ZL9mul_mat_fI7__half2Li64ELi13ELi6ELb0EEvPKT_PKfPKiPfiiiiiiiiiiiiiiii.num_agpr, 0
	.set _ZL9mul_mat_fI7__half2Li64ELi13ELi6ELb0EEvPKT_PKfPKiPfiiiiiiiiiiiiiiii.numbered_sgpr, 97
	.set _ZL9mul_mat_fI7__half2Li64ELi13ELi6ELb0EEvPKT_PKfPKiPfiiiiiiiiiiiiiiii.num_named_barrier, 0
	.set _ZL9mul_mat_fI7__half2Li64ELi13ELi6ELb0EEvPKT_PKfPKiPfiiiiiiiiiiiiiiii.private_seg_size, 0
	.set _ZL9mul_mat_fI7__half2Li64ELi13ELi6ELb0EEvPKT_PKfPKiPfiiiiiiiiiiiiiiii.uses_vcc, 1
	.set _ZL9mul_mat_fI7__half2Li64ELi13ELi6ELb0EEvPKT_PKfPKiPfiiiiiiiiiiiiiiii.uses_flat_scratch, 0
	.set _ZL9mul_mat_fI7__half2Li64ELi13ELi6ELb0EEvPKT_PKfPKiPfiiiiiiiiiiiiiiii.has_dyn_sized_stack, 0
	.set _ZL9mul_mat_fI7__half2Li64ELi13ELi6ELb0EEvPKT_PKfPKiPfiiiiiiiiiiiiiiii.has_recursion, 0
	.set _ZL9mul_mat_fI7__half2Li64ELi13ELi6ELb0EEvPKT_PKfPKiPfiiiiiiiiiiiiiiii.has_indirect_call, 0
	.section	.AMDGPU.csdata,"",@progbits
; Kernel info:
; codeLenInByte = 4844
; TotalNumSgprs: 103
; NumVgprs: 120
; NumAgprs: 0
; TotalNumVgprs: 120
; ScratchSize: 0
; MemoryBound: 0
; FloatMode: 240
; IeeeMode: 1
; LDSByteSize: 0 bytes/workgroup (compile time only)
; SGPRBlocks: 12
; VGPRBlocks: 14
; NumSGPRsForWavesPerEU: 103
; NumVGPRsForWavesPerEU: 120
; AccumOffset: 120
; Occupancy: 4
; WaveLimiterHint : 0
; COMPUTE_PGM_RSRC2:SCRATCH_EN: 0
; COMPUTE_PGM_RSRC2:USER_SGPR: 2
; COMPUTE_PGM_RSRC2:TRAP_HANDLER: 0
; COMPUTE_PGM_RSRC2:TGID_X_EN: 1
; COMPUTE_PGM_RSRC2:TGID_Y_EN: 1
; COMPUTE_PGM_RSRC2:TGID_Z_EN: 1
; COMPUTE_PGM_RSRC2:TIDIG_COMP_CNT: 1
; COMPUTE_PGM_RSRC3_GFX90A:ACCUM_OFFSET: 29
; COMPUTE_PGM_RSRC3_GFX90A:TG_SPLIT: 0
	.section	.text._ZL13mul_mat_f_idsI7__half2Li64ELi13ELi7EEvPKT_PKfPKiS7_S7_Pfiiiiiiiiiiiiii15HIP_vector_typeIjLj3EESA_,"axG",@progbits,_ZL13mul_mat_f_idsI7__half2Li64ELi13ELi7EEvPKT_PKfPKiS7_S7_Pfiiiiiiiiiiiiii15HIP_vector_typeIjLj3EESA_,comdat
	.globl	_ZL13mul_mat_f_idsI7__half2Li64ELi13ELi7EEvPKT_PKfPKiS7_S7_Pfiiiiiiiiiiiiii15HIP_vector_typeIjLj3EESA_ ; -- Begin function _ZL13mul_mat_f_idsI7__half2Li64ELi13ELi7EEvPKT_PKfPKiS7_S7_Pfiiiiiiiiiiiiii15HIP_vector_typeIjLj3EESA_
	.p2align	8
	.type	_ZL13mul_mat_f_idsI7__half2Li64ELi13ELi7EEvPKT_PKfPKiS7_S7_Pfiiiiiiiiiiiiii15HIP_vector_typeIjLj3EESA_,@function
_ZL13mul_mat_f_idsI7__half2Li64ELi13ELi7EEvPKT_PKfPKiS7_S7_Pfiiiiiiiiiiiiii15HIP_vector_typeIjLj3EESA_: ; @_ZL13mul_mat_f_idsI7__half2Li64ELi13ELi7EEvPKT_PKfPKiS7_S7_Pfiiiiiiiiiiiiii15HIP_vector_typeIjLj3EESA_
; %bb.0:
	s_load_dwordx2 s[6:7], s[0:1], 0x20
	s_mov_b32 s34, s3
	s_ashr_i32 s35, s3, 31
	s_lshl_b64 s[8:9], s[34:35], 2
	s_waitcnt lgkmcnt(0)
	s_add_u32 s6, s6, s8
	s_addc_u32 s7, s7, s9
	s_load_dwordx2 s[30:31], s[6:7], 0x0
	s_waitcnt lgkmcnt(0)
	s_sub_i32 s26, s31, s30
	s_add_i32 s3, s26, 12
	s_mul_hi_i32 s3, s3, 0x4ec4ec4f
	s_lshr_b32 s5, s3, 31
	s_ashr_i32 s3, s3, 2
	s_add_i32 s3, s3, s5
	s_cmp_ge_i32 s4, s3
	s_cbranch_scc1 .LBB117_53
; %bb.1:
	v_bfe_u32 v16, v0, 10, 10
	v_lshlrev_b32_e32 v86, 6, v16
	v_and_b32_e32 v17, 0x3ff, v0
	s_load_dwordx4 s[12:15], s[0:1], 0x30
	s_load_dwordx2 s[20:21], s[0:1], 0x40
	s_load_dwordx4 s[8:11], s[0:1], 0x4c
	s_load_dwordx4 s[16:19], s[0:1], 0x68
	s_load_dwordx2 s[24:25], s[0:1], 0x78
	v_add_u32_e32 v88, v86, v17
	s_ashr_i32 s31, s30, 31
	s_waitcnt lgkmcnt(0)
	v_cmp_le_i32_e32 vcc, s12, v88
	v_and_b32_e32 v87, 15, v17
	s_and_saveexec_b64 s[6:7], vcc
	s_xor_b64 s[6:7], exec, s[6:7]
; %bb.2:
	v_and_b32_e32 v87, 15, v17
                                        ; implicit-def: $vgpr88
; %bb.3:
	s_or_saveexec_b64 s[36:37], s[6:7]
	s_load_dwordx2 s[22:23], s[0:1], 0x18
	s_load_dwordx2 s[6:7], s[0:1], 0x28
                                        ; implicit-def: $vgpr118 : SGPR spill to VGPR lane
	v_mov_b32_e32 v15, 0
	s_lshl_b32 s11, s2, 6
	s_mul_i32 s28, s4, 13
	v_mov_b32_e32 v14, v15
	s_waitcnt lgkmcnt(0)
	v_writelane_b32 v118, s6, 0
	v_mov_b32_e32 v13, v15
	v_mov_b32_e32 v12, v15
	;; [unrolled: 1-line block ×14, first 2 shown]
	v_writelane_b32 v118, s7, 1
	s_xor_b64 exec, exec, s[36:37]
	s_cbranch_execz .LBB117_46
; %bb.4:
	s_load_dwordx4 s[4:7], s[0:1], 0x0
	s_load_dwordx2 s[2:3], s[0:1], 0x10
	v_writelane_b32 v118, s36, 2
	s_mul_i32 s0, s8, s34
	s_ashr_i32 s1, s0, 31
	v_writelane_b32 v118, s37, 3
	v_writelane_b32 v118, s22, 4
	s_lshl_b64 s[64:65], s[0:1], 2
	s_waitcnt lgkmcnt(0)
	s_add_u32 s0, s4, s64
	v_writelane_b32 v118, s23, 5
	s_mul_i32 s22, s15, s11
	v_writelane_b32 v118, s24, 6
	s_addc_u32 s1, s5, s65
	s_ashr_i32 s23, s22, 31
	v_writelane_b32 v118, s25, 7
	s_lshl_b64 s[66:67], s[22:23], 2
	v_writelane_b32 v118, s11, 8
	s_add_u32 s0, s0, s66
	s_addc_u32 s1, s1, s67
	v_writelane_b32 v118, s30, 9
	s_lshl_b64 s[22:23], s[30:31], 2
	s_add_u32 s8, s2, s22
	s_addc_u32 s11, s3, s23
	s_movk_i32 s2, 0x1080
	s_cmp_lt_i32 s28, s26
	v_writelane_b32 v118, s31, 10
	v_mad_u32_u24 v1, v16, s2, 0
	s_cselect_b64 s[2:3], -1, 0
	v_writelane_b32 v118, s2, 11
	s_ashr_i32 s29, s28, 31
	s_mov_b32 s22, s15
	v_writelane_b32 v118, s3, 12
	s_lshl_b64 s[2:3], s[28:29], 2
	s_add_u32 s36, s8, s2
	s_addc_u32 s37, s11, s3
	s_add_i32 s2, s28, 1
	s_cmp_lt_i32 s2, s26
	s_cselect_b64 s[2:3], -1, 0
	v_writelane_b32 v118, s2, 13
	v_lshrrev_b32_e32 v3, 1, v17
	v_mov_b32_e32 v19, 0
	v_writelane_b32 v118, s3, 14
	s_add_i32 s2, s28, 2
	s_cmp_lt_i32 s2, s26
	s_cselect_b64 s[2:3], -1, 0
	v_writelane_b32 v118, s2, 15
	v_lshlrev_b32_e32 v0, 2, v17
	v_mul_u32_u24_e32 v2, 0x108, v87
	v_writelane_b32 v118, s3, 16
	s_add_i32 s2, s28, 3
	s_cmp_lt_i32 s2, s26
	s_cselect_b64 s[2:3], -1, 0
	v_writelane_b32 v118, s2, 17
	v_and_b32_e32 v3, 0x1f8, v3
	v_lshlrev_b32_e32 v18, 8, v16
	v_writelane_b32 v118, s3, 18
	s_add_i32 s2, s28, 4
	s_cmp_lt_i32 s2, s26
	s_cselect_b64 s[2:3], -1, 0
	v_writelane_b32 v118, s2, 19
	v_add_u32_e32 v89, v1, v0
	v_add3_u32 v90, v1, v2, v3
	v_writelane_b32 v118, s3, 20
	s_add_i32 s2, s28, 5
	s_cmp_lt_i32 s2, s26
	s_cselect_b64 s[2:3], -1, 0
	v_writelane_b32 v118, s2, 21
	v_mov_b32_e32 v1, v19
	s_mul_i32 s8, s15, 3
	v_writelane_b32 v118, s3, 22
	s_add_i32 s2, s28, 6
	s_cmp_lt_i32 s2, s26
	s_cselect_b64 s[48:49], -1, 0
	s_add_i32 s2, s28, 7
	s_cmp_lt_i32 s2, s26
	s_cselect_b64 s[50:51], -1, 0
	;; [unrolled: 3-line block ×5, first 2 shown]
	s_add_i32 s2, s28, 11
	s_cmp_lt_i32 s2, s26
	s_mov_b32 s2, s28
	v_writelane_b32 v118, s2, 23
	s_cselect_b64 s[58:59], -1, 0
	s_mul_i32 s69, s15, 5
	v_writelane_b32 v118, s3, 24
	s_add_i32 s2, s28, 12
	s_cmp_lt_i32 s2, s26
	s_cselect_b64 s[60:61], -1, 0
	s_ashr_i32 s23, s15, 31
	s_add_i32 s3, s15, s15
	s_lshl_b32 s68, s15, 2
	s_lshl_b32 s72, s15, 3
	s_lshl_b32 s80, s15, 4
	s_lshl_b32 s85, s15, 5
	s_lshl_b64 s[62:63], s[22:23], 2
	s_add_u32 s22, s64, s66
	s_addc_u32 s23, s65, s67
	v_lshl_add_u64 v[2:3], s[22:23], 0, v[18:19]
	v_lshl_add_u64 v[0:1], v[2:3], 0, v[0:1]
	v_writelane_b32 v118, s26, 25
	s_mul_i32 s70, s15, 6
	s_mul_i32 s71, s15, 7
	;; [unrolled: 1-line block ×21, first 2 shown]
	v_lshl_add_u64 v[20:21], s[4:5], 0, v[0:1]
	v_mov_b32_e32 v8, 0
	v_mov_b32_e32 v9, v19
	;; [unrolled: 1-line block ×16, first 2 shown]
	s_mul_i32 s90, s15, 29
	s_mul_i32 s91, s15, 30
	;; [unrolled: 1-line block ×34, first 2 shown]
	s_mov_b32 s46, 0x5040100
	s_mov_b64 s[4:5], 0
	s_branch .LBB117_6
.LBB117_5:                              ;   in Loop: Header=BB117_6 Depth=1
	v_perm_b32 v18, v18, v91, s46
	v_perm_b32 v91, v93, v94, s46
	ds_write2_b32 v89, v18, v91 offset1:66
	v_perm_b32 v18, v95, v92, s46
	v_perm_b32 v91, v97, v98, s46
	ds_write2_b32 v89, v18, v91 offset0:132 offset1:198
	v_perm_b32 v18, v99, v96, s46
	v_perm_b32 v91, v101, v102, s46
	v_add_u32_e32 v92, 0x400, v89
	ds_write2_b32 v92, v18, v91 offset0:8 offset1:74
	v_perm_b32 v18, v103, v100, s46
	v_perm_b32 v91, v105, v106, s46
	ds_write2_b32 v92, v18, v91 offset0:140 offset1:206
	v_perm_b32 v18, v107, v104, s46
	v_perm_b32 v91, v109, v110, s46
	v_add_u32_e32 v92, 0x800, v89
	ds_write2_b32 v92, v18, v91 offset0:16 offset1:82
	v_perm_b32 v18, v111, v108, s46
	v_perm_b32 v91, v113, v114, s46
	ds_write2_b32 v92, v18, v91 offset0:148 offset1:214
	v_perm_b32 v18, v115, v112, s46
	v_add_u32_e32 v91, 0xc00, v89
	ds_write2_b32 v91, v18, v19 offset0:24 offset1:90
	ds_write2_b32 v91, v19, v19 offset0:156 offset1:222
	ds_read2_b64 v[92:95], v90 offset1:4
	s_waitcnt lgkmcnt(0)
	v_mfma_f32_16x16x16_f16 v[0:3], v[54:55], v[92:93], v[0:3]
	v_add_u32_e32 v88, 0x1c0, v88
	s_mov_b64 vcc, 0x700
	v_lshl_add_u64 v[20:21], v[20:21], 0, vcc
	v_mfma_f32_16x16x16_f16 v[8:11], v[38:39], v[92:93], v[8:11]
	v_cmp_le_i32_e32 vcc, s12, v88
	s_or_b64 s[4:5], vcc, s[4:5]
	v_mfma_f32_16x16x16_f16 v[4:7], v[70:71], v[92:93], v[4:7]
	v_mfma_f32_16x16x16_f16 v[12:15], v[84:85], v[92:93], v[12:15]
	v_mfma_f32_16x16x16_f16 v[0:3], v[52:53], v[94:95], v[0:3]
	ds_read2_b64 v[52:55], v90 offset0:8 offset1:12
	v_mfma_f32_16x16x16_f16 v[8:11], v[34:35], v[94:95], v[8:11]
	v_mfma_f32_16x16x16_f16 v[4:7], v[68:69], v[94:95], v[4:7]
	v_mfma_f32_16x16x16_f16 v[12:15], v[82:83], v[94:95], v[12:15]
	s_waitcnt lgkmcnt(0)
	v_mfma_f32_16x16x16_f16 v[8:11], v[32:33], v[52:53], v[8:11]
	v_mfma_f32_16x16x16_f16 v[0:3], v[48:49], v[52:53], v[0:3]
	v_mfma_f32_16x16x16_f16 v[4:7], v[66:67], v[52:53], v[4:7]
	v_mfma_f32_16x16x16_f16 v[12:15], v[78:79], v[52:53], v[12:15]
	v_mfma_f32_16x16x16_f16 v[8:11], v[30:31], v[54:55], v[8:11]
	ds_read2_b64 v[30:33], v90 offset0:16 offset1:20
	v_mfma_f32_16x16x16_f16 v[0:3], v[46:47], v[54:55], v[0:3]
	v_mfma_f32_16x16x16_f16 v[4:7], v[64:65], v[54:55], v[4:7]
	v_mfma_f32_16x16x16_f16 v[12:15], v[74:75], v[54:55], v[12:15]
	s_waitcnt lgkmcnt(0)
	v_mfma_f32_16x16x16_f16 v[8:11], v[28:29], v[30:31], v[8:11]
	v_mfma_f32_16x16x16_f16 v[0:3], v[44:45], v[30:31], v[0:3]
	;; [unrolled: 10-line block ×3, first 2 shown]
	v_mfma_f32_16x16x16_f16 v[4:7], v[56:57], v[26:27], v[4:7]
	v_mfma_f32_16x16x16_f16 v[12:15], v[72:73], v[26:27], v[12:15]
	;; [unrolled: 1-line block ×6, first 2 shown]
	s_andn2_b64 exec, exec, s[4:5]
	s_cbranch_execz .LBB117_45
.LBB117_6:                              ; =>This Inner Loop Header: Depth=1
	v_lshl_add_u64 v[22:23], v[20:21], 0, s[62:63]
	global_load_dword v18, v[20:21], off
	global_load_dword v48, v[22:23], off
	v_add_u32_e32 v22, s3, v88
	v_ashrrev_i32_e32 v23, 31, v22
	v_add_u32_e32 v24, s8, v88
	v_add_u32_e32 v26, s68, v88
	;; [unrolled: 1-line block ×5, first 2 shown]
	v_lshl_add_u64 v[22:23], v[22:23], 2, s[0:1]
	v_ashrrev_i32_e32 v25, 31, v24
	v_ashrrev_i32_e32 v27, 31, v26
	;; [unrolled: 1-line block ×5, first 2 shown]
	v_lshl_add_u64 v[24:25], v[24:25], 2, s[0:1]
	v_lshl_add_u64 v[26:27], v[26:27], 2, s[0:1]
	;; [unrolled: 1-line block ×5, first 2 shown]
	global_load_dword v49, v[22:23], off
	global_load_dword v50, v[24:25], off
	;; [unrolled: 1-line block ×6, first 2 shown]
	v_add_u32_e32 v22, s72, v88
	v_add_u32_e32 v40, s81, v88
	;; [unrolled: 1-line block ×10, first 2 shown]
	v_ashrrev_i32_e32 v23, 31, v22
	v_ashrrev_i32_e32 v41, 31, v40
	;; [unrolled: 1-line block ×10, first 2 shown]
	v_lshl_add_u64 v[22:23], v[22:23], 2, s[0:1]
	v_lshl_add_u64 v[40:41], v[40:41], 2, s[0:1]
	v_add_u32_e32 v42, s82, v88
	v_add_u32_e32 v44, s83, v88
	;; [unrolled: 1-line block ×3, first 2 shown]
	v_lshl_add_u64 v[24:25], v[24:25], 2, s[0:1]
	v_lshl_add_u64 v[26:27], v[26:27], 2, s[0:1]
	;; [unrolled: 1-line block ×8, first 2 shown]
	global_load_dword v55, v[22:23], off
	global_load_dword v56, v[24:25], off
	;; [unrolled: 1-line block ×9, first 2 shown]
	s_nop 0
	global_load_dword v40, v[40:41], off
	v_add_u32_e32 v22, s64, v88
	v_ashrrev_i32_e32 v43, 31, v42
	v_ashrrev_i32_e32 v45, 31, v44
	;; [unrolled: 1-line block ×4, first 2 shown]
	v_add_u32_e32 v24, s65, v88
	v_add_u32_e32 v26, s66, v88
	;; [unrolled: 1-line block ×4, first 2 shown]
	v_lshl_add_u64 v[42:43], v[42:43], 2, s[0:1]
	v_lshl_add_u64 v[44:45], v[44:45], 2, s[0:1]
	;; [unrolled: 1-line block ×4, first 2 shown]
	v_ashrrev_i32_e32 v25, 31, v24
	v_ashrrev_i32_e32 v27, 31, v26
	;; [unrolled: 1-line block ×4, first 2 shown]
	v_lshl_add_u64 v[24:25], v[24:25], 2, s[0:1]
	v_lshl_add_u64 v[26:27], v[26:27], 2, s[0:1]
	;; [unrolled: 1-line block ×4, first 2 shown]
	v_add_u32_e32 v32, s92, v88
	v_add_u32_e32 v34, s85, v88
	;; [unrolled: 1-line block ×3, first 2 shown]
	v_ashrrev_i32_e32 v33, 31, v32
	v_ashrrev_i32_e32 v35, 31, v34
	v_ashrrev_i32_e32 v37, 31, v36
	v_lshl_add_u64 v[32:33], v[32:33], 2, s[0:1]
	s_waitcnt vmcnt(17)
	ds_write_b32 v89, v18
	s_waitcnt vmcnt(16)
	ds_write_b32 v89, v48 offset:264
	s_waitcnt vmcnt(15)
	ds_write_b32 v89, v49 offset:528
	;; [unrolled: 2-line block ×7, first 2 shown]
	global_load_dword v18, v[42:43], off
	global_load_dword v41, v[44:45], off
	s_nop 0
	global_load_dword v42, v[46:47], off
	global_load_dword v43, v[22:23], off
	;; [unrolled: 1-line block ×4, first 2 shown]
	s_nop 0
	global_load_dword v46, v[28:29], off
	global_load_dword v47, v[30:31], off
	v_add_u32_e32 v22, s87, v88
	v_ashrrev_i32_e32 v23, 31, v22
	v_add_u32_e32 v24, s88, v88
	v_add_u32_e32 v26, s89, v88
	;; [unrolled: 1-line block ×4, first 2 shown]
	v_lshl_add_u64 v[22:23], v[22:23], 2, s[0:1]
	v_ashrrev_i32_e32 v25, 31, v24
	v_ashrrev_i32_e32 v27, 31, v26
	;; [unrolled: 1-line block ×4, first 2 shown]
	v_lshl_add_u64 v[24:25], v[24:25], 2, s[0:1]
	v_lshl_add_u64 v[26:27], v[26:27], 2, s[0:1]
	v_lshl_add_u64 v[28:29], v[28:29], 2, s[0:1]
	v_lshl_add_u64 v[30:31], v[30:31], 2, s[0:1]
	v_lshl_add_u64 v[34:35], v[34:35], 2, s[0:1]
	v_lshl_add_u64 v[36:37], v[36:37], 2, s[0:1]
	global_load_dword v48, v[22:23], off
	global_load_dword v49, v[24:25], off
	global_load_dword v50, v[26:27], off
	global_load_dword v51, v[28:29], off
	global_load_dword v52, v[30:31], off
	global_load_dword v53, v[32:33], off
	global_load_dword v64, v[34:35], off
	global_load_dword v65, v[36:37], off
	v_add_u32_e32 v22, s94, v88
	v_ashrrev_i32_e32 v23, 31, v22
	v_add_u32_e32 v24, s95, v88
	v_add_u32_e32 v26, s96, v88
	v_add_u32_e32 v28, s97, v88
	v_add_u32_e32 v30, s98, v88
	v_add_u32_e32 v32, s99, v88
	v_add_u32_e32 v34, s24, v88
	v_add_u32_e32 v36, s25, v88
	v_lshl_add_u64 v[22:23], v[22:23], 2, s[0:1]
	v_ashrrev_i32_e32 v25, 31, v24
	v_ashrrev_i32_e32 v27, 31, v26
	v_ashrrev_i32_e32 v29, 31, v28
	v_ashrrev_i32_e32 v31, 31, v30
	v_ashrrev_i32_e32 v33, 31, v32
	v_ashrrev_i32_e32 v35, 31, v34
	v_ashrrev_i32_e32 v37, 31, v36
	v_lshl_add_u64 v[24:25], v[24:25], 2, s[0:1]
	v_lshl_add_u64 v[26:27], v[26:27], 2, s[0:1]
	v_lshl_add_u64 v[28:29], v[28:29], 2, s[0:1]
	v_lshl_add_u64 v[30:31], v[30:31], 2, s[0:1]
	v_lshl_add_u64 v[32:33], v[32:33], 2, s[0:1]
	v_lshl_add_u64 v[34:35], v[34:35], 2, s[0:1]
	v_lshl_add_u64 v[36:37], v[36:37], 2, s[0:1]
	global_load_dword v66, v[22:23], off
	global_load_dword v67, v[24:25], off
	global_load_dword v68, v[26:27], off
	global_load_dword v69, v[28:29], off
	global_load_dword v70, v[30:31], off
	global_load_dword v71, v[32:33], off
	global_load_dword v72, v[34:35], off
	global_load_dword v73, v[36:37], off
	v_add_u32_e32 v22, s22, v88
	v_ashrrev_i32_e32 v23, 31, v22
	v_add_u32_e32 v24, s23, v88
	v_add_u32_e32 v26, s11, v88
	v_add_u32_e32 v28, s28, v88
	v_add_u32_e32 v30, s29, v88
	v_add_u32_e32 v32, s30, v88
	v_add_u32_e32 v34, s31, v88
	v_add_u32_e32 v36, s26, v88
	v_lshl_add_u64 v[22:23], v[22:23], 2, s[0:1]
	v_ashrrev_i32_e32 v25, 31, v24
	v_ashrrev_i32_e32 v27, 31, v26
	v_ashrrev_i32_e32 v29, 31, v28
	v_ashrrev_i32_e32 v31, 31, v30
	v_ashrrev_i32_e32 v33, 31, v32
	v_ashrrev_i32_e32 v35, 31, v34
	v_ashrrev_i32_e32 v37, 31, v36
	v_lshl_add_u64 v[24:25], v[24:25], 2, s[0:1]
	;; [unrolled: 32-line block ×3, first 2 shown]
	v_lshl_add_u64 v[26:27], v[26:27], 2, s[0:1]
	v_lshl_add_u64 v[28:29], v[28:29], 2, s[0:1]
	;; [unrolled: 1-line block ×6, first 2 shown]
	global_load_dword v82, v[22:23], off
	global_load_dword v83, v[24:25], off
	;; [unrolled: 1-line block ×8, first 2 shown]
	v_add_u32_e32 v22, s41, v88
	v_ashrrev_i32_e32 v23, 31, v22
	v_add_u32_e32 v24, s42, v88
	v_add_u32_e32 v26, s43, v88
	;; [unrolled: 1-line block ×5, first 2 shown]
	v_lshl_add_u64 v[22:23], v[22:23], 2, s[0:1]
	v_ashrrev_i32_e32 v25, 31, v24
	v_ashrrev_i32_e32 v27, 31, v26
	;; [unrolled: 1-line block ×5, first 2 shown]
	v_lshl_add_u64 v[24:25], v[24:25], 2, s[0:1]
	v_lshl_add_u64 v[26:27], v[26:27], 2, s[0:1]
	;; [unrolled: 1-line block ×5, first 2 shown]
	global_load_dword v95, v[22:23], off
	global_load_dword v96, v[24:25], off
	;; [unrolled: 1-line block ×6, first 2 shown]
	s_waitcnt vmcnt(55)
	ds_write_b32 v89, v55 offset:2112
	s_waitcnt vmcnt(54)
	ds_write_b32 v89, v56 offset:2376
	s_waitcnt vmcnt(53)
	ds_write_b32 v89, v57 offset:2640
	s_waitcnt vmcnt(52)
	ds_write_b32 v89, v58 offset:2904
	s_waitcnt vmcnt(51)
	ds_write_b32 v89, v59 offset:3168
	s_waitcnt vmcnt(50)
	ds_write_b32 v89, v60 offset:3432
	s_waitcnt vmcnt(49)
	ds_write_b32 v89, v61 offset:3696
	s_waitcnt vmcnt(48)
	ds_write_b32 v89, v62 offset:3960
	ds_read_b64 v[38:39], v90
	ds_read_b64 v[34:35], v90 offset:32
	ds_read_b64 v[32:33], v90 offset:64
	ds_read_b64 v[30:31], v90 offset:96
	ds_read_b64 v[28:29], v90 offset:128
	ds_read_b64 v[26:27], v90 offset:160
	ds_read_b64 v[24:25], v90 offset:192
	ds_read_b64 v[22:23], v90 offset:224
	s_waitcnt vmcnt(47)
	ds_write_b32 v89, v63
	s_waitcnt vmcnt(46)
	ds_write_b32 v89, v40 offset:264
	s_waitcnt vmcnt(45)
	ds_write_b32 v89, v18 offset:528
	s_waitcnt vmcnt(44)
	ds_write_b32 v89, v41 offset:792
	s_waitcnt vmcnt(43)
	ds_write_b32 v89, v42 offset:1056
	s_waitcnt vmcnt(42)
	ds_write_b32 v89, v43 offset:1320
	s_waitcnt vmcnt(41)
	ds_write_b32 v89, v44 offset:1584
	s_waitcnt vmcnt(40)
	ds_write_b32 v89, v45 offset:1848
	s_waitcnt vmcnt(39)
	ds_write_b32 v89, v46 offset:2112
	s_waitcnt vmcnt(38)
	ds_write_b32 v89, v47 offset:2376
	s_waitcnt vmcnt(37)
	ds_write_b32 v89, v48 offset:2640
	s_waitcnt vmcnt(36)
	ds_write_b32 v89, v49 offset:2904
	s_waitcnt vmcnt(35)
	ds_write_b32 v89, v50 offset:3168
	s_waitcnt vmcnt(34)
	ds_write_b32 v89, v51 offset:3432
	s_waitcnt vmcnt(33)
	ds_write_b32 v89, v52 offset:3696
	s_waitcnt vmcnt(32)
	ds_write_b32 v89, v53 offset:3960
	ds_read_b64 v[54:55], v90
	ds_read_b64 v[52:53], v90 offset:32
	ds_read_b64 v[48:49], v90 offset:64
	ds_read_b64 v[46:47], v90 offset:96
	ds_read_b64 v[44:45], v90 offset:128
	ds_read_b64 v[42:43], v90 offset:160
	ds_read_b64 v[40:41], v90 offset:192
	ds_read_b64 v[36:37], v90 offset:224
	s_waitcnt vmcnt(31)
	ds_write_b32 v89, v64
	s_waitcnt vmcnt(30)
	ds_write_b32 v89, v65 offset:264
	s_waitcnt vmcnt(29)
	ds_write_b32 v89, v66 offset:528
	s_waitcnt vmcnt(28)
	ds_write_b32 v89, v67 offset:792
	s_waitcnt vmcnt(27)
	ds_write_b32 v89, v68 offset:1056
	s_waitcnt vmcnt(26)
	ds_write_b32 v89, v69 offset:1320
	s_waitcnt vmcnt(25)
	ds_write_b32 v89, v70 offset:1584
	s_waitcnt vmcnt(24)
	ds_write_b32 v89, v71 offset:1848
	;; [unrolled: 40-line block ×3, first 2 shown]
	s_waitcnt vmcnt(7)
	ds_write_b32 v89, v93 offset:2112
	s_waitcnt vmcnt(6)
	ds_write_b32 v89, v94 offset:2376
	;; [unrolled: 2-line block ×8, first 2 shown]
	ds_read_b64 v[84:85], v90
	ds_read_b64 v[82:83], v90 offset:32
	ds_read_b64 v[78:79], v90 offset:64
	;; [unrolled: 1-line block ×7, first 2 shown]
	v_readlane_b32 vcc_lo, v118, 11
	v_readlane_b32 vcc_hi, v118, 12
	s_andn2_b64 vcc, exec, vcc
	v_mov_b32_e32 v91, 0
	v_mov_b32_e32 v18, 0
	s_cbranch_vccnz .LBB117_9
; %bb.7:                                ;   in Loop: Header=BB117_6 Depth=1
	s_load_dword s47, s[36:37], 0x0
	v_mov_b32_e32 v18, 0
	v_mov_b32_e32 v91, 0
	s_waitcnt lgkmcnt(0)
	s_mul_hi_u32 vcc_lo, s47, s16
	s_add_i32 vcc_lo, s47, vcc_lo
	s_lshr_b32 vcc_lo, vcc_lo, s17
	s_cmp_ge_i32 vcc_lo, s13
	s_cbranch_scc1 .LBB117_9
; %bb.8:                                ;   in Loop: Header=BB117_6 Depth=1
	s_mul_i32 vcc_hi, vcc_lo, s18
	s_sub_i32 s47, s47, vcc_hi
	s_mul_i32 vcc_lo, vcc_lo, s20
	s_mul_i32 s47, s47, s9
	v_add_u32_e32 v18, vcc_lo, v88
	v_lshl_add_u32 v92, v18, 1, s47
	v_ashrrev_i32_e32 v93, 31, v92
	v_lshl_add_u64 v[92:93], v[92:93], 2, s[6:7]
	global_load_dwordx2 v[92:93], v[92:93], off
	s_waitcnt vmcnt(0)
	v_cvt_f16_f32_e32 v91, v92
	v_cvt_f16_f32_e32 v18, v93
.LBB117_9:                              ;   in Loop: Header=BB117_6 Depth=1
	v_readlane_b32 vcc_lo, v118, 13
	v_readlane_b32 vcc_hi, v118, 14
	v_mov_b32_e32 v92, 0
	s_andn2_b64 vcc, exec, vcc
	v_mov_b32_e32 v94, 0
	v_mov_b32_e32 v93, 0
	s_cbranch_vccnz .LBB117_12
; %bb.10:                               ;   in Loop: Header=BB117_6 Depth=1
	s_load_dword s47, s[36:37], 0x4
	v_mov_b32_e32 v93, 0
	v_mov_b32_e32 v94, 0
	s_waitcnt lgkmcnt(0)
	s_mul_hi_u32 vcc_lo, s47, s16
	s_add_i32 vcc_lo, s47, vcc_lo
	s_lshr_b32 vcc_lo, vcc_lo, s17
	s_cmp_ge_i32 vcc_lo, s13
	s_cbranch_scc1 .LBB117_12
; %bb.11:                               ;   in Loop: Header=BB117_6 Depth=1
	s_mul_i32 vcc_hi, vcc_lo, s18
	s_sub_i32 s47, s47, vcc_hi
	s_mul_i32 vcc_lo, vcc_lo, s20
	s_mul_i32 s47, s47, s9
	v_add_u32_e32 v93, vcc_lo, v88
	v_lshl_add_u32 v94, v93, 1, s47
	v_ashrrev_i32_e32 v95, 31, v94
	v_lshl_add_u64 v[94:95], v[94:95], 2, s[6:7]
	global_load_dwordx2 v[94:95], v[94:95], off
	s_waitcnt vmcnt(0)
	v_cvt_f16_f32_e32 v94, v94
	v_cvt_f16_f32_e32 v93, v95
.LBB117_12:                             ;   in Loop: Header=BB117_6 Depth=1
	v_readlane_b32 vcc_lo, v118, 15
	v_readlane_b32 vcc_hi, v118, 16
	s_andn2_b64 vcc, exec, vcc
	v_mov_b32_e32 v95, 0
	s_cbranch_vccnz .LBB117_15
; %bb.13:                               ;   in Loop: Header=BB117_6 Depth=1
	s_load_dword s47, s[36:37], 0x8
	v_mov_b32_e32 v95, 0
	v_mov_b32_e32 v92, 0
	s_waitcnt lgkmcnt(0)
	s_mul_hi_u32 vcc_lo, s47, s16
	s_add_i32 vcc_lo, s47, vcc_lo
	s_lshr_b32 vcc_lo, vcc_lo, s17
	s_cmp_ge_i32 vcc_lo, s13
	s_cbranch_scc1 .LBB117_15
; %bb.14:                               ;   in Loop: Header=BB117_6 Depth=1
	s_mul_i32 vcc_hi, vcc_lo, s18
	s_sub_i32 s47, s47, vcc_hi
	s_mul_i32 vcc_lo, vcc_lo, s20
	s_mul_i32 s47, s47, s9
	v_add_u32_e32 v92, vcc_lo, v88
	v_lshl_add_u32 v96, v92, 1, s47
	v_ashrrev_i32_e32 v97, 31, v96
	v_lshl_add_u64 v[96:97], v[96:97], 2, s[6:7]
	global_load_dwordx2 v[96:97], v[96:97], off
	s_waitcnt vmcnt(0)
	v_cvt_f16_f32_e32 v92, v96
	v_cvt_f16_f32_e32 v95, v97
.LBB117_15:                             ;   in Loop: Header=BB117_6 Depth=1
	v_readlane_b32 vcc_lo, v118, 17
	v_readlane_b32 vcc_hi, v118, 18
	v_mov_b32_e32 v96, 0
	s_andn2_b64 vcc, exec, vcc
	v_mov_b32_e32 v98, 0
	v_mov_b32_e32 v97, 0
	s_cbranch_vccnz .LBB117_18
; %bb.16:                               ;   in Loop: Header=BB117_6 Depth=1
	s_load_dword s47, s[36:37], 0xc
	v_mov_b32_e32 v97, 0
	v_mov_b32_e32 v98, 0
	s_waitcnt lgkmcnt(0)
	s_mul_hi_u32 vcc_lo, s47, s16
	s_add_i32 vcc_lo, s47, vcc_lo
	s_lshr_b32 vcc_lo, vcc_lo, s17
	s_cmp_ge_i32 vcc_lo, s13
	s_cbranch_scc1 .LBB117_18
; %bb.17:                               ;   in Loop: Header=BB117_6 Depth=1
	s_mul_i32 vcc_hi, vcc_lo, s18
	s_sub_i32 s47, s47, vcc_hi
	s_mul_i32 vcc_lo, vcc_lo, s20
	s_mul_i32 s47, s47, s9
	v_add_u32_e32 v97, vcc_lo, v88
	v_lshl_add_u32 v98, v97, 1, s47
	v_ashrrev_i32_e32 v99, 31, v98
	v_lshl_add_u64 v[98:99], v[98:99], 2, s[6:7]
	global_load_dwordx2 v[98:99], v[98:99], off
	s_waitcnt vmcnt(0)
	v_cvt_f16_f32_e32 v98, v98
	v_cvt_f16_f32_e32 v97, v99
.LBB117_18:                             ;   in Loop: Header=BB117_6 Depth=1
	v_readlane_b32 vcc_lo, v118, 19
	v_readlane_b32 vcc_hi, v118, 20
	s_andn2_b64 vcc, exec, vcc
	v_mov_b32_e32 v99, 0
	s_cbranch_vccnz .LBB117_21
; %bb.19:                               ;   in Loop: Header=BB117_6 Depth=1
	s_load_dword s47, s[36:37], 0x10
	v_mov_b32_e32 v99, 0
	v_mov_b32_e32 v96, 0
	s_waitcnt lgkmcnt(0)
	s_mul_hi_u32 vcc_lo, s47, s16
	s_add_i32 vcc_lo, s47, vcc_lo
	s_lshr_b32 vcc_lo, vcc_lo, s17
	s_cmp_ge_i32 vcc_lo, s13
	s_cbranch_scc1 .LBB117_21
; %bb.20:                               ;   in Loop: Header=BB117_6 Depth=1
	s_mul_i32 vcc_hi, vcc_lo, s18
	s_sub_i32 s47, s47, vcc_hi
	s_mul_i32 vcc_lo, vcc_lo, s20
	s_mul_i32 s47, s47, s9
	v_add_u32_e32 v96, vcc_lo, v88
	v_lshl_add_u32 v100, v96, 1, s47
	v_ashrrev_i32_e32 v101, 31, v100
	v_lshl_add_u64 v[100:101], v[100:101], 2, s[6:7]
	global_load_dwordx2 v[100:101], v[100:101], off
	s_waitcnt vmcnt(0)
	v_cvt_f16_f32_e32 v96, v100
	v_cvt_f16_f32_e32 v99, v101
.LBB117_21:                             ;   in Loop: Header=BB117_6 Depth=1
	v_readlane_b32 vcc_lo, v118, 21
	v_readlane_b32 vcc_hi, v118, 22
	v_mov_b32_e32 v100, 0
	s_andn2_b64 vcc, exec, vcc
	v_mov_b32_e32 v102, 0
	v_mov_b32_e32 v101, 0
	s_cbranch_vccnz .LBB117_24
; %bb.22:                               ;   in Loop: Header=BB117_6 Depth=1
	s_load_dword s47, s[36:37], 0x14
	v_mov_b32_e32 v101, 0
	v_mov_b32_e32 v102, 0
	s_waitcnt lgkmcnt(0)
	s_mul_hi_u32 vcc_lo, s47, s16
	s_add_i32 vcc_lo, s47, vcc_lo
	s_lshr_b32 vcc_lo, vcc_lo, s17
	s_cmp_ge_i32 vcc_lo, s13
	s_cbranch_scc1 .LBB117_24
; %bb.23:                               ;   in Loop: Header=BB117_6 Depth=1
	s_mul_i32 vcc_hi, vcc_lo, s18
	s_sub_i32 s47, s47, vcc_hi
	s_mul_i32 vcc_lo, vcc_lo, s20
	s_mul_i32 s47, s47, s9
	v_add_u32_e32 v101, vcc_lo, v88
	v_lshl_add_u32 v102, v101, 1, s47
	v_ashrrev_i32_e32 v103, 31, v102
	v_lshl_add_u64 v[102:103], v[102:103], 2, s[6:7]
	global_load_dwordx2 v[102:103], v[102:103], off
	s_waitcnt vmcnt(0)
	v_cvt_f16_f32_e32 v102, v102
	v_cvt_f16_f32_e32 v101, v103
.LBB117_24:                             ;   in Loop: Header=BB117_6 Depth=1
	s_andn2_b64 vcc, exec, s[48:49]
	v_mov_b32_e32 v103, 0
	s_cbranch_vccnz .LBB117_27
; %bb.25:                               ;   in Loop: Header=BB117_6 Depth=1
	s_load_dword s47, s[36:37], 0x18
	v_mov_b32_e32 v103, 0
	v_mov_b32_e32 v100, 0
	s_waitcnt lgkmcnt(0)
	s_mul_hi_u32 vcc_lo, s47, s16
	s_add_i32 vcc_lo, s47, vcc_lo
	s_lshr_b32 vcc_lo, vcc_lo, s17
	s_cmp_ge_i32 vcc_lo, s13
	s_cbranch_scc1 .LBB117_27
; %bb.26:                               ;   in Loop: Header=BB117_6 Depth=1
	s_mul_i32 vcc_hi, vcc_lo, s18
	s_sub_i32 s47, s47, vcc_hi
	s_mul_i32 vcc_lo, vcc_lo, s20
	s_mul_i32 s47, s47, s9
	v_add_u32_e32 v100, vcc_lo, v88
	v_lshl_add_u32 v104, v100, 1, s47
	v_ashrrev_i32_e32 v105, 31, v104
	v_lshl_add_u64 v[104:105], v[104:105], 2, s[6:7]
	global_load_dwordx2 v[104:105], v[104:105], off
	s_waitcnt vmcnt(0)
	v_cvt_f16_f32_e32 v100, v104
	v_cvt_f16_f32_e32 v103, v105
.LBB117_27:                             ;   in Loop: Header=BB117_6 Depth=1
	v_mov_b32_e32 v104, 0
	s_andn2_b64 vcc, exec, s[50:51]
	v_mov_b32_e32 v106, 0
	v_mov_b32_e32 v105, 0
	s_cbranch_vccnz .LBB117_30
; %bb.28:                               ;   in Loop: Header=BB117_6 Depth=1
	s_load_dword s47, s[36:37], 0x1c
	v_mov_b32_e32 v105, 0
	v_mov_b32_e32 v106, 0
	s_waitcnt lgkmcnt(0)
	s_mul_hi_u32 vcc_lo, s47, s16
	s_add_i32 vcc_lo, s47, vcc_lo
	s_lshr_b32 vcc_lo, vcc_lo, s17
	s_cmp_ge_i32 vcc_lo, s13
	s_cbranch_scc1 .LBB117_30
; %bb.29:                               ;   in Loop: Header=BB117_6 Depth=1
	s_mul_i32 vcc_hi, vcc_lo, s18
	s_sub_i32 s47, s47, vcc_hi
	s_mul_i32 vcc_lo, vcc_lo, s20
	s_mul_i32 s47, s47, s9
	v_add_u32_e32 v105, vcc_lo, v88
	v_lshl_add_u32 v106, v105, 1, s47
	v_ashrrev_i32_e32 v107, 31, v106
	v_lshl_add_u64 v[106:107], v[106:107], 2, s[6:7]
	global_load_dwordx2 v[106:107], v[106:107], off
	s_waitcnt vmcnt(0)
	v_cvt_f16_f32_e32 v106, v106
	v_cvt_f16_f32_e32 v105, v107
.LBB117_30:                             ;   in Loop: Header=BB117_6 Depth=1
	s_andn2_b64 vcc, exec, s[52:53]
	v_mov_b32_e32 v107, 0
	s_cbranch_vccnz .LBB117_33
; %bb.31:                               ;   in Loop: Header=BB117_6 Depth=1
	s_load_dword s47, s[36:37], 0x20
	v_mov_b32_e32 v107, 0
	v_mov_b32_e32 v104, 0
	s_waitcnt lgkmcnt(0)
	s_mul_hi_u32 vcc_lo, s47, s16
	s_add_i32 vcc_lo, s47, vcc_lo
	s_lshr_b32 vcc_lo, vcc_lo, s17
	s_cmp_ge_i32 vcc_lo, s13
	s_cbranch_scc1 .LBB117_33
; %bb.32:                               ;   in Loop: Header=BB117_6 Depth=1
	s_mul_i32 vcc_hi, vcc_lo, s18
	s_sub_i32 s47, s47, vcc_hi
	s_mul_i32 vcc_lo, vcc_lo, s20
	s_mul_i32 s47, s47, s9
	v_add_u32_e32 v104, vcc_lo, v88
	v_lshl_add_u32 v108, v104, 1, s47
	v_ashrrev_i32_e32 v109, 31, v108
	v_lshl_add_u64 v[108:109], v[108:109], 2, s[6:7]
	global_load_dwordx2 v[108:109], v[108:109], off
	s_waitcnt vmcnt(0)
	v_cvt_f16_f32_e32 v104, v108
	v_cvt_f16_f32_e32 v107, v109
.LBB117_33:                             ;   in Loop: Header=BB117_6 Depth=1
	v_mov_b32_e32 v108, 0
	s_andn2_b64 vcc, exec, s[54:55]
	v_mov_b32_e32 v110, 0
	v_mov_b32_e32 v109, 0
	s_cbranch_vccnz .LBB117_36
; %bb.34:                               ;   in Loop: Header=BB117_6 Depth=1
	s_load_dword s47, s[36:37], 0x24
	v_mov_b32_e32 v109, 0
	v_mov_b32_e32 v110, 0
	s_waitcnt lgkmcnt(0)
	s_mul_hi_u32 vcc_lo, s47, s16
	s_add_i32 vcc_lo, s47, vcc_lo
	s_lshr_b32 vcc_lo, vcc_lo, s17
	s_cmp_ge_i32 vcc_lo, s13
	s_cbranch_scc1 .LBB117_36
; %bb.35:                               ;   in Loop: Header=BB117_6 Depth=1
	s_mul_i32 vcc_hi, vcc_lo, s18
	s_sub_i32 s47, s47, vcc_hi
	s_mul_i32 vcc_lo, vcc_lo, s20
	s_mul_i32 s47, s47, s9
	v_add_u32_e32 v109, vcc_lo, v88
	v_lshl_add_u32 v110, v109, 1, s47
	v_ashrrev_i32_e32 v111, 31, v110
	v_lshl_add_u64 v[110:111], v[110:111], 2, s[6:7]
	global_load_dwordx2 v[110:111], v[110:111], off
	s_waitcnt vmcnt(0)
	v_cvt_f16_f32_e32 v110, v110
	v_cvt_f16_f32_e32 v109, v111
.LBB117_36:                             ;   in Loop: Header=BB117_6 Depth=1
	s_andn2_b64 vcc, exec, s[56:57]
	v_mov_b32_e32 v111, 0
	s_cbranch_vccnz .LBB117_39
; %bb.37:                               ;   in Loop: Header=BB117_6 Depth=1
	s_load_dword s47, s[36:37], 0x28
	v_mov_b32_e32 v111, 0
	v_mov_b32_e32 v108, 0
	s_waitcnt lgkmcnt(0)
	s_mul_hi_u32 vcc_lo, s47, s16
	s_add_i32 vcc_lo, s47, vcc_lo
	s_lshr_b32 vcc_lo, vcc_lo, s17
	s_cmp_ge_i32 vcc_lo, s13
	s_cbranch_scc1 .LBB117_39
; %bb.38:                               ;   in Loop: Header=BB117_6 Depth=1
	s_mul_i32 vcc_hi, vcc_lo, s18
	s_sub_i32 s47, s47, vcc_hi
	s_mul_i32 vcc_lo, vcc_lo, s20
	s_mul_i32 s47, s47, s9
	v_add_u32_e32 v108, vcc_lo, v88
	v_lshl_add_u32 v112, v108, 1, s47
	v_ashrrev_i32_e32 v113, 31, v112
	v_lshl_add_u64 v[112:113], v[112:113], 2, s[6:7]
	global_load_dwordx2 v[112:113], v[112:113], off
	s_waitcnt vmcnt(0)
	v_cvt_f16_f32_e32 v108, v112
	v_cvt_f16_f32_e32 v111, v113
.LBB117_39:                             ;   in Loop: Header=BB117_6 Depth=1
	v_mov_b32_e32 v112, 0
	s_andn2_b64 vcc, exec, s[58:59]
	v_mov_b32_e32 v114, 0
	v_mov_b32_e32 v113, 0
	s_cbranch_vccnz .LBB117_42
; %bb.40:                               ;   in Loop: Header=BB117_6 Depth=1
	s_load_dword s47, s[36:37], 0x2c
	v_mov_b32_e32 v113, 0
	v_mov_b32_e32 v114, 0
	s_waitcnt lgkmcnt(0)
	s_mul_hi_u32 vcc_lo, s47, s16
	s_add_i32 vcc_lo, s47, vcc_lo
	s_lshr_b32 vcc_lo, vcc_lo, s17
	s_cmp_ge_i32 vcc_lo, s13
	s_cbranch_scc1 .LBB117_42
; %bb.41:                               ;   in Loop: Header=BB117_6 Depth=1
	s_mul_i32 vcc_hi, vcc_lo, s18
	s_sub_i32 s47, s47, vcc_hi
	s_mul_i32 vcc_lo, vcc_lo, s20
	s_mul_i32 s47, s47, s9
	v_add_u32_e32 v113, vcc_lo, v88
	v_lshl_add_u32 v114, v113, 1, s47
	v_ashrrev_i32_e32 v115, 31, v114
	v_lshl_add_u64 v[114:115], v[114:115], 2, s[6:7]
	global_load_dwordx2 v[114:115], v[114:115], off
	s_waitcnt vmcnt(0)
	v_cvt_f16_f32_e32 v114, v114
	v_cvt_f16_f32_e32 v113, v115
.LBB117_42:                             ;   in Loop: Header=BB117_6 Depth=1
	s_andn2_b64 vcc, exec, s[60:61]
	v_mov_b32_e32 v115, 0
	s_cbranch_vccnz .LBB117_5
; %bb.43:                               ;   in Loop: Header=BB117_6 Depth=1
	s_load_dword s47, s[36:37], 0x30
	v_mov_b32_e32 v115, 0
	v_mov_b32_e32 v112, 0
	s_waitcnt lgkmcnt(0)
	s_mul_hi_u32 vcc_lo, s47, s16
	s_add_i32 vcc_lo, s47, vcc_lo
	s_lshr_b32 vcc_lo, vcc_lo, s17
	s_cmp_ge_i32 vcc_lo, s13
	s_cbranch_scc1 .LBB117_5
; %bb.44:                               ;   in Loop: Header=BB117_6 Depth=1
	s_mul_i32 vcc_hi, vcc_lo, s18
	s_sub_i32 s47, s47, vcc_hi
	s_mul_i32 vcc_lo, vcc_lo, s20
	s_mul_i32 s47, s47, s9
	v_add_u32_e32 v112, vcc_lo, v88
	v_lshl_add_u32 v116, v112, 1, s47
	v_ashrrev_i32_e32 v117, 31, v116
	v_lshl_add_u64 v[116:117], v[116:117], 2, s[6:7]
	global_load_dwordx2 v[116:117], v[116:117], off
	s_waitcnt vmcnt(0)
	v_cvt_f16_f32_e32 v112, v116
	v_cvt_f16_f32_e32 v115, v117
	s_branch .LBB117_5
.LBB117_45:
	s_or_b64 exec, exec, s[4:5]
	v_readlane_b32 s24, v118, 6
	v_readlane_b32 s30, v118, 9
	;; [unrolled: 1-line block ×12, first 2 shown]
.LBB117_46:
	s_or_b64 exec, exec, s[36:37]
	s_lshl_b64 s[0:1], s[30:31], 2
	s_add_u32 s4, s22, s0
	v_lshl_add_u32 v18, v86, 2, 0
	v_mul_u32_u24_e32 v19, 0x708, v87
	v_and_b32_e32 v20, 0x3f0, v17
	s_addc_u32 s5, s23, s1
	v_add3_u32 v18, v18, v19, v20
	s_barrier
	ds_write2_b32 v18, v8, v9 offset1:1
	ds_write2_b32 v18, v10, v11 offset0:2 offset1:3
	ds_write2_b32 v18, v0, v1 offset0:16 offset1:17
	;; [unrolled: 1-line block ×7, first 2 shown]
	s_cmp_gt_i32 s14, 0
	v_add_u32_e32 v0, s28, v16
	s_cselect_b64 s[6:7], -1, 0
	v_cmp_gt_i32_e64 s[0:1], s26, v0
	v_cmp_gt_u32_e32 vcc, 13, v16
	s_and_b64 s[0:1], s[6:7], s[0:1]
	v_lshl_add_u32 v3, v17, 2, 0
	v_add_u32_e32 v2, s11, v17
	v_mul_u32_u24_e32 v4, 0x708, v16
	s_and_b64 s[2:3], vcc, s[0:1]
	s_waitcnt lgkmcnt(0)
	s_barrier
	s_and_saveexec_b64 s[0:1], s[2:3]
	s_cbranch_execz .LBB117_49
; %bb.47:
	v_ashrrev_i32_e32 v1, 31, v0
	v_lshl_add_u64 v[6:7], v[0:1], 2, s[4:5]
	global_load_dword v1, v[6:7], off
	s_waitcnt vmcnt(0)
	v_mul_hi_u32 v5, v1, s19
	v_add_u32_e32 v5, v1, v5
	v_lshrrev_b32_e32 v5, s24, v5
	v_cmp_gt_i32_e32 vcc, s13, v5
	s_and_b64 exec, exec, vcc
	s_cbranch_execz .LBB117_49
; %bb.48:
	v_add_u32_e32 v12, v3, v4
	ds_read2st64_b32 v[6:7], v12 offset1:1
	ds_read2st64_b32 v[8:9], v12 offset0:2 offset1:3
	ds_read2st64_b32 v[10:11], v12 offset0:4 offset1:5
	ds_read_b32 v12, v12 offset:1536
	v_mul_lo_u32 v13, v5, s25
	v_sub_u32_e32 v1, v1, v13
	v_mul_lo_u32 v1, v1, s10
	s_waitcnt lgkmcnt(3)
	v_add_f32_e32 v6, 0, v6
	v_add_f32_e32 v6, v6, v7
	s_waitcnt lgkmcnt(2)
	v_add_f32_e32 v6, v6, v8
	v_add_f32_e32 v6, v6, v9
	;; [unrolled: 3-line block ×3, first 2 shown]
	v_mul_lo_u32 v5, v5, s21
	v_readlane_b32 s2, v118, 0
	s_waitcnt lgkmcnt(0)
	v_add_f32_e32 v8, v6, v12
	v_add3_u32 v6, v2, v5, v1
	v_mov_b32_e32 v7, 0
	v_readlane_b32 s3, v118, 1
	s_nop 1
	v_lshl_add_u64 v[6:7], v[6:7], 2, s[2:3]
	global_store_dword v[6:7], v8, off
.LBB117_49:
	s_or_b64 exec, exec, s[0:1]
	v_cmp_gt_u32_e32 vcc, 6, v16
	s_and_saveexec_b64 s[0:1], vcc
	s_cbranch_execz .LBB117_53
; %bb.50:
	v_add_u32_e32 v0, 7, v0
	v_cmp_gt_i32_e32 vcc, s26, v0
	s_and_b64 s[0:1], s[6:7], vcc
	s_and_b64 exec, exec, s[0:1]
	s_cbranch_execz .LBB117_53
; %bb.51:
	s_ashr_i32 s29, s28, 31
	v_mov_b32_e32 v17, 0
	v_lshl_add_u64 v[0:1], v[16:17], 0, s[28:29]
	v_lshl_add_u64 v[0:1], v[0:1], 2, s[4:5]
	global_load_dword v0, v[0:1], off offset:28
	s_waitcnt vmcnt(0)
	v_mul_hi_u32 v1, v0, s19
	v_add_u32_e32 v1, v0, v1
	v_lshrrev_b32_e32 v1, s24, v1
	v_cmp_gt_i32_e32 vcc, s13, v1
	s_and_b64 exec, exec, vcc
	s_cbranch_execz .LBB117_53
; %bb.52:
	v_add_u32_e32 v3, v4, v3
	v_add_u32_e32 v8, 56, v3
	ds_read2st64_b32 v[4:5], v8 offset0:49 offset1:50
	ds_read2st64_b32 v[6:7], v8 offset0:51 offset1:52
	ds_read_b32 v3, v3 offset:14136
	ds_read2st64_b32 v[8:9], v8 offset0:53 offset1:54
	v_mul_lo_u32 v10, v1, s25
	v_sub_u32_e32 v0, v0, v10
	v_mul_lo_u32 v0, v0, s10
	s_waitcnt lgkmcnt(3)
	v_add_f32_e32 v4, 0, v4
	v_add_f32_e32 v4, v4, v5
	s_waitcnt lgkmcnt(2)
	v_add_f32_e32 v4, v4, v6
	v_add_f32_e32 v4, v4, v7
	s_waitcnt lgkmcnt(0)
	v_add_f32_e32 v4, v4, v8
	v_mul_lo_u32 v1, v1, s21
	v_readlane_b32 s0, v118, 0
	v_add_f32_e32 v4, v4, v9
	v_add3_u32 v16, v2, v1, v0
	v_readlane_b32 s1, v118, 1
	v_add_f32_e32 v3, v4, v3
	s_nop 0
	v_lshl_add_u64 v[0:1], v[16:17], 2, s[0:1]
	global_store_dword v[0:1], v3, off
.LBB117_53:
	s_endpgm
	.section	.rodata,"a",@progbits
	.p2align	6, 0x0
	.amdhsa_kernel _ZL13mul_mat_f_idsI7__half2Li64ELi13ELi7EEvPKT_PKfPKiS7_S7_Pfiiiiiiiiiiiiii15HIP_vector_typeIjLj3EESA_
		.amdhsa_group_segment_fixed_size 0
		.amdhsa_private_segment_fixed_size 0
		.amdhsa_kernarg_size 128
		.amdhsa_user_sgpr_count 2
		.amdhsa_user_sgpr_dispatch_ptr 0
		.amdhsa_user_sgpr_queue_ptr 0
		.amdhsa_user_sgpr_kernarg_segment_ptr 1
		.amdhsa_user_sgpr_dispatch_id 0
		.amdhsa_user_sgpr_kernarg_preload_length 0
		.amdhsa_user_sgpr_kernarg_preload_offset 0
		.amdhsa_user_sgpr_private_segment_size 0
		.amdhsa_uses_dynamic_stack 0
		.amdhsa_enable_private_segment 0
		.amdhsa_system_sgpr_workgroup_id_x 1
		.amdhsa_system_sgpr_workgroup_id_y 1
		.amdhsa_system_sgpr_workgroup_id_z 1
		.amdhsa_system_sgpr_workgroup_info 0
		.amdhsa_system_vgpr_workitem_id 1
		.amdhsa_next_free_vgpr 119
		.amdhsa_next_free_sgpr 100
		.amdhsa_accum_offset 120
		.amdhsa_reserve_vcc 1
		.amdhsa_float_round_mode_32 0
		.amdhsa_float_round_mode_16_64 0
		.amdhsa_float_denorm_mode_32 3
		.amdhsa_float_denorm_mode_16_64 3
		.amdhsa_dx10_clamp 1
		.amdhsa_ieee_mode 1
		.amdhsa_fp16_overflow 0
		.amdhsa_tg_split 0
		.amdhsa_exception_fp_ieee_invalid_op 0
		.amdhsa_exception_fp_denorm_src 0
		.amdhsa_exception_fp_ieee_div_zero 0
		.amdhsa_exception_fp_ieee_overflow 0
		.amdhsa_exception_fp_ieee_underflow 0
		.amdhsa_exception_fp_ieee_inexact 0
		.amdhsa_exception_int_div_zero 0
	.end_amdhsa_kernel
	.section	.text._ZL13mul_mat_f_idsI7__half2Li64ELi13ELi7EEvPKT_PKfPKiS7_S7_Pfiiiiiiiiiiiiii15HIP_vector_typeIjLj3EESA_,"axG",@progbits,_ZL13mul_mat_f_idsI7__half2Li64ELi13ELi7EEvPKT_PKfPKiS7_S7_Pfiiiiiiiiiiiiii15HIP_vector_typeIjLj3EESA_,comdat
.Lfunc_end117:
	.size	_ZL13mul_mat_f_idsI7__half2Li64ELi13ELi7EEvPKT_PKfPKiS7_S7_Pfiiiiiiiiiiiiii15HIP_vector_typeIjLj3EESA_, .Lfunc_end117-_ZL13mul_mat_f_idsI7__half2Li64ELi13ELi7EEvPKT_PKfPKiS7_S7_Pfiiiiiiiiiiiiii15HIP_vector_typeIjLj3EESA_
                                        ; -- End function
	.set _ZL13mul_mat_f_idsI7__half2Li64ELi13ELi7EEvPKT_PKfPKiS7_S7_Pfiiiiiiiiiiiiii15HIP_vector_typeIjLj3EESA_.num_vgpr, 119
	.set _ZL13mul_mat_f_idsI7__half2Li64ELi13ELi7EEvPKT_PKfPKiS7_S7_Pfiiiiiiiiiiiiii15HIP_vector_typeIjLj3EESA_.num_agpr, 0
	.set _ZL13mul_mat_f_idsI7__half2Li64ELi13ELi7EEvPKT_PKfPKiS7_S7_Pfiiiiiiiiiiiiii15HIP_vector_typeIjLj3EESA_.numbered_sgpr, 100
	.set _ZL13mul_mat_f_idsI7__half2Li64ELi13ELi7EEvPKT_PKfPKiS7_S7_Pfiiiiiiiiiiiiii15HIP_vector_typeIjLj3EESA_.num_named_barrier, 0
	.set _ZL13mul_mat_f_idsI7__half2Li64ELi13ELi7EEvPKT_PKfPKiS7_S7_Pfiiiiiiiiiiiiii15HIP_vector_typeIjLj3EESA_.private_seg_size, 0
	.set _ZL13mul_mat_f_idsI7__half2Li64ELi13ELi7EEvPKT_PKfPKiS7_S7_Pfiiiiiiiiiiiiii15HIP_vector_typeIjLj3EESA_.uses_vcc, 1
	.set _ZL13mul_mat_f_idsI7__half2Li64ELi13ELi7EEvPKT_PKfPKiS7_S7_Pfiiiiiiiiiiiiii15HIP_vector_typeIjLj3EESA_.uses_flat_scratch, 0
	.set _ZL13mul_mat_f_idsI7__half2Li64ELi13ELi7EEvPKT_PKfPKiS7_S7_Pfiiiiiiiiiiiiii15HIP_vector_typeIjLj3EESA_.has_dyn_sized_stack, 0
	.set _ZL13mul_mat_f_idsI7__half2Li64ELi13ELi7EEvPKT_PKfPKiS7_S7_Pfiiiiiiiiiiiiii15HIP_vector_typeIjLj3EESA_.has_recursion, 0
	.set _ZL13mul_mat_f_idsI7__half2Li64ELi13ELi7EEvPKT_PKfPKiS7_S7_Pfiiiiiiiiiiiiii15HIP_vector_typeIjLj3EESA_.has_indirect_call, 0
	.section	.AMDGPU.csdata,"",@progbits
; Kernel info:
; codeLenInByte = 6600
; TotalNumSgprs: 106
; NumVgprs: 119
; NumAgprs: 0
; TotalNumVgprs: 119
; ScratchSize: 0
; MemoryBound: 0
; FloatMode: 240
; IeeeMode: 1
; LDSByteSize: 0 bytes/workgroup (compile time only)
; SGPRBlocks: 13
; VGPRBlocks: 14
; NumSGPRsForWavesPerEU: 106
; NumVGPRsForWavesPerEU: 119
; AccumOffset: 120
; Occupancy: 4
; WaveLimiterHint : 1
; COMPUTE_PGM_RSRC2:SCRATCH_EN: 0
; COMPUTE_PGM_RSRC2:USER_SGPR: 2
; COMPUTE_PGM_RSRC2:TRAP_HANDLER: 0
; COMPUTE_PGM_RSRC2:TGID_X_EN: 1
; COMPUTE_PGM_RSRC2:TGID_Y_EN: 1
; COMPUTE_PGM_RSRC2:TGID_Z_EN: 1
; COMPUTE_PGM_RSRC2:TIDIG_COMP_CNT: 1
; COMPUTE_PGM_RSRC3_GFX90A:ACCUM_OFFSET: 29
; COMPUTE_PGM_RSRC3_GFX90A:TG_SPLIT: 0
	.section	.text._ZL9mul_mat_fI7__half2Li64ELi13ELi7ELb1EEvPKT_PKfPKiPfiiiiiiiiiiiiiiii,"axG",@progbits,_ZL9mul_mat_fI7__half2Li64ELi13ELi7ELb1EEvPKT_PKfPKiPfiiiiiiiiiiiiiiii,comdat
	.globl	_ZL9mul_mat_fI7__half2Li64ELi13ELi7ELb1EEvPKT_PKfPKiPfiiiiiiiiiiiiiiii ; -- Begin function _ZL9mul_mat_fI7__half2Li64ELi13ELi7ELb1EEvPKT_PKfPKiPfiiiiiiiiiiiiiiii
	.p2align	8
	.type	_ZL9mul_mat_fI7__half2Li64ELi13ELi7ELb1EEvPKT_PKfPKiPfiiiiiiiiiiiiiiii,@function
_ZL9mul_mat_fI7__half2Li64ELi13ELi7ELb1EEvPKT_PKfPKiPfiiiiiiiiiiiiiiii: ; @_ZL9mul_mat_fI7__half2Li64ELi13ELi7ELb1EEvPKT_PKfPKiPfiiiiiiiiiiiiiiii
; %bb.0:
	s_load_dwordx8 s[36:43], s[0:1], 0x20
	s_mov_b32 s22, s4
	s_load_dwordx2 s[8:9], s[0:1], 0x10
	v_and_b32_e32 v16, 0x3ff, v0
	v_bfe_u32 v17, v0, 10, 10
	s_waitcnt lgkmcnt(0)
	s_add_i32 s4, s37, 12
	s_mul_hi_i32 s4, s4, 0x4ec4ec4f
	s_lshr_b32 s5, s4, 31
	s_ashr_i32 s4, s4, 2
	s_add_i32 s4, s4, s5
	v_cvt_f32_u32_e32 v1, s4
	s_load_dwordx4 s[44:47], s[0:1], 0x44
	s_load_dword s5, s[0:1], 0x64
	s_add_u32 s12, s0, 0x60
	s_addc_u32 s13, s1, 0
	v_rcp_iflag_f32_e32 v1, v1
	s_sub_i32 s6, 0, s4
	v_mul_f32_e32 v1, 0x4f7ffffe, v1
	v_cvt_u32_f32_e32 v1, v1
	v_mul_lo_u32 v2, s6, v1
	v_mul_hi_u32 v2, v1, v2
	v_add_u32_e32 v1, v1, v2
	s_waitcnt lgkmcnt(0)
	v_mul_hi_u32 v1, s5, v1
	v_mul_lo_u32 v2, v1, s4
	v_sub_u32_e32 v2, s5, v2
	v_add_u32_e32 v3, 1, v1
	v_subrev_u32_e32 v4, s4, v2
	v_cmp_le_u32_e32 vcc, s4, v2
	s_nop 1
	v_cndmask_b32_e32 v1, v1, v3, vcc
	v_cndmask_b32_e32 v2, v2, v4, vcc
	v_add_u32_e32 v3, 1, v1
	v_cmp_le_u32_e32 vcc, s4, v2
	s_abs_i32 s4, s47
	s_sub_i32 s5, 0, s4
	v_cndmask_b32_e32 v1, v1, v3, vcc
	v_cvt_f32_u32_e32 v2, v1
	v_cvt_f32_u32_e32 v3, s4
	v_cmp_eq_u32_e32 vcc, 0, v16
	v_rcp_iflag_f32_e32 v2, v2
	v_rcp_iflag_f32_e32 v3, v3
	v_mul_f32_e32 v2, 0x4f7ffffe, v2
	v_cvt_u32_f32_e32 v2, v2
	v_mul_f32_e32 v3, 0x4f7ffffe, v3
	v_cvt_u32_f32_e32 v8, v3
	v_sub_u32_e32 v3, 0, v1
	v_mul_lo_u32 v3, v3, v2
	v_mul_hi_u32 v3, v2, v3
	v_add_u32_e32 v2, v2, v3
	v_mul_hi_u32 v2, s3, v2
	s_and_saveexec_b64 s[6:7], vcc
; %bb.1:
	v_mov_b32_e32 v3, 0x100
	v_lshl_add_u32 v3, v17, 2, v3
	v_mov_b32_e32 v4, -1
	ds_write_b32 v3, v4
; %bb.2:
	s_or_b64 exec, exec, s[6:7]
	v_mul_lo_u32 v3, v2, v1
	v_sub_u32_e32 v3, s3, v3
	v_add_u32_e32 v4, 1, v2
	v_sub_u32_e32 v5, v3, v1
	v_cmp_ge_u32_e64 s[6:7], v3, v1
	v_mul_lo_u32 v9, s5, v8
	s_nop 0
	v_cndmask_b32_e64 v2, v2, v4, s[6:7]
	v_cndmask_b32_e64 v3, v3, v5, s[6:7]
	v_add_u32_e32 v4, 1, v2
	v_cmp_ge_u32_e64 s[6:7], v3, v1
	s_nop 1
	v_cndmask_b32_e64 v2, v2, v4, s[6:7]
	v_mul_lo_u32 v94, v2, 13
	v_mul_lo_u32 v1, v2, v1
	v_mul_hi_i32 v3, v94, s43
	v_mul_lo_u32 v2, v94, s43
	v_sub_u32_e32 v18, s3, v1
	v_lshlrev_b64 v[2:3], 2, v[2:3]
	v_add_u32_e32 v1, v17, v94
	v_lshl_add_u64 v[2:3], s[8:9], 0, v[2:3]
	v_cmp_gt_i32_e64 s[6:7], s38, v16
	v_cmp_gt_i32_e64 s[24:25], s37, v1
	v_mov_b32_e32 v1, 0
	s_and_saveexec_b64 s[14:15], s[24:25]
	s_cbranch_execz .LBB118_10
; %bb.3:
	v_mov_b32_e32 v1, 0
	s_and_saveexec_b64 s[16:17], s[6:7]
	s_cbranch_execz .LBB118_9
; %bb.4:
	v_mul_lo_u32 v4, v17, s43
	v_ashrrev_i32_e32 v5, 31, v4
	v_mov_b32_e32 v1, 0x100
	v_lshl_add_u64 v[4:5], v[4:5], 2, v[2:3]
	v_lshl_add_u32 v10, v17, 2, v1
	v_mul_lo_u32 v6, v16, s42
	s_lshl_b32 s3, s42, 6
	v_mov_b32_e32 v1, 0
	s_mov_b64 s[18:19], 0
	v_mov_b32_e32 v11, v16
	s_branch .LBB118_6
.LBB118_5:                              ;   in Loop: Header=BB118_6 Depth=1
	s_or_b64 exec, exec, s[20:21]
	v_add_u32_e32 v11, 64, v11
	v_cmp_le_i32_e64 s[10:11], s38, v11
	s_xor_b64 s[8:9], s[8:9], -1
	s_or_b64 s[8:9], s[8:9], s[10:11]
	s_and_b64 s[8:9], exec, s[8:9]
	s_or_b64 s[18:19], s[8:9], s[18:19]
	v_add_u32_e32 v6, s3, v6
	s_andn2_b64 exec, exec, s[18:19]
	s_cbranch_execz .LBB118_8
.LBB118_6:                              ; =>This Inner Loop Header: Depth=1
	v_ashrrev_i32_e32 v7, 31, v6
	v_lshl_add_u64 v[12:13], v[6:7], 2, v[4:5]
	global_load_dword v7, v[12:13], off
	s_waitcnt vmcnt(0)
	v_cmp_ne_u32_e64 s[8:9], v7, v18
	v_cmp_eq_u32_e64 s[10:11], v7, v18
	s_and_saveexec_b64 s[20:21], s[10:11]
	s_cbranch_execz .LBB118_5
; %bb.7:                                ;   in Loop: Header=BB118_6 Depth=1
	v_mov_b32_e32 v1, 1
	ds_write_b32 v10, v11
	s_branch .LBB118_5
.LBB118_8:
	s_or_b64 exec, exec, s[18:19]
.LBB118_9:
	s_or_b64 exec, exec, s[16:17]
.LBB118_10:
	s_or_b64 exec, exec, s[14:15]
	v_mul_hi_u32 v4, v8, v9
	s_and_saveexec_b64 s[8:9], vcc
; %bb.11:
	v_mov_b32_e32 v5, 0x100
	v_lshl_add_u32 v5, v17, 2, v5
	v_mov_b32_e32 v6, -1
	ds_write_b32 v5, v6 offset:28
; %bb.12:
	s_or_b64 exec, exec, s[8:9]
	s_load_dwordx4 s[28:31], s[0:1], 0x54
	v_add_u32_e32 v95, 7, v17
	s_abs_i32 s3, s22
	v_add_u32_e32 v6, v8, v4
	v_add_u32_e32 v4, v95, v94
	v_cmp_gt_i32_e64 s[10:11], s37, v4
	s_mov_b64 s[8:9], exec
                                        ; implicit-def: $vgpr109 : SGPR spill to VGPR lane
	s_nop 0
	v_writelane_b32 v109, s10, 0
	s_nop 1
	v_writelane_b32 v109, s11, 1
	s_and_b64 s[10:11], s[8:9], s[10:11]
	s_mov_b64 exec, s[10:11]
	s_cbranch_execz .LBB118_20
; %bb.13:
	s_and_saveexec_b64 s[10:11], s[6:7]
	s_cbranch_execz .LBB118_19
; %bb.14:
	v_mul_lo_u32 v4, v95, s43
	v_ashrrev_i32_e32 v5, 31, v4
	v_lshl_add_u64 v[2:3], v[4:5], 2, v[2:3]
	v_mov_b32_e32 v4, 0x100
	v_lshl_add_u32 v7, v17, 2, v4
	v_mul_lo_u32 v4, v16, s42
	s_lshl_b32 s5, s42, 6
	s_mov_b64 s[14:15], 0
	v_mov_b32_e32 v8, v16
	s_branch .LBB118_16
.LBB118_15:                             ;   in Loop: Header=BB118_16 Depth=1
	s_or_b64 exec, exec, s[16:17]
	v_add_u32_e32 v8, 64, v8
	v_cmp_le_i32_e64 s[6:7], s38, v8
	s_xor_b64 s[16:17], vcc, -1
	s_or_b64 s[6:7], s[16:17], s[6:7]
	s_and_b64 s[6:7], exec, s[6:7]
	s_or_b64 s[14:15], s[6:7], s[14:15]
	v_add_u32_e32 v4, s5, v4
	s_andn2_b64 exec, exec, s[14:15]
	s_cbranch_execz .LBB118_18
.LBB118_16:                             ; =>This Inner Loop Header: Depth=1
	v_ashrrev_i32_e32 v5, 31, v4
	v_lshl_add_u64 v[10:11], v[4:5], 2, v[2:3]
	global_load_dword v5, v[10:11], off
	s_waitcnt vmcnt(0)
	v_cmp_ne_u32_e32 vcc, v5, v18
	v_cmp_eq_u32_e64 s[6:7], v5, v18
	s_and_saveexec_b64 s[16:17], s[6:7]
	s_cbranch_execz .LBB118_15
; %bb.17:                               ;   in Loop: Header=BB118_16 Depth=1
	v_mov_b32_e32 v1, 1
	ds_write_b32 v7, v8 offset:28
	s_branch .LBB118_15
.LBB118_18:
	s_or_b64 exec, exec, s[14:15]
.LBB118_19:
	s_or_b64 exec, exec, s[10:11]
.LBB118_20:
	s_or_b64 exec, exec, s[8:9]
	s_load_dwordx2 s[6:7], s[12:13], 0xc
	s_load_dwordx2 s[8:9], s[0:1], 0x8
	;; [unrolled: 1-line block ×3, first 2 shown]
	v_or_b32_dpp v1, v1, v1 row_shl:1 row_mask:0xf bank_mask:0xf bound_ctrl:1
	v_mul_hi_u32 v19, s3, v6
	s_waitcnt lgkmcnt(0)
	s_and_b32 s5, s7, 0xffff
	s_lshr_b32 s7, s6, 16
	v_writelane_b32 v109, s10, 2
	s_and_b32 s6, s6, 0xffff
	v_or_b32_dpp v1, v1, v1 row_shl:2 row_mask:0xf bank_mask:0xf bound_ctrl:1
	v_writelane_b32 v109, s11, 3
	s_mul_i32 s10, s7, s6
	v_or_b32_dpp v1, v1, v1 row_shl:4 row_mask:0xf bank_mask:0xf bound_ctrl:1
	s_bfe_i32 s10, s10, 0x180000
	s_mul_i32 s5, s10, s5
	v_or_b32_dpp v1, v1, v1 row_shl:8 row_mask:0xf bank_mask:0xf bound_ctrl:1
	s_add_i32 s10, s5, 63
	s_bitcmp1_b32 exec_hi, 0
	v_mov_b32_dpp v2, v1 wave_shl:1 row_mask:0xf bank_mask:0xf bound_ctrl:1
                                        ; kill: killed $sgpr12 killed $sgpr13
	s_nop 1
	v_or_b32_dpp v1, v2, v1 row_mirror row_mask:0xf bank_mask:0xf bound_ctrl:1
	s_nop 0
	v_readlane_b32 s5, v1, 32
	s_cselect_b32 s5, s5, 0
	v_readlane_b32 s11, v1, 0
	s_or_b32 s5, s5, s11
	s_andn2_b32 s10, s10, 63
	s_cmp_lg_u32 s10, 64
	v_mov_b32_e32 v1, s5
	s_cbranch_scc0 .LBB118_27
; %bb.21:
	v_bfe_u32 v0, v0, 20, 10
	v_mbcnt_lo_u32_b32 v1, -1, 0
	v_mad_u32_u24 v0, v0, s7, v17
	v_mbcnt_hi_u32_b32 v2, -1, v1
	v_mad_u64_u32 v[0:1], s[6:7], v0, s6, v[16:17]
	v_lshrrev_b32_e32 v1, 6, v0
	v_or_b32_e32 v1, v2, v1
	v_cmp_eq_u32_e32 vcc, 0, v1
	s_and_saveexec_b64 s[6:7], vcc
; %bb.22:
	v_mov_b32_e32 v1, 0
	v_mov_b32_e32 v3, s5
	ds_write_b32 v1, v3
; %bb.23:
	s_or_b64 exec, exec, s[6:7]
	v_cmp_eq_u32_e32 vcc, 0, v2
	v_cmp_lt_u32_e64 s[6:7], 63, v0
	s_and_b64 s[10:11], s[6:7], vcc
	s_waitcnt lgkmcnt(0)
	s_barrier
	s_and_saveexec_b64 s[6:7], s[10:11]
	s_cbranch_execz .LBB118_26
; %bb.24:
	v_mbcnt_lo_u32_b32 v0, exec_lo, 0
	v_mbcnt_hi_u32_b32 v0, exec_hi, v0
	v_cmp_eq_u32_e32 vcc, 0, v0
	s_and_b64 exec, exec, vcc
; %bb.25:
	v_mov_b32_e32 v0, 0
	v_mov_b32_e32 v1, s5
	ds_or_b32 v0, v1
.LBB118_26:
	s_or_b64 exec, exec, s[6:7]
	v_mov_b32_e32 v0, 0
	s_waitcnt lgkmcnt(0)
	s_barrier
	ds_read_b32 v1, v0
	s_waitcnt lgkmcnt(0)
	s_barrier
.LBB118_27:
	s_load_dwordx2 s[0:1], s[0:1], 0x0
	v_cmp_ne_u32_e32 vcc, 0, v1
	s_ashr_i32 s5, s22, 31
	s_ashr_i32 s10, s47, 31
	s_cbranch_vccz .LBB118_93
; %bb.28:
	v_lshlrev_b32_e32 v96, 6, v17
	v_add_u32_e32 v98, v96, v16
	v_cmp_le_i32_e32 vcc, s36, v98
	v_and_b32_e32 v97, 15, v16
	s_and_saveexec_b64 s[6:7], vcc
	s_xor_b64 s[6:7], exec, s[6:7]
; %bb.29:
	v_and_b32_e32 v97, 15, v16
                                        ; implicit-def: $vgpr98
                                        ; implicit-def: $vgpr19
                                        ; implicit-def: $vgpr18
; %bb.30:
	s_or_saveexec_b64 s[12:13], s[6:7]
	v_mov_b32_e32 v7, 0
	s_lshl_b32 s6, s2, 6
	v_mov_b32_e32 v6, v7
	v_mov_b32_e32 v5, v7
	v_mov_b32_e32 v4, v7
	v_mov_b32_e32 v3, v7
	v_mov_b32_e32 v2, v7
	v_mov_b32_e32 v1, v7
	v_mov_b32_e32 v0, v7
	v_mov_b32_e32 v11, v7
	v_mov_b32_e32 v10, v7
	v_mov_b32_e32 v9, v7
	v_mov_b32_e32 v8, v7
	v_mov_b32_e32 v15, v7
	v_mov_b32_e32 v14, v7
	v_mov_b32_e32 v13, v7
	v_mov_b32_e32 v12, v7
	v_writelane_b32 v109, s12, 4
	s_nop 1
	v_writelane_b32 v109, s13, 5
	s_xor_b64 exec, exec, s[12:13]
	s_cbranch_execz .LBB118_86
; %bb.31:
	v_mul_lo_u32 v0, v19, s4
	v_sub_u32_e32 v0, s3, v0
	v_add_u32_e32 v1, 1, v19
	v_subrev_u32_e32 v2, s4, v0
	v_cmp_le_u32_e32 vcc, s4, v0
	s_xor_b32 s2, s5, s10
	v_writelane_b32 v109, s24, 6
	v_cndmask_b32_e32 v1, v19, v1, vcc
	v_cndmask_b32_e32 v0, v0, v2, vcc
	v_add_u32_e32 v2, 1, v1
	v_cmp_le_u32_e32 vcc, s4, v0
	v_writelane_b32 v109, s25, 7
	v_writelane_b32 v109, s6, 8
	v_cndmask_b32_e32 v0, v1, v2, vcc
	v_xor_b32_e32 v0, s2, v0
	v_subrev_u32_e32 v0, s2, v0
	v_mul_hi_i32 v1, v0, s28
	v_mul_lo_u32 v0, v0, s28
	v_mul_lo_u32 v2, v18, s44
	v_ashrrev_i32_e32 v3, 31, v2
	s_mul_i32 s2, s39, s6
	v_lshlrev_b64 v[0:1], 2, v[0:1]
	s_movk_i32 s4, 0x1080
	v_mov_b32_e32 v99, 0x100
	v_writelane_b32 v109, s22, 9
	s_waitcnt lgkmcnt(0)
	v_lshl_add_u64 v[4:5], s[0:1], 0, v[0:1]
	v_lshlrev_b64 v[2:3], 2, v[2:3]
	s_ashr_i32 s3, s2, 31
	v_mad_u32_u24 v6, v17, s4, v99
	s_mul_hi_i32 s5, s29, s22
	v_writelane_b32 v109, s28, 10
	s_mul_i32 s4, s29, s22
	v_lshl_add_u64 v[4:5], v[4:5], 0, v[2:3]
	s_lshl_b64 s[2:3], s[2:3], 2
	s_lshl_b64 s[4:5], s[4:5], 2
	v_lshl_add_u64 v[18:19], v[4:5], 0, s[2:3]
	v_writelane_b32 v109, s29, 11
	v_mul_hi_i32 v5, s40, v94
	v_mul_lo_u32 v4, s40, v94
	s_add_u32 s4, s8, s4
	v_writelane_b32 v109, s30, 12
	v_lshlrev_b64 v[4:5], 3, v[4:5]
	s_addc_u32 s5, s9, s5
	v_writelane_b32 v109, s31, 13
	v_lshl_add_u64 v[20:21], s[4:5], 0, v[4:5]
	s_lshl_b32 s4, s40, 3
	v_writelane_b32 v109, s4, 14
	s_mul_i32 s4, s40, 6
	v_writelane_b32 v109, s4, 15
	s_lshl_b32 s4, s40, 4
	v_writelane_b32 v109, s4, 16
	s_mul_i32 s4, s40, 10
	v_writelane_b32 v109, s4, 17
	s_mul_i32 s4, s40, 12
	v_writelane_b32 v109, s4, 18
	s_mul_i32 s4, s40, 24
	v_lshl_add_u64 v[0:1], v[0:1], 0, s[2:3]
	v_writelane_b32 v109, s4, 19
	s_mul_i32 s4, s40, 22
	v_lshrrev_b32_e32 v5, 1, v16
	v_lshl_add_u64 v[0:1], v[0:1], 0, v[2:3]
	v_writelane_b32 v109, s4, 20
	s_mul_i32 s4, s40, 20
	v_mul_u32_u24_e32 v4, 0x108, v97
	v_and_b32_e32 v5, 0x1f8, v5
	v_add_u32_e32 v26, 1, v94
	v_add_u32_e32 v27, 2, v94
	s_lshl_b32 s38, s40, 2
	v_add_u32_e32 v28, 3, v94
	v_add_u32_e32 v29, 4, v94
	;; [unrolled: 1-line block ×10, first 2 shown]
	s_ashr_i32 s7, s39, 31
	s_mov_b32 s6, s39
	v_lshl_add_u64 v[0:1], s[0:1], 0, v[0:1]
	v_lshlrev_b32_e32 v2, 1, v16
	v_lshlrev_b32_e32 v22, 2, v98
	v_mov_b32_e32 v23, 0
	v_writelane_b32 v109, s4, 21
	s_mul_i32 s4, s40, 18
	v_lshl_add_u32 v100, v16, 2, v6
	v_add3_u32 v101, v6, v4, v5
	s_add_i32 s54, s39, s39
	s_mul_i32 s55, s39, 3
	s_lshl_b32 s56, s39, 2
	s_mul_i32 s57, s39, 5
	s_mul_i32 s58, s39, 6
	;; [unrolled: 1-line block ×3, first 2 shown]
	s_lshl_b32 s60, s39, 3
	s_mul_i32 s61, s39, 9
	s_mul_i32 s62, s39, 10
	;; [unrolled: 1-line block ×7, first 2 shown]
	s_lshl_b32 s68, s39, 4
	s_mul_i32 s69, s39, 17
	s_mul_i32 s70, s39, 18
	;; [unrolled: 1-line block ×15, first 2 shown]
	s_lshl_b32 s84, s39, 5
	s_mul_i32 s85, s39, 33
	s_mul_i32 s86, s39, 34
	;; [unrolled: 1-line block ×17, first 2 shown]
	v_cmp_gt_i32_e64 s[0:1], s37, v94
	s_mul_i32 s53, s39, 50
	s_mul_i32 s34, s39, 51
	v_lshl_add_u32 v102, v17, 7, v2
	s_lshl_b64 s[2:3], s[6:7], 2
	v_lshl_add_u64 v[24:25], v[0:1], 0, v[22:23]
	v_mov_b32_e32 v12, 0
	v_mov_b32_e32 v13, v23
	;; [unrolled: 1-line block ×16, first 2 shown]
	s_mul_i32 s35, s39, 52
	s_mul_i32 s42, s39, 53
	s_mul_i32 s43, s39, 54
	s_mul_i32 s30, s39, 55
	s_mul_i32 s31, s39, 56
	s_mul_i32 s50, s39, 57
	s_mul_i32 s33, s39, 58
	s_mul_i32 s44, s39, 59
	s_mul_i32 s47, s39, 60
	s_mul_i32 s48, s39, 61
	s_mul_i32 s49, s39, 62
	s_mul_i32 s51, s39, 63
	v_writelane_b32 v109, s4, 22
	s_mul_i32 s4, s40, 14
	s_lshl_b32 s40, s40, 1
	v_cmp_gt_i32_e64 s[6:7], s37, v26
	v_cmp_gt_i32_e64 s[8:9], s37, v27
	;; [unrolled: 1-line block ×12, first 2 shown]
	s_mov_b32 s37, s38
	s_mov_b64 s[38:39], 0
	s_branch .LBB118_34
.LBB118_32:                             ;   in Loop: Header=BB118_34 Depth=1
	v_mul_lo_u32 v22, v22, s45
	v_readlane_b32 vcc_lo, v109, 19
	s_nop 1
	v_add_u32_e32 v22, vcc_lo, v22
	v_add_u32_e32 v90, v22, v102
	v_ashrrev_i32_e32 v91, 31, v90
	v_lshl_add_u64 v[90:91], v[90:91], 2, v[20:21]
	global_load_dwordx2 v[90:91], v[90:91], off
.LBB118_33:                             ;   in Loop: Header=BB118_34 Depth=1
	s_waitcnt vmcnt(0)
	v_cvt_pk_f16_f32 v22, v90, v91
	v_add_u32_e32 v90, 0xc00, v100
	ds_write2_b32 v90, v22, v23 offset0:40 offset1:106
	ds_write2_b32 v90, v23, v23 offset0:172 offset1:238
	ds_read2_b64 v[90:93], v101 offset0:8 offset1:12
	v_add_u32_e32 v98, 0x1c0, v98
	s_mov_b64 vcc, 0x700
	v_lshl_add_u64 v[24:25], v[24:25], 0, vcc
	s_waitcnt lgkmcnt(0)
	v_mfma_f32_16x16x16_f16 v[0:3], v[58:59], v[90:91], v[0:3]
	v_cmp_le_i32_e32 vcc, s36, v98
	v_add_u32_e32 v102, 0x380, v102
	s_or_b64 s[38:39], vcc, s[38:39]
	v_mfma_f32_16x16x16_f16 v[4:7], v[42:43], v[90:91], v[4:7]
	v_mfma_f32_16x16x16_f16 v[8:11], v[74:75], v[90:91], v[8:11]
	v_mfma_f32_16x16x16_f16 v[12:15], v[88:89], v[90:91], v[12:15]
	v_mfma_f32_16x16x16_f16 v[0:3], v[56:57], v[92:93], v[0:3]
	ds_read2_b64 v[56:59], v101 offset0:16 offset1:20
	v_mfma_f32_16x16x16_f16 v[4:7], v[38:39], v[92:93], v[4:7]
	v_mfma_f32_16x16x16_f16 v[8:11], v[72:73], v[92:93], v[8:11]
	v_mfma_f32_16x16x16_f16 v[12:15], v[86:87], v[92:93], v[12:15]
	s_waitcnt lgkmcnt(0)
	v_mfma_f32_16x16x16_f16 v[4:7], v[36:37], v[56:57], v[4:7]
	v_mfma_f32_16x16x16_f16 v[0:3], v[54:55], v[56:57], v[0:3]
	v_mfma_f32_16x16x16_f16 v[8:11], v[70:71], v[56:57], v[8:11]
	v_mfma_f32_16x16x16_f16 v[12:15], v[82:83], v[56:57], v[12:15]
	v_mfma_f32_16x16x16_f16 v[4:7], v[34:35], v[58:59], v[4:7]
	ds_read2_b64 v[34:37], v101 offset0:24 offset1:28
	v_mfma_f32_16x16x16_f16 v[0:3], v[52:53], v[58:59], v[0:3]
	v_mfma_f32_16x16x16_f16 v[8:11], v[68:69], v[58:59], v[8:11]
	v_mfma_f32_16x16x16_f16 v[12:15], v[78:79], v[58:59], v[12:15]
	s_waitcnt lgkmcnt(0)
	v_mfma_f32_16x16x16_f16 v[4:7], v[32:33], v[34:35], v[4:7]
	;; [unrolled: 10-line block ×3, first 2 shown]
	v_mfma_f32_16x16x16_f16 v[0:3], v[46:47], v[30:31], v[0:3]
	v_mfma_f32_16x16x16_f16 v[8:11], v[60:61], v[30:31], v[8:11]
	;; [unrolled: 1-line block ×7, first 2 shown]
	s_andn2_b64 exec, exec, s[38:39]
	s_cbranch_execz .LBB118_85
.LBB118_34:                             ; =>This Inner Loop Header: Depth=1
	v_lshl_add_u64 v[26:27], v[24:25], 0, s[2:3]
	global_load_dword v22, v[24:25], off
	global_load_dword v52, v[26:27], off
	v_add_u32_e32 v26, s54, v98
	v_ashrrev_i32_e32 v27, 31, v26
	v_add_u32_e32 v28, s55, v98
	v_add_u32_e32 v30, s56, v98
	;; [unrolled: 1-line block ×5, first 2 shown]
	v_lshl_add_u64 v[26:27], v[26:27], 2, v[18:19]
	v_ashrrev_i32_e32 v29, 31, v28
	v_ashrrev_i32_e32 v31, 31, v30
	;; [unrolled: 1-line block ×5, first 2 shown]
	v_lshl_add_u64 v[28:29], v[28:29], 2, v[18:19]
	v_lshl_add_u64 v[30:31], v[30:31], 2, v[18:19]
	;; [unrolled: 1-line block ×5, first 2 shown]
	global_load_dword v53, v[26:27], off
	global_load_dword v54, v[28:29], off
	global_load_dword v55, v[30:31], off
	global_load_dword v56, v[32:33], off
	global_load_dword v57, v[34:35], off
	global_load_dword v58, v[36:37], off
	v_add_u32_e32 v26, s60, v98
	v_add_u32_e32 v44, s69, v98
	;; [unrolled: 1-line block ×10, first 2 shown]
	v_ashrrev_i32_e32 v27, 31, v26
	v_ashrrev_i32_e32 v45, 31, v44
	;; [unrolled: 1-line block ×10, first 2 shown]
	v_lshl_add_u64 v[26:27], v[26:27], 2, v[18:19]
	v_lshl_add_u64 v[44:45], v[44:45], 2, v[18:19]
	v_add_u32_e32 v46, s70, v98
	v_add_u32_e32 v48, s71, v98
	;; [unrolled: 1-line block ×3, first 2 shown]
	v_lshl_add_u64 v[28:29], v[28:29], 2, v[18:19]
	v_lshl_add_u64 v[30:31], v[30:31], 2, v[18:19]
	;; [unrolled: 1-line block ×8, first 2 shown]
	global_load_dword v59, v[26:27], off
	global_load_dword v60, v[28:29], off
	;; [unrolled: 1-line block ×9, first 2 shown]
	s_nop 0
	global_load_dword v44, v[44:45], off
	v_add_u32_e32 v26, s73, v98
	v_ashrrev_i32_e32 v47, 31, v46
	v_ashrrev_i32_e32 v49, 31, v48
	;; [unrolled: 1-line block ×4, first 2 shown]
	v_add_u32_e32 v28, s74, v98
	v_add_u32_e32 v30, s75, v98
	;; [unrolled: 1-line block ×4, first 2 shown]
	v_lshl_add_u64 v[46:47], v[46:47], 2, v[18:19]
	v_lshl_add_u64 v[48:49], v[48:49], 2, v[18:19]
	;; [unrolled: 1-line block ×4, first 2 shown]
	v_ashrrev_i32_e32 v29, 31, v28
	v_ashrrev_i32_e32 v31, 31, v30
	;; [unrolled: 1-line block ×4, first 2 shown]
	v_lshl_add_u64 v[28:29], v[28:29], 2, v[18:19]
	v_lshl_add_u64 v[30:31], v[30:31], 2, v[18:19]
	;; [unrolled: 1-line block ×4, first 2 shown]
	v_add_u32_e32 v36, s83, v98
	v_add_u32_e32 v38, s84, v98
	;; [unrolled: 1-line block ×3, first 2 shown]
	v_ashrrev_i32_e32 v37, 31, v36
	v_ashrrev_i32_e32 v39, 31, v38
	;; [unrolled: 1-line block ×3, first 2 shown]
	v_lshl_add_u64 v[36:37], v[36:37], 2, v[18:19]
	s_waitcnt vmcnt(17)
	ds_write_b32 v100, v22 offset:64
	s_waitcnt vmcnt(16)
	ds_write_b32 v100, v52 offset:328
	;; [unrolled: 2-line block ×8, first 2 shown]
	global_load_dword v22, v[46:47], off
	global_load_dword v45, v[48:49], off
	s_nop 0
	global_load_dword v46, v[50:51], off
	global_load_dword v47, v[26:27], off
	global_load_dword v48, v[28:29], off
	global_load_dword v49, v[30:31], off
	s_nop 0
	global_load_dword v50, v[32:33], off
	global_load_dword v51, v[34:35], off
	v_add_u32_e32 v26, s78, v98
	v_ashrrev_i32_e32 v27, 31, v26
	v_add_u32_e32 v28, s79, v98
	v_add_u32_e32 v30, s80, v98
	;; [unrolled: 1-line block ×4, first 2 shown]
	v_lshl_add_u64 v[26:27], v[26:27], 2, v[18:19]
	v_ashrrev_i32_e32 v29, 31, v28
	v_ashrrev_i32_e32 v31, 31, v30
	;; [unrolled: 1-line block ×4, first 2 shown]
	v_lshl_add_u64 v[28:29], v[28:29], 2, v[18:19]
	v_lshl_add_u64 v[30:31], v[30:31], 2, v[18:19]
	v_lshl_add_u64 v[32:33], v[32:33], 2, v[18:19]
	v_lshl_add_u64 v[34:35], v[34:35], 2, v[18:19]
	v_lshl_add_u64 v[38:39], v[38:39], 2, v[18:19]
	v_lshl_add_u64 v[40:41], v[40:41], 2, v[18:19]
	global_load_dword v52, v[26:27], off
	global_load_dword v53, v[28:29], off
	global_load_dword v54, v[30:31], off
	global_load_dword v55, v[32:33], off
	global_load_dword v56, v[34:35], off
	global_load_dword v57, v[36:37], off
	global_load_dword v68, v[38:39], off
	global_load_dword v69, v[40:41], off
	v_add_u32_e32 v26, s86, v98
	v_ashrrev_i32_e32 v27, 31, v26
	v_add_u32_e32 v28, s87, v98
	v_add_u32_e32 v30, s88, v98
	v_add_u32_e32 v32, s89, v98
	v_add_u32_e32 v34, s90, v98
	v_add_u32_e32 v36, s91, v98
	v_add_u32_e32 v38, s92, v98
	v_add_u32_e32 v40, s93, v98
	v_lshl_add_u64 v[26:27], v[26:27], 2, v[18:19]
	v_ashrrev_i32_e32 v29, 31, v28
	v_ashrrev_i32_e32 v31, 31, v30
	v_ashrrev_i32_e32 v33, 31, v32
	v_ashrrev_i32_e32 v35, 31, v34
	v_ashrrev_i32_e32 v37, 31, v36
	v_ashrrev_i32_e32 v39, 31, v38
	v_ashrrev_i32_e32 v41, 31, v40
	v_lshl_add_u64 v[28:29], v[28:29], 2, v[18:19]
	v_lshl_add_u64 v[30:31], v[30:31], 2, v[18:19]
	v_lshl_add_u64 v[32:33], v[32:33], 2, v[18:19]
	v_lshl_add_u64 v[34:35], v[34:35], 2, v[18:19]
	v_lshl_add_u64 v[36:37], v[36:37], 2, v[18:19]
	v_lshl_add_u64 v[38:39], v[38:39], 2, v[18:19]
	v_lshl_add_u64 v[40:41], v[40:41], 2, v[18:19]
	global_load_dword v70, v[26:27], off
	global_load_dword v71, v[28:29], off
	global_load_dword v72, v[30:31], off
	global_load_dword v73, v[32:33], off
	global_load_dword v74, v[34:35], off
	global_load_dword v75, v[36:37], off
	global_load_dword v76, v[38:39], off
	global_load_dword v77, v[40:41], off
	v_add_u32_e32 v26, s94, v98
	v_ashrrev_i32_e32 v27, 31, v26
	v_add_u32_e32 v28, s95, v98
	v_add_u32_e32 v30, s96, v98
	v_add_u32_e32 v32, s97, v98
	v_add_u32_e32 v34, s98, v98
	v_add_u32_e32 v36, s99, v98
	v_add_u32_e32 v38, s5, v98
	v_add_u32_e32 v40, s52, v98
	v_lshl_add_u64 v[26:27], v[26:27], 2, v[18:19]
	v_ashrrev_i32_e32 v29, 31, v28
	v_ashrrev_i32_e32 v31, 31, v30
	v_ashrrev_i32_e32 v33, 31, v32
	v_ashrrev_i32_e32 v35, 31, v34
	v_ashrrev_i32_e32 v37, 31, v36
	v_ashrrev_i32_e32 v39, 31, v38
	v_ashrrev_i32_e32 v41, 31, v40
	v_lshl_add_u64 v[28:29], v[28:29], 2, v[18:19]
	;; [unrolled: 32-line block ×3, first 2 shown]
	v_lshl_add_u64 v[30:31], v[30:31], 2, v[18:19]
	v_lshl_add_u64 v[32:33], v[32:33], 2, v[18:19]
	;; [unrolled: 1-line block ×6, first 2 shown]
	global_load_dword v86, v[26:27], off
	global_load_dword v87, v[28:29], off
	;; [unrolled: 1-line block ×8, first 2 shown]
	v_add_u32_e32 v26, s33, v98
	v_ashrrev_i32_e32 v27, 31, v26
	v_add_u32_e32 v28, s44, v98
	v_add_u32_e32 v30, s47, v98
	;; [unrolled: 1-line block ×5, first 2 shown]
	v_lshl_add_u64 v[26:27], v[26:27], 2, v[18:19]
	v_ashrrev_i32_e32 v29, 31, v28
	v_ashrrev_i32_e32 v31, 31, v30
	v_ashrrev_i32_e32 v33, 31, v32
	v_ashrrev_i32_e32 v35, 31, v34
	v_ashrrev_i32_e32 v37, 31, v36
	v_lshl_add_u64 v[28:29], v[28:29], 2, v[18:19]
	v_lshl_add_u64 v[30:31], v[30:31], 2, v[18:19]
	v_lshl_add_u64 v[32:33], v[32:33], 2, v[18:19]
	v_lshl_add_u64 v[34:35], v[34:35], 2, v[18:19]
	v_lshl_add_u64 v[36:37], v[36:37], 2, v[18:19]
	global_load_dword v103, v[26:27], off
	global_load_dword v104, v[28:29], off
	global_load_dword v105, v[30:31], off
	global_load_dword v106, v[32:33], off
	global_load_dword v107, v[34:35], off
	global_load_dword v108, v[36:37], off
	s_waitcnt vmcnt(55)
	ds_write_b32 v100, v59 offset:2176
	s_waitcnt vmcnt(54)
	ds_write_b32 v100, v60 offset:2440
	s_waitcnt vmcnt(53)
	ds_write_b32 v100, v61 offset:2704
	s_waitcnt vmcnt(52)
	ds_write_b32 v100, v62 offset:2968
	s_waitcnt vmcnt(51)
	ds_write_b32 v100, v63 offset:3232
	s_waitcnt vmcnt(50)
	ds_write_b32 v100, v64 offset:3496
	s_waitcnt vmcnt(49)
	ds_write_b32 v100, v65 offset:3760
	s_waitcnt vmcnt(48)
	ds_write_b32 v100, v66 offset:4024
	ds_read_b64 v[42:43], v101 offset:64
	ds_read_b64 v[38:39], v101 offset:96
	ds_read_b64 v[36:37], v101 offset:128
	ds_read_b64 v[34:35], v101 offset:160
	ds_read_b64 v[32:33], v101 offset:192
	ds_read_b64 v[30:31], v101 offset:224
	ds_read_b64 v[28:29], v101 offset:256
	ds_read_b64 v[26:27], v101 offset:288
	s_waitcnt vmcnt(47)
	ds_write_b32 v100, v67 offset:64
	s_waitcnt vmcnt(46)
	ds_write_b32 v100, v44 offset:328
	s_waitcnt vmcnt(45)
	ds_write_b32 v100, v22 offset:592
	s_waitcnt vmcnt(44)
	ds_write_b32 v100, v45 offset:856
	s_waitcnt vmcnt(43)
	ds_write_b32 v100, v46 offset:1120
	s_waitcnt vmcnt(42)
	ds_write_b32 v100, v47 offset:1384
	s_waitcnt vmcnt(41)
	ds_write_b32 v100, v48 offset:1648
	s_waitcnt vmcnt(40)
	ds_write_b32 v100, v49 offset:1912
	s_waitcnt vmcnt(39)
	ds_write_b32 v100, v50 offset:2176
	s_waitcnt vmcnt(38)
	ds_write_b32 v100, v51 offset:2440
	s_waitcnt vmcnt(37)
	ds_write_b32 v100, v52 offset:2704
	s_waitcnt vmcnt(36)
	ds_write_b32 v100, v53 offset:2968
	s_waitcnt vmcnt(35)
	ds_write_b32 v100, v54 offset:3232
	s_waitcnt vmcnt(34)
	ds_write_b32 v100, v55 offset:3496
	s_waitcnt vmcnt(33)
	ds_write_b32 v100, v56 offset:3760
	s_waitcnt vmcnt(32)
	ds_write_b32 v100, v57 offset:4024
	ds_read_b64 v[58:59], v101 offset:64
	ds_read_b64 v[56:57], v101 offset:96
	ds_read_b64 v[54:55], v101 offset:128
	ds_read_b64 v[52:53], v101 offset:160
	ds_read_b64 v[50:51], v101 offset:192
	ds_read_b64 v[48:49], v101 offset:224
	ds_read_b64 v[46:47], v101 offset:256
	ds_read_b64 v[40:41], v101 offset:288
	s_waitcnt vmcnt(31)
	ds_write_b32 v100, v68 offset:64
	s_waitcnt vmcnt(30)
	ds_write_b32 v100, v69 offset:328
	s_waitcnt vmcnt(29)
	ds_write_b32 v100, v70 offset:592
	s_waitcnt vmcnt(28)
	ds_write_b32 v100, v71 offset:856
	s_waitcnt vmcnt(27)
	ds_write_b32 v100, v72 offset:1120
	s_waitcnt vmcnt(26)
	ds_write_b32 v100, v73 offset:1384
	s_waitcnt vmcnt(25)
	ds_write_b32 v100, v74 offset:1648
	s_waitcnt vmcnt(24)
	ds_write_b32 v100, v75 offset:1912
	;; [unrolled: 40-line block ×3, first 2 shown]
	s_waitcnt vmcnt(7)
	ds_write_b32 v100, v92 offset:2176
	s_waitcnt vmcnt(6)
	ds_write_b32 v100, v93 offset:2440
	;; [unrolled: 2-line block ×8, first 2 shown]
	ds_read_b64 v[88:89], v101 offset:64
	ds_read_b64 v[86:87], v101 offset:96
	ds_read_b64 v[82:83], v101 offset:128
	ds_read_b64 v[78:79], v101 offset:160
	ds_read_b64 v[84:85], v101 offset:192
	ds_read_b64 v[80:81], v101 offset:224
	ds_read_b64 v[76:77], v101 offset:256
	ds_read_b64 v[62:63], v101 offset:288
	s_andn2_b64 vcc, exec, s[0:1]
	v_mov_b32_e32 v90, 0
	v_mov_b32_e32 v91, 0
	s_cbranch_vccnz .LBB118_38
; %bb.35:                               ;   in Loop: Header=BB118_34 Depth=1
	ds_read_b32 v22, v99
	s_waitcnt lgkmcnt(0)
	v_cmp_gt_i32_e32 vcc, 0, v22
	s_cbranch_vccnz .LBB118_37
; %bb.36:                               ;   in Loop: Header=BB118_34 Depth=1
	v_mul_lo_u32 v22, v22, s45
	v_add_u32_e32 v90, v102, v22
	v_ashrrev_i32_e32 v91, 31, v90
	v_lshl_add_u64 v[90:91], v[90:91], 2, v[20:21]
	global_load_dwordx2 v[90:91], v[90:91], off
	s_branch .LBB118_38
.LBB118_37:                             ;   in Loop: Header=BB118_34 Depth=1
	v_mov_b32_e32 v90, 0
	v_mov_b32_e32 v91, 0
.LBB118_38:                             ;   in Loop: Header=BB118_34 Depth=1
	s_waitcnt vmcnt(0)
	v_cvt_pk_f16_f32 v22, v90, v91
	v_mov_b32_e32 v90, 0
	s_andn2_b64 vcc, exec, s[6:7]
	v_mov_b32_e32 v92, 0
	v_mov_b32_e32 v93, 0
	ds_write_b32 v100, v22 offset:64
	s_cbranch_vccnz .LBB118_42
; %bb.39:                               ;   in Loop: Header=BB118_34 Depth=1
	ds_read_b32 v22, v99 offset:4
	s_waitcnt lgkmcnt(0)
	v_cmp_gt_i32_e32 vcc, 0, v22
	s_cbranch_vccnz .LBB118_41
; %bb.40:                               ;   in Loop: Header=BB118_34 Depth=1
	v_mul_lo_u32 v22, v22, s45
	v_add_u32_e32 v22, s40, v22
	v_add_u32_e32 v92, v22, v102
	v_ashrrev_i32_e32 v93, 31, v92
	v_lshl_add_u64 v[92:93], v[92:93], 2, v[20:21]
	global_load_dwordx2 v[92:93], v[92:93], off
	s_branch .LBB118_42
.LBB118_41:                             ;   in Loop: Header=BB118_34 Depth=1
	v_mov_b32_e32 v92, 0
	v_mov_b32_e32 v93, 0
.LBB118_42:                             ;   in Loop: Header=BB118_34 Depth=1
	s_waitcnt vmcnt(0)
	v_cvt_pk_f16_f32 v22, v92, v93
	s_andn2_b64 vcc, exec, s[8:9]
	v_mov_b32_e32 v91, 0
	ds_write_b32 v100, v22 offset:328
	s_cbranch_vccnz .LBB118_46
; %bb.43:                               ;   in Loop: Header=BB118_34 Depth=1
	ds_read_b32 v22, v99 offset:8
	s_waitcnt lgkmcnt(0)
	v_cmp_gt_i32_e32 vcc, 0, v22
	s_cbranch_vccnz .LBB118_45
; %bb.44:                               ;   in Loop: Header=BB118_34 Depth=1
	v_mul_lo_u32 v22, v22, s45
	v_add_u32_e32 v22, s37, v22
	v_add_u32_e32 v90, v22, v102
	v_ashrrev_i32_e32 v91, 31, v90
	v_lshl_add_u64 v[90:91], v[90:91], 2, v[20:21]
	global_load_dwordx2 v[90:91], v[90:91], off
	s_branch .LBB118_46
.LBB118_45:                             ;   in Loop: Header=BB118_34 Depth=1
	v_mov_b32_e32 v90, 0
	v_mov_b32_e32 v91, 0
.LBB118_46:                             ;   in Loop: Header=BB118_34 Depth=1
	s_waitcnt vmcnt(0)
	v_cvt_pk_f16_f32 v22, v90, v91
	v_mov_b32_e32 v90, 0
	s_andn2_b64 vcc, exec, s[10:11]
	v_mov_b32_e32 v92, 0
	v_mov_b32_e32 v93, 0
	ds_write_b32 v100, v22 offset:592
	s_cbranch_vccnz .LBB118_50
; %bb.47:                               ;   in Loop: Header=BB118_34 Depth=1
	ds_read_b32 v22, v99 offset:12
	s_waitcnt lgkmcnt(0)
	v_cmp_gt_i32_e32 vcc, 0, v22
	s_cbranch_vccnz .LBB118_49
; %bb.48:                               ;   in Loop: Header=BB118_34 Depth=1
	v_mul_lo_u32 v22, v22, s45
	v_readlane_b32 vcc_lo, v109, 15
	s_nop 1
	v_add_u32_e32 v22, vcc_lo, v22
	v_add_u32_e32 v92, v22, v102
	v_ashrrev_i32_e32 v93, 31, v92
	v_lshl_add_u64 v[92:93], v[92:93], 2, v[20:21]
	global_load_dwordx2 v[92:93], v[92:93], off
	s_branch .LBB118_50
.LBB118_49:                             ;   in Loop: Header=BB118_34 Depth=1
	v_mov_b32_e32 v92, 0
	v_mov_b32_e32 v93, 0
.LBB118_50:                             ;   in Loop: Header=BB118_34 Depth=1
	s_waitcnt vmcnt(0)
	v_cvt_pk_f16_f32 v22, v92, v93
	s_andn2_b64 vcc, exec, s[12:13]
	v_mov_b32_e32 v91, 0
	ds_write_b32 v100, v22 offset:856
	s_cbranch_vccnz .LBB118_54
; %bb.51:                               ;   in Loop: Header=BB118_34 Depth=1
	ds_read_b32 v22, v99 offset:16
	s_waitcnt lgkmcnt(0)
	v_cmp_gt_i32_e32 vcc, 0, v22
	s_cbranch_vccnz .LBB118_53
; %bb.52:                               ;   in Loop: Header=BB118_34 Depth=1
	v_mul_lo_u32 v22, v22, s45
	v_readlane_b32 vcc_lo, v109, 14
	s_nop 1
	v_add_u32_e32 v22, vcc_lo, v22
	v_add_u32_e32 v90, v22, v102
	v_ashrrev_i32_e32 v91, 31, v90
	v_lshl_add_u64 v[90:91], v[90:91], 2, v[20:21]
	global_load_dwordx2 v[90:91], v[90:91], off
	s_branch .LBB118_54
.LBB118_53:                             ;   in Loop: Header=BB118_34 Depth=1
	v_mov_b32_e32 v90, 0
	v_mov_b32_e32 v91, 0
.LBB118_54:                             ;   in Loop: Header=BB118_34 Depth=1
	s_waitcnt vmcnt(0)
	v_cvt_pk_f16_f32 v22, v90, v91
	v_mov_b32_e32 v90, 0
	s_andn2_b64 vcc, exec, s[14:15]
	v_mov_b32_e32 v92, 0
	v_mov_b32_e32 v93, 0
	ds_write_b32 v100, v22 offset:1120
	s_cbranch_vccnz .LBB118_58
; %bb.55:                               ;   in Loop: Header=BB118_34 Depth=1
	ds_read_b32 v22, v99 offset:20
	s_waitcnt lgkmcnt(0)
	v_cmp_gt_i32_e32 vcc, 0, v22
	s_cbranch_vccnz .LBB118_57
; %bb.56:                               ;   in Loop: Header=BB118_34 Depth=1
	v_mul_lo_u32 v22, v22, s45
	v_readlane_b32 vcc_lo, v109, 17
	s_nop 1
	v_add_u32_e32 v22, vcc_lo, v22
	v_add_u32_e32 v92, v22, v102
	v_ashrrev_i32_e32 v93, 31, v92
	v_lshl_add_u64 v[92:93], v[92:93], 2, v[20:21]
	global_load_dwordx2 v[92:93], v[92:93], off
	s_branch .LBB118_58
.LBB118_57:                             ;   in Loop: Header=BB118_34 Depth=1
	v_mov_b32_e32 v92, 0
	v_mov_b32_e32 v93, 0
.LBB118_58:                             ;   in Loop: Header=BB118_34 Depth=1
	s_waitcnt vmcnt(0)
	v_cvt_pk_f16_f32 v22, v92, v93
	s_andn2_b64 vcc, exec, s[16:17]
	v_mov_b32_e32 v91, 0
	ds_write_b32 v100, v22 offset:1384
	s_cbranch_vccnz .LBB118_62
; %bb.59:                               ;   in Loop: Header=BB118_34 Depth=1
	ds_read_b32 v22, v99 offset:24
	s_waitcnt lgkmcnt(0)
	v_cmp_gt_i32_e32 vcc, 0, v22
	s_cbranch_vccnz .LBB118_61
; %bb.60:                               ;   in Loop: Header=BB118_34 Depth=1
	v_mul_lo_u32 v22, v22, s45
	v_readlane_b32 vcc_lo, v109, 18
	s_nop 1
	v_add_u32_e32 v22, vcc_lo, v22
	v_add_u32_e32 v90, v22, v102
	v_ashrrev_i32_e32 v91, 31, v90
	v_lshl_add_u64 v[90:91], v[90:91], 2, v[20:21]
	global_load_dwordx2 v[90:91], v[90:91], off
	s_branch .LBB118_62
.LBB118_61:                             ;   in Loop: Header=BB118_34 Depth=1
	v_mov_b32_e32 v90, 0
	v_mov_b32_e32 v91, 0
.LBB118_62:                             ;   in Loop: Header=BB118_34 Depth=1
	s_waitcnt vmcnt(0)
	v_cvt_pk_f16_f32 v22, v90, v91
	v_mov_b32_e32 v90, 0
	s_andn2_b64 vcc, exec, s[18:19]
	v_mov_b32_e32 v92, 0
	v_mov_b32_e32 v93, 0
	ds_write_b32 v100, v22 offset:1648
	s_cbranch_vccnz .LBB118_66
; %bb.63:                               ;   in Loop: Header=BB118_34 Depth=1
	ds_read_b32 v22, v99 offset:28
	s_waitcnt lgkmcnt(0)
	v_cmp_gt_i32_e32 vcc, 0, v22
	s_cbranch_vccnz .LBB118_65
; %bb.64:                               ;   in Loop: Header=BB118_34 Depth=1
	v_mul_lo_u32 v22, v22, s45
	v_add_u32_e32 v22, s4, v22
	v_add_u32_e32 v92, v22, v102
	v_ashrrev_i32_e32 v93, 31, v92
	v_lshl_add_u64 v[92:93], v[92:93], 2, v[20:21]
	global_load_dwordx2 v[92:93], v[92:93], off
	s_branch .LBB118_66
.LBB118_65:                             ;   in Loop: Header=BB118_34 Depth=1
	v_mov_b32_e32 v92, 0
	v_mov_b32_e32 v93, 0
.LBB118_66:                             ;   in Loop: Header=BB118_34 Depth=1
	s_waitcnt vmcnt(0)
	v_cvt_pk_f16_f32 v22, v92, v93
	s_andn2_b64 vcc, exec, s[20:21]
	v_mov_b32_e32 v91, 0
	ds_write_b32 v100, v22 offset:1912
	s_cbranch_vccnz .LBB118_70
; %bb.67:                               ;   in Loop: Header=BB118_34 Depth=1
	ds_read_b32 v22, v99 offset:32
	s_waitcnt lgkmcnt(0)
	v_cmp_gt_i32_e32 vcc, 0, v22
	s_cbranch_vccnz .LBB118_69
; %bb.68:                               ;   in Loop: Header=BB118_34 Depth=1
	v_mul_lo_u32 v22, v22, s45
	v_readlane_b32 vcc_lo, v109, 16
	s_nop 1
	v_add_u32_e32 v22, vcc_lo, v22
	v_add_u32_e32 v90, v22, v102
	v_ashrrev_i32_e32 v91, 31, v90
	v_lshl_add_u64 v[90:91], v[90:91], 2, v[20:21]
	global_load_dwordx2 v[90:91], v[90:91], off
	s_branch .LBB118_70
.LBB118_69:                             ;   in Loop: Header=BB118_34 Depth=1
	v_mov_b32_e32 v90, 0
	v_mov_b32_e32 v91, 0
.LBB118_70:                             ;   in Loop: Header=BB118_34 Depth=1
	s_waitcnt vmcnt(0)
	v_cvt_pk_f16_f32 v22, v90, v91
	v_mov_b32_e32 v90, 0
	s_andn2_b64 vcc, exec, s[22:23]
	v_mov_b32_e32 v92, 0
	v_mov_b32_e32 v93, 0
	ds_write_b32 v100, v22 offset:2176
	s_cbranch_vccnz .LBB118_74
; %bb.71:                               ;   in Loop: Header=BB118_34 Depth=1
	ds_read_b32 v22, v99 offset:36
	s_waitcnt lgkmcnt(0)
	v_cmp_gt_i32_e32 vcc, 0, v22
	s_cbranch_vccnz .LBB118_73
; %bb.72:                               ;   in Loop: Header=BB118_34 Depth=1
	v_mul_lo_u32 v22, v22, s45
	v_readlane_b32 vcc_lo, v109, 22
	s_nop 1
	v_add_u32_e32 v22, vcc_lo, v22
	v_add_u32_e32 v92, v22, v102
	v_ashrrev_i32_e32 v93, 31, v92
	v_lshl_add_u64 v[92:93], v[92:93], 2, v[20:21]
	global_load_dwordx2 v[92:93], v[92:93], off
	s_branch .LBB118_74
.LBB118_73:                             ;   in Loop: Header=BB118_34 Depth=1
	v_mov_b32_e32 v92, 0
	v_mov_b32_e32 v93, 0
.LBB118_74:                             ;   in Loop: Header=BB118_34 Depth=1
	s_waitcnt vmcnt(0)
	v_cvt_pk_f16_f32 v22, v92, v93
	s_andn2_b64 vcc, exec, s[24:25]
	v_mov_b32_e32 v91, 0
	ds_write_b32 v100, v22 offset:2440
	s_cbranch_vccnz .LBB118_78
; %bb.75:                               ;   in Loop: Header=BB118_34 Depth=1
	ds_read_b32 v22, v99 offset:40
	s_waitcnt lgkmcnt(0)
	v_cmp_gt_i32_e32 vcc, 0, v22
	s_cbranch_vccnz .LBB118_77
; %bb.76:                               ;   in Loop: Header=BB118_34 Depth=1
	v_mul_lo_u32 v22, v22, s45
	v_readlane_b32 vcc_lo, v109, 21
	s_nop 1
	v_add_u32_e32 v22, vcc_lo, v22
	v_add_u32_e32 v90, v22, v102
	v_ashrrev_i32_e32 v91, 31, v90
	v_lshl_add_u64 v[90:91], v[90:91], 2, v[20:21]
	global_load_dwordx2 v[90:91], v[90:91], off
	s_branch .LBB118_78
.LBB118_77:                             ;   in Loop: Header=BB118_34 Depth=1
	v_mov_b32_e32 v90, 0
	v_mov_b32_e32 v91, 0
.LBB118_78:                             ;   in Loop: Header=BB118_34 Depth=1
	s_waitcnt vmcnt(0)
	v_cvt_pk_f16_f32 v22, v90, v91
	v_mov_b32_e32 v90, 0
	s_andn2_b64 vcc, exec, s[26:27]
	v_mov_b32_e32 v92, 0
	v_mov_b32_e32 v93, 0
	ds_write_b32 v100, v22 offset:2704
	s_cbranch_vccnz .LBB118_82
; %bb.79:                               ;   in Loop: Header=BB118_34 Depth=1
	ds_read_b32 v22, v99 offset:44
	s_waitcnt lgkmcnt(0)
	v_cmp_gt_i32_e32 vcc, 0, v22
	s_cbranch_vccnz .LBB118_81
; %bb.80:                               ;   in Loop: Header=BB118_34 Depth=1
	v_mul_lo_u32 v22, v22, s45
	v_readlane_b32 vcc_lo, v109, 20
	s_nop 1
	v_add_u32_e32 v22, vcc_lo, v22
	v_add_u32_e32 v92, v22, v102
	v_ashrrev_i32_e32 v93, 31, v92
	v_lshl_add_u64 v[92:93], v[92:93], 2, v[20:21]
	global_load_dwordx2 v[92:93], v[92:93], off
	s_branch .LBB118_82
.LBB118_81:                             ;   in Loop: Header=BB118_34 Depth=1
	v_mov_b32_e32 v92, 0
	v_mov_b32_e32 v93, 0
.LBB118_82:                             ;   in Loop: Header=BB118_34 Depth=1
	s_waitcnt vmcnt(0)
	v_cvt_pk_f16_f32 v22, v92, v93
	s_andn2_b64 vcc, exec, s[28:29]
	v_mov_b32_e32 v91, 0
	ds_write_b32 v100, v22 offset:2968
	s_cbranch_vccnz .LBB118_33
; %bb.83:                               ;   in Loop: Header=BB118_34 Depth=1
	ds_read_b32 v22, v99 offset:48
	s_waitcnt lgkmcnt(0)
	v_cmp_gt_i32_e32 vcc, 0, v22
	s_cbranch_vccz .LBB118_32
; %bb.84:                               ;   in Loop: Header=BB118_34 Depth=1
	v_mov_b32_e32 v90, 0
	v_mov_b32_e32 v91, 0
	s_branch .LBB118_33
.LBB118_85:
	s_or_b64 exec, exec, s[38:39]
	v_readlane_b32 s24, v109, 6
	v_readlane_b32 s28, v109, 10
	;; [unrolled: 1-line block ×8, first 2 shown]
.LBB118_86:
	s_waitcnt lgkmcnt(0)
	v_readlane_b32 s0, v109, 4
	v_readlane_b32 s1, v109, 5
	s_or_b64 exec, exec, s[0:1]
	v_mov_b32_e32 v19, 0x100
	v_lshl_add_u32 v18, v96, 2, v19
	v_mul_u32_u24_e32 v20, 0x708, v97
	v_and_b32_e32 v21, 0x3f0, v16
	v_add3_u32 v20, v18, v20, v21
	s_barrier
	s_movk_i32 s0, 0x708
	ds_write2_b32 v20, v4, v5 offset0:16 offset1:17
	ds_write2_b32 v20, v6, v7 offset0:18 offset1:19
	;; [unrolled: 1-line block ×8, first 2 shown]
	v_lshl_add_u32 v9, v16, 2, v19
	v_mad_u32_u24 v0, v17, s0, v9
	v_add_u32_e32 v1, 64, v0
	s_waitcnt lgkmcnt(0)
	s_barrier
	ds_read2_b32 v[6:7], v0 offset0:16 offset1:80
	ds_read2_b32 v[2:3], v0 offset0:144 offset1:208
	ds_read2st64_b32 v[4:5], v1 offset0:4 offset1:5
	ds_read_b32 v10, v0 offset:1600
	v_cmp_gt_u32_e32 vcc, 13, v17
	v_mov_b32_e32 v11, -1
	s_and_saveexec_b64 s[0:1], vcc
; %bb.87:
	s_movk_i32 s2, 0xff04
	v_mad_i32_i24 v0, v17, s2, v18
	ds_read_b32 v11, v0
; %bb.88:
	s_or_b64 exec, exec, s[0:1]
	s_mul_hi_i32 s1, s30, s22
	s_mul_i32 s0, s30, s22
	s_lshl_b64 s[0:1], s[0:1], 2
	v_readlane_b32 s2, v109, 2
	v_mul_hi_i32 v1, v94, s41
	v_mul_lo_u32 v0, v94, s41
	v_readlane_b32 s3, v109, 3
	s_add_u32 s0, s2, s0
	s_addc_u32 s1, s3, s1
	v_lshlrev_b64 v[0:1], 2, v[0:1]
	s_waitcnt lgkmcnt(0)
	v_cmp_lt_i32_e32 vcc, -1, v11
	v_add_u32_e32 v8, s6, v16
	v_lshl_add_u64 v[0:1], s[0:1], 0, v[0:1]
	s_and_b64 s[2:3], vcc, s[24:25]
	s_and_saveexec_b64 s[0:1], s[2:3]
	s_cbranch_execz .LBB118_90
; %bb.89:
	v_add_f32_e32 v6, 0, v6
	v_add_f32_e32 v6, v6, v7
	;; [unrolled: 1-line block ×7, first 2 shown]
	v_mul_lo_u32 v2, v11, s46
	v_mul_lo_u32 v3, v17, s41
	v_add3_u32 v2, v8, v3, v2
	v_mov_b32_e32 v3, 0
	v_lshl_add_u64 v[2:3], v[2:3], 2, v[0:1]
	global_store_dword v[2:3], v4, off
.LBB118_90:
	s_or_b64 exec, exec, s[0:1]
	v_cmp_gt_u32_e32 vcc, 6, v17
	s_and_saveexec_b64 s[0:1], vcc
	s_cbranch_execz .LBB118_93
; %bb.91:
	v_mov_b32_e32 v2, 0x100
	v_lshl_add_u32 v2, v17, 2, v2
	ds_read_b32 v2, v2 offset:28
	v_readlane_b32 s0, v109, 0
	v_readlane_b32 s1, v109, 1
	s_waitcnt lgkmcnt(0)
	v_cmp_lt_i32_e32 vcc, -1, v2
	s_and_b64 s[0:1], vcc, s[0:1]
	s_and_b64 exec, exec, s[0:1]
	s_cbranch_execz .LBB118_93
; %bb.92:
	v_mul_u32_u24_e32 v3, 0x708, v17
	v_add_u32_e32 v6, v3, v9
	v_add_u32_e32 v7, 0x78, v6
	ds_read2st64_b32 v[4:5], v7 offset0:49 offset1:50
	v_mul_lo_u32 v9, v2, s46
	ds_read2st64_b32 v[2:3], v7 offset0:51 offset1:52
	ds_read_b32 v10, v6 offset:14200
	ds_read2st64_b32 v[6:7], v7 offset0:53 offset1:54
	s_waitcnt lgkmcnt(3)
	v_add_f32_e32 v4, 0, v4
	v_add_f32_e32 v4, v4, v5
	s_waitcnt lgkmcnt(2)
	v_add_f32_e32 v2, v4, v2
	v_add_f32_e32 v2, v2, v3
	;; [unrolled: 3-line block ×3, first 2 shown]
	v_add_f32_e32 v4, v2, v10
	v_mul_lo_u32 v2, v95, s41
	v_add3_u32 v2, v8, v2, v9
	v_mov_b32_e32 v3, 0
	v_lshl_add_u64 v[0:1], v[2:3], 2, v[0:1]
	global_store_dword v[0:1], v4, off
.LBB118_93:
	s_endpgm
	.section	.rodata,"a",@progbits
	.p2align	6, 0x0
	.amdhsa_kernel _ZL9mul_mat_fI7__half2Li64ELi13ELi7ELb1EEvPKT_PKfPKiPfiiiiiiiiiiiiiiii
		.amdhsa_group_segment_fixed_size 256
		.amdhsa_private_segment_fixed_size 0
		.amdhsa_kernarg_size 352
		.amdhsa_user_sgpr_count 2
		.amdhsa_user_sgpr_dispatch_ptr 0
		.amdhsa_user_sgpr_queue_ptr 0
		.amdhsa_user_sgpr_kernarg_segment_ptr 1
		.amdhsa_user_sgpr_dispatch_id 0
		.amdhsa_user_sgpr_kernarg_preload_length 0
		.amdhsa_user_sgpr_kernarg_preload_offset 0
		.amdhsa_user_sgpr_private_segment_size 0
		.amdhsa_uses_dynamic_stack 0
		.amdhsa_enable_private_segment 0
		.amdhsa_system_sgpr_workgroup_id_x 1
		.amdhsa_system_sgpr_workgroup_id_y 1
		.amdhsa_system_sgpr_workgroup_id_z 1
		.amdhsa_system_sgpr_workgroup_info 0
		.amdhsa_system_vgpr_workitem_id 2
		.amdhsa_next_free_vgpr 110
		.amdhsa_next_free_sgpr 100
		.amdhsa_accum_offset 112
		.amdhsa_reserve_vcc 1
		.amdhsa_float_round_mode_32 0
		.amdhsa_float_round_mode_16_64 0
		.amdhsa_float_denorm_mode_32 3
		.amdhsa_float_denorm_mode_16_64 3
		.amdhsa_dx10_clamp 1
		.amdhsa_ieee_mode 1
		.amdhsa_fp16_overflow 0
		.amdhsa_tg_split 0
		.amdhsa_exception_fp_ieee_invalid_op 0
		.amdhsa_exception_fp_denorm_src 0
		.amdhsa_exception_fp_ieee_div_zero 0
		.amdhsa_exception_fp_ieee_overflow 0
		.amdhsa_exception_fp_ieee_underflow 0
		.amdhsa_exception_fp_ieee_inexact 0
		.amdhsa_exception_int_div_zero 0
	.end_amdhsa_kernel
	.section	.text._ZL9mul_mat_fI7__half2Li64ELi13ELi7ELb1EEvPKT_PKfPKiPfiiiiiiiiiiiiiiii,"axG",@progbits,_ZL9mul_mat_fI7__half2Li64ELi13ELi7ELb1EEvPKT_PKfPKiPfiiiiiiiiiiiiiiii,comdat
.Lfunc_end118:
	.size	_ZL9mul_mat_fI7__half2Li64ELi13ELi7ELb1EEvPKT_PKfPKiPfiiiiiiiiiiiiiiii, .Lfunc_end118-_ZL9mul_mat_fI7__half2Li64ELi13ELi7ELb1EEvPKT_PKfPKiPfiiiiiiiiiiiiiiii
                                        ; -- End function
	.set _ZL9mul_mat_fI7__half2Li64ELi13ELi7ELb1EEvPKT_PKfPKiPfiiiiiiiiiiiiiiii.num_vgpr, 110
	.set _ZL9mul_mat_fI7__half2Li64ELi13ELi7ELb1EEvPKT_PKfPKiPfiiiiiiiiiiiiiiii.num_agpr, 0
	.set _ZL9mul_mat_fI7__half2Li64ELi13ELi7ELb1EEvPKT_PKfPKiPfiiiiiiiiiiiiiiii.numbered_sgpr, 100
	.set _ZL9mul_mat_fI7__half2Li64ELi13ELi7ELb1EEvPKT_PKfPKiPfiiiiiiiiiiiiiiii.num_named_barrier, 0
	.set _ZL9mul_mat_fI7__half2Li64ELi13ELi7ELb1EEvPKT_PKfPKiPfiiiiiiiiiiiiiiii.private_seg_size, 0
	.set _ZL9mul_mat_fI7__half2Li64ELi13ELi7ELb1EEvPKT_PKfPKiPfiiiiiiiiiiiiiiii.uses_vcc, 1
	.set _ZL9mul_mat_fI7__half2Li64ELi13ELi7ELb1EEvPKT_PKfPKiPfiiiiiiiiiiiiiiii.uses_flat_scratch, 0
	.set _ZL9mul_mat_fI7__half2Li64ELi13ELi7ELb1EEvPKT_PKfPKiPfiiiiiiiiiiiiiiii.has_dyn_sized_stack, 0
	.set _ZL9mul_mat_fI7__half2Li64ELi13ELi7ELb1EEvPKT_PKfPKiPfiiiiiiiiiiiiiiii.has_recursion, 0
	.set _ZL9mul_mat_fI7__half2Li64ELi13ELi7ELb1EEvPKT_PKfPKiPfiiiiiiiiiiiiiiii.has_indirect_call, 0
	.section	.AMDGPU.csdata,"",@progbits
; Kernel info:
; codeLenInByte = 7524
; TotalNumSgprs: 106
; NumVgprs: 110
; NumAgprs: 0
; TotalNumVgprs: 110
; ScratchSize: 0
; MemoryBound: 0
; FloatMode: 240
; IeeeMode: 1
; LDSByteSize: 256 bytes/workgroup (compile time only)
; SGPRBlocks: 13
; VGPRBlocks: 13
; NumSGPRsForWavesPerEU: 106
; NumVGPRsForWavesPerEU: 110
; AccumOffset: 112
; Occupancy: 4
; WaveLimiterHint : 0
; COMPUTE_PGM_RSRC2:SCRATCH_EN: 0
; COMPUTE_PGM_RSRC2:USER_SGPR: 2
; COMPUTE_PGM_RSRC2:TRAP_HANDLER: 0
; COMPUTE_PGM_RSRC2:TGID_X_EN: 1
; COMPUTE_PGM_RSRC2:TGID_Y_EN: 1
; COMPUTE_PGM_RSRC2:TGID_Z_EN: 1
; COMPUTE_PGM_RSRC2:TIDIG_COMP_CNT: 2
; COMPUTE_PGM_RSRC3_GFX90A:ACCUM_OFFSET: 27
; COMPUTE_PGM_RSRC3_GFX90A:TG_SPLIT: 0
	.section	.text._ZL9mul_mat_fI7__half2Li64ELi13ELi7ELb0EEvPKT_PKfPKiPfiiiiiiiiiiiiiiii,"axG",@progbits,_ZL9mul_mat_fI7__half2Li64ELi13ELi7ELb0EEvPKT_PKfPKiPfiiiiiiiiiiiiiiii,comdat
	.globl	_ZL9mul_mat_fI7__half2Li64ELi13ELi7ELb0EEvPKT_PKfPKiPfiiiiiiiiiiiiiiii ; -- Begin function _ZL9mul_mat_fI7__half2Li64ELi13ELi7ELb0EEvPKT_PKfPKiPfiiiiiiiiiiiiiiii
	.p2align	8
	.type	_ZL9mul_mat_fI7__half2Li64ELi13ELi7ELb0EEvPKT_PKfPKiPfiiiiiiiiiiiiiiii,@function
_ZL9mul_mat_fI7__half2Li64ELi13ELi7ELb0EEvPKT_PKfPKiPfiiiiiiiiiiiiiiii: ; @_ZL9mul_mat_fI7__half2Li64ELi13ELi7ELb0EEvPKT_PKfPKiPfiiiiiiiiiiiiiiii
; %bb.0:
	s_load_dword s5, s[0:1], 0x20
	s_load_dwordx4 s[16:19], s[0:1], 0x2c
	v_bfe_u32 v34, v0, 10, 10
	v_lshlrev_b32_e32 v36, 6, v34
	v_and_b32_e32 v35, 0x3ff, v0
	v_add_u32_e32 v38, v36, v35
	s_waitcnt lgkmcnt(0)
	s_ashr_i32 s19, s4, 31
	v_cmp_le_i32_e32 vcc, s5, v38
	v_and_b32_e32 v37, 15, v35
	s_and_saveexec_b64 s[6:7], vcc
	s_xor_b64 s[6:7], exec, s[6:7]
; %bb.1:
	v_and_b32_e32 v37, 15, v35
                                        ; implicit-def: $vgpr38
; %bb.2:
	s_or_saveexec_b64 s[24:25], s[6:7]
	s_load_dwordx8 s[8:15], s[0:1], 0x40
	s_load_dwordx2 s[6:7], s[0:1], 0x18
	v_mov_b32_e32 v15, 0
	s_lshl_b32 s2, s2, 6
	v_mov_b32_e32 v14, v15
	v_mov_b32_e32 v13, v15
	;; [unrolled: 1-line block ×15, first 2 shown]
	s_xor_b64 exec, exec, s[24:25]
	s_cbranch_execz .LBB119_6
; %bb.3:
	s_waitcnt lgkmcnt(0)
	s_abs_i32 s26, s8
	v_cvt_f32_u32_e32 v0, s26
	s_abs_i32 s27, s12
	v_cvt_f32_u32_e32 v1, s27
	s_sub_i32 s20, 0, s26
	v_rcp_iflag_f32_e32 v0, v0
	s_abs_i32 s28, s3
	v_rcp_iflag_f32_e32 v1, v1
	s_sub_i32 s21, 0, s27
	v_mul_f32_e32 v0, 0x4f7ffffe, v0
	v_cvt_u32_f32_e32 v0, v0
	v_mul_f32_e32 v1, 0x4f7ffffe, v1
	v_cvt_u32_f32_e32 v1, v1
	s_abs_i32 s29, s4
	v_mul_lo_u32 v2, s20, v0
	v_mul_hi_u32 v2, v0, v2
	v_add_u32_e32 v0, v0, v2
	v_mul_hi_u32 v0, s28, v0
	v_mul_lo_u32 v3, s21, v1
	v_mul_lo_u32 v2, v0, s26
	v_mul_hi_u32 v3, v1, v3
	v_sub_u32_e32 v2, s28, v2
	v_add_u32_e32 v1, v1, v3
	v_add_u32_e32 v3, 1, v0
	v_subrev_u32_e32 v4, s26, v2
	v_cmp_le_u32_e32 vcc, s26, v2
	s_load_dwordx4 s[20:23], s[0:1], 0x0
	s_ashr_i32 s0, s3, 31
	v_cndmask_b32_e32 v0, v0, v3, vcc
	v_cndmask_b32_e32 v2, v2, v4, vcc
	s_ashr_i32 s1, s8, 31
	v_add_u32_e32 v3, 1, v0
	v_cmp_le_u32_e32 vcc, s26, v2
	s_xor_b32 s0, s0, s1
	v_mul_hi_u32 v1, s29, v1
	v_cndmask_b32_e32 v0, v0, v3, vcc
	v_xor_b32_e32 v0, s0, v0
	v_subrev_u32_e32 v2, s0, v0
	v_mul_lo_u32 v0, v1, s27
	v_sub_u32_e32 v0, s29, v0
	v_add_u32_e32 v3, 1, v1
	v_subrev_u32_e32 v4, s27, v0
	v_cmp_le_u32_e32 vcc, s27, v0
	s_ashr_i32 s8, s12, 31
	s_xor_b32 s0, s19, s8
	v_cndmask_b32_e32 v1, v1, v3, vcc
	v_cndmask_b32_e32 v0, v0, v4, vcc
	v_add_u32_e32 v3, 1, v1
	v_cmp_le_u32_e32 vcc, s27, v0
	v_mul_lo_u32 v2, v2, s9
	s_mul_hi_i32 s9, s14, s4
	v_cndmask_b32_e32 v0, v1, v3, vcc
	v_xor_b32_e32 v0, s0, v0
	s_mul_i32 s8, s14, s4
	v_subrev_u32_e32 v0, s0, v0
	s_lshl_b64 s[26:27], s[8:9], 2
	v_mul_hi_i32 v1, v0, s13
	v_mul_lo_u32 v0, v0, s13
	s_mul_i32 s0, s16, s2
	s_mul_i32 s28, s10, s3
	s_waitcnt lgkmcnt(0)
	s_add_u32 s8, s22, s26
	v_ashrrev_i32_e32 v3, 31, v2
	v_lshlrev_b64 v[0:1], 2, v[0:1]
	s_addc_u32 s9, s23, s27
	s_ashr_i32 s1, s0, 31
	s_ashr_i32 s29, s28, 31
	v_lshl_add_u64 v[4:5], s[20:21], 0, v[0:1]
	v_lshlrev_b64 v[2:3], 2, v[2:3]
	s_lshl_b64 s[12:13], s[0:1], 2
	s_lshl_b64 s[28:29], s[28:29], 2
	v_lshl_add_u64 v[4:5], v[4:5], 0, v[2:3]
	s_add_u32 s0, s8, s28
	s_movk_i32 s8, 0x1080
	v_lshrrev_b32_e32 v7, 1, v35
	v_lshl_add_u64 v[2:3], v[2:3], 0, s[12:13]
	v_lshl_add_u64 v[16:17], v[4:5], 0, s[12:13]
	v_mov_b32_e32 v19, 0
	v_mad_u32_u24 v5, v34, s8, 0
	v_lshlrev_b32_e32 v4, 2, v35
	v_mul_u32_u24_e32 v6, 0x108, v37
	v_and_b32_e32 v7, 0x1f8, v7
	v_lshlrev_b32_e32 v18, 8, v34
	v_lshl_add_u64 v[0:1], v[2:3], 0, v[0:1]
	s_addc_u32 s1, s9, s29
	v_add_u32_e32 v39, v5, v4
	v_add3_u32 v40, v5, v6, v7
	s_ashr_i32 s9, s16, 31
	s_mov_b32 s8, s16
	s_ashr_i32 s75, s17, 31
	s_mov_b32 s74, s17
	v_lshl_add_u64 v[0:1], v[0:1], 0, v[18:19]
	v_mov_b32_e32 v5, v19
	s_add_i32 s10, s16, s16
	s_add_i32 s14, s17, s17
	s_lshl_b32 s30, s17, 2
	s_lshl_b32 s35, s17, 3
	;; [unrolled: 1-line block ×6, first 2 shown]
	s_lshl_b64 s[8:9], s[8:9], 2
	s_lshl_b64 s[12:13], s[74:75], 3
	v_lshl_add_u64 v[0:1], v[0:1], 0, v[4:5]
	v_lshlrev_b32_e32 v18, 9, v34
	s_add_u32 s22, s22, s28
	v_lshl_add_u64 v[20:21], s[20:21], 0, v[0:1]
	v_lshl_add_u64 v[0:1], s[26:27], 0, v[18:19]
	v_lshlrev_b32_e32 v18, 3, v35
	s_addc_u32 s23, s23, s29
	v_lshl_add_u64 v[0:1], v[0:1], 0, v[18:19]
	s_mul_i32 s19, s17, 3
	s_mul_i32 s31, s17, 5
	;; [unrolled: 1-line block ×45, first 2 shown]
	v_lshl_add_u64 v[22:23], s[22:23], 0, v[0:1]
	s_mul_i32 s77, s16, 44
	s_mul_i32 s78, s16, 45
	v_mov_b32_e32 v4, 0
	v_mov_b32_e32 v6, v19
	;; [unrolled: 1-line block ×15, first 2 shown]
	s_mul_i32 s79, s16, 46
	s_mul_i32 s80, s16, 47
	;; [unrolled: 1-line block ×18, first 2 shown]
	s_mov_b64 s[16:17], 0
	s_mov_b64 s[20:21], 0x700
	;; [unrolled: 1-line block ×3, first 2 shown]
.LBB119_4:                              ; =>This Inner Loop Header: Depth=1
	v_add_u32_e32 v30, s10, v38
	v_add_u32_e32 v26, s58, v38
	v_lshl_add_u64 v[24:25], v[20:21], 0, s[8:9]
	v_add_u32_e32 v32, s40, v38
	v_ashrrev_i32_e32 v31, 31, v30
	v_ashrrev_i32_e32 v27, 31, v26
	v_add_u32_e32 v28, s59, v38
	global_load_dword v45, v[24:25], off
	v_lshl_add_u64 v[30:31], v[30:31], 2, v[16:17]
	v_add_u32_e32 v24, s60, v38
	v_ashrrev_i32_e32 v33, 31, v32
	v_lshl_add_u64 v[26:27], v[26:27], 2, v[16:17]
	v_add_u32_e32 v42, s41, v38
	global_load_dword v46, v[30:31], off
	v_ashrrev_i32_e32 v29, 31, v28
	global_load_dword v26, v[26:27], off
	v_lshl_add_u64 v[30:31], v[32:33], 2, v[16:17]
	v_add_u32_e32 v32, s61, v38
	v_ashrrev_i32_e32 v25, 31, v24
	v_add_u32_e32 v48, s42, v38
	v_ashrrev_i32_e32 v43, 31, v42
	v_lshl_add_u64 v[28:29], v[28:29], 2, v[16:17]
	v_lshl_add_u64 v[24:25], v[24:25], 2, v[16:17]
	v_ashrrev_i32_e32 v33, 31, v32
	global_load_dword v47, v[30:31], off
	v_ashrrev_i32_e32 v49, 31, v48
	global_load_dword v24, v[24:25], off
	v_add_u32_e32 v54, s43, v38
	global_load_dword v27, v[28:29], off
	v_lshl_add_u64 v[30:31], v[42:43], 2, v[16:17]
	v_lshl_add_u64 v[28:29], v[32:33], 2, v[16:17]
	global_load_dword v50, v[30:31], off
	global_load_dword v25, v[28:29], off
	v_lshl_add_u64 v[30:31], v[48:49], 2, v[16:17]
	global_load_dword v52, v[30:31], off
	v_add_u32_e32 v30, s62, v38
	v_add_u32_e32 v56, s44, v38
	v_ashrrev_i32_e32 v55, 31, v54
	v_add_u32_e32 v48, s63, v38
	v_ashrrev_i32_e32 v31, 31, v30
	v_add_u32_e32 v58, s45, v38
	v_lshl_add_u64 v[42:43], v[54:55], 2, v[16:17]
	v_ashrrev_i32_e32 v57, 31, v56
	v_add_u32_e32 v84, s64, v38
	v_lshl_add_u64 v[28:29], v[30:31], 2, v[16:17]
	v_ashrrev_i32_e32 v49, 31, v48
	v_add_u32_e32 v60, s46, v38
	global_load_dword v53, v[42:43], off
	v_ashrrev_i32_e32 v59, 31, v58
	v_add_u32_e32 v86, s65, v38
	global_load_dword v28, v[28:29], off
	v_lshl_add_u64 v[42:43], v[56:57], 2, v[16:17]
	v_lshl_add_u64 v[30:31], v[48:49], 2, v[16:17]
	v_ashrrev_i32_e32 v85, 31, v84
	v_add_u32_e32 v62, s47, v38
	global_load_dword v54, v[42:43], off
	global_load_dword v29, v[30:31], off
	v_lshl_add_u64 v[42:43], v[58:59], 2, v[16:17]
	v_ashrrev_i32_e32 v61, 31, v60
	v_add_u32_e32 v88, s66, v38
	v_lshl_add_u64 v[30:31], v[84:85], 2, v[16:17]
	v_ashrrev_i32_e32 v87, 31, v86
	v_add_u32_e32 v64, s48, v38
	global_load_dword v57, v[42:43], off
	v_ashrrev_i32_e32 v63, 31, v62
	global_load_dword v30, v[30:31], off
	v_lshl_add_u64 v[42:43], v[60:61], 2, v[16:17]
	v_lshl_add_u64 v[32:33], v[86:87], 2, v[16:17]
	v_ashrrev_i32_e32 v89, 31, v88
	v_add_u32_e32 v66, s49, v38
	global_load_dword v58, v[42:43], off
	global_load_dword v31, v[32:33], off
	v_lshl_add_u64 v[42:43], v[62:63], 2, v[16:17]
	v_ashrrev_i32_e32 v65, 31, v64
	v_lshl_add_u64 v[32:33], v[88:89], 2, v[16:17]
	v_add_u32_e32 v68, s50, v38
	global_load_dword v61, v[42:43], off
	v_ashrrev_i32_e32 v67, 31, v66
	global_load_dword v32, v[32:33], off
	v_lshl_add_u64 v[42:43], v[64:65], 2, v[16:17]
	v_add_u32_e32 v70, s51, v38
	global_load_dword v62, v[42:43], off
	v_lshl_add_u64 v[42:43], v[66:67], 2, v[16:17]
	v_ashrrev_i32_e32 v69, 31, v68
	v_add_u32_e32 v72, s52, v38
	global_load_dword v65, v[42:43], off
	v_lshl_add_u64 v[42:43], v[68:69], 2, v[16:17]
	v_ashrrev_i32_e32 v71, 31, v70
	global_load_dword v66, v[42:43], off
	v_lshl_add_u64 v[42:43], v[70:71], 2, v[16:17]
	v_ashrrev_i32_e32 v73, 31, v72
	global_load_dword v68, v[42:43], off
	v_lshl_add_u64 v[42:43], v[72:73], 2, v[16:17]
	v_add_u32_e32 v72, s67, v38
	v_add_u32_e32 v74, s53, v38
	v_ashrrev_i32_e32 v73, 31, v72
	v_ashrrev_i32_e32 v75, 31, v74
	v_lshl_add_u64 v[48:49], v[72:73], 2, v[16:17]
	global_load_dword v70, v[42:43], off
	global_load_dword v33, v[48:49], off
	v_lshl_add_u64 v[42:43], v[74:75], 2, v[16:17]
	v_add_u32_e32 v74, s68, v38
	v_add_u32_e32 v76, s54, v38
	;; [unrolled: 1-line block ×3, first 2 shown]
	v_ashrrev_i32_e32 v75, 31, v74
	v_add_u32_e32 v78, s55, v38
	v_ashrrev_i32_e32 v77, 31, v76
	v_lshl_add_u64 v[48:49], v[74:75], 2, v[16:17]
	v_ashrrev_i32_e32 v73, 31, v72
	global_load_dword v18, v[42:43], off
	v_ashrrev_i32_e32 v79, 31, v78
	global_load_dword v48, v[48:49], off
	v_lshl_add_u64 v[42:43], v[76:77], 2, v[16:17]
	v_lshl_add_u64 v[72:73], v[72:73], 2, v[16:17]
	global_load_dword v41, v[42:43], off
	global_load_dword v60, v[72:73], off
	v_lshl_add_u64 v[42:43], v[78:79], 2, v[16:17]
	v_add_u32_e32 v78, s69, v38
	v_ashrrev_i32_e32 v79, 31, v78
	v_add_u32_e32 v80, s56, v38
	v_lshl_add_u64 v[74:75], v[78:79], 2, v[16:17]
	v_add_u32_e32 v78, s73, v38
	v_add_u32_e32 v82, s57, v38
	v_ashrrev_i32_e32 v81, 31, v80
	v_ashrrev_i32_e32 v79, 31, v78
	v_lshl_add_u64 v[76:77], v[80:81], 2, v[16:17]
	v_ashrrev_i32_e32 v83, 31, v82
	v_lshl_add_u64 v[72:73], v[78:79], 2, v[16:17]
	global_load_dword v42, v[42:43], off
	v_add_u32_e32 v80, s71, v38
	global_load_dword v49, v[74:75], off
	global_load_dword v63, v[72:73], off
	global_load_dword v43, v[76:77], off
	v_lshl_add_u64 v[76:77], v[82:83], 2, v[16:17]
	global_load_dword v44, v[76:77], off
	v_add_u32_e32 v76, s70, v38
	v_ashrrev_i32_e32 v77, 31, v76
	v_lshl_add_u64 v[74:75], v[76:77], 2, v[16:17]
	v_add_u32_e32 v76, s74, v38
	v_ashrrev_i32_e32 v77, 31, v76
	v_ashrrev_i32_e32 v81, 31, v80
	v_lshl_add_u64 v[72:73], v[76:77], 2, v[16:17]
	global_load_dword v51, v[74:75], off
	global_load_dword v64, v[72:73], off
	v_lshl_add_u64 v[74:75], v[80:81], 2, v[16:17]
	v_add_u32_e32 v80, s75, v38
	v_add_u32_e32 v82, s72, v38
	v_ashrrev_i32_e32 v81, 31, v80
	v_add_u32_e32 v84, s28, v38
	v_ashrrev_i32_e32 v83, 31, v82
	v_lshl_add_u64 v[72:73], v[80:81], 2, v[16:17]
	global_load_dword v55, v[74:75], off
	global_load_dword v67, v[72:73], off
	v_lshl_add_u64 v[74:75], v[82:83], 2, v[16:17]
	v_ashrrev_i32_e32 v85, 31, v84
	global_load_dword v56, v[74:75], off
	v_lshl_add_u64 v[74:75], v[84:85], 2, v[16:17]
	global_load_dword v59, v[74:75], off
	v_add_u32_e32 v74, s76, v38
	v_add_u32_e32 v76, s26, v38
	v_ashrrev_i32_e32 v75, 31, v74
	v_lshl_add_u64 v[72:73], v[74:75], 2, v[16:17]
	v_ashrrev_i32_e32 v77, 31, v76
	v_add_u32_e32 v74, s27, v38
	global_load_dword v69, v[72:73], off
	v_lshl_add_u64 v[72:73], v[76:77], 2, v[16:17]
	v_ashrrev_i32_e32 v75, 31, v74
	global_load_dword v71, v[72:73], off
	v_lshl_add_u64 v[72:73], v[74:75], 2, v[16:17]
	v_add_u32_e32 v74, s77, v38
	v_ashrrev_i32_e32 v75, 31, v74
	v_lshl_add_u64 v[74:75], v[74:75], 2, v[16:17]
	global_load_dword v72, v[72:73], off
	v_add_u32_e32 v76, s79, v38
	global_load_dword v73, v[74:75], off
	v_add_u32_e32 v74, s78, v38
	v_ashrrev_i32_e32 v75, 31, v74
	v_ashrrev_i32_e32 v77, 31, v76
	v_lshl_add_u64 v[74:75], v[74:75], 2, v[16:17]
	v_lshl_add_u64 v[76:77], v[76:77], 2, v[16:17]
	global_load_dword v74, v[74:75], off
	v_add_u32_e32 v78, s81, v38
	global_load_dword v75, v[76:77], off
	v_add_u32_e32 v76, s80, v38
	v_ashrrev_i32_e32 v77, 31, v76
	v_ashrrev_i32_e32 v79, 31, v78
	v_lshl_add_u64 v[76:77], v[76:77], 2, v[16:17]
	;; [unrolled: 8-line block ×9, first 2 shown]
	v_lshl_add_u64 v[92:93], v[92:93], 2, v[16:17]
	global_load_dword v90, v[90:91], off
	v_add_u32_e32 v94, s31, v38
	global_load_dword v91, v[92:93], off
	v_add_u32_e32 v92, s96, v38
	v_ashrrev_i32_e32 v93, 31, v92
	v_lshl_add_u64 v[92:93], v[92:93], 2, v[16:17]
	global_load_dword v106, v[92:93], off
	s_nop 0
	global_load_dword v92, v[20:21], off
	s_waitcnt vmcnt(62)
	ds_write_b32 v39, v45 offset:264
	v_ashrrev_i32_e32 v95, 31, v94
	v_lshl_add_u64 v[94:95], v[94:95], 3, s[0:1]
	v_lshl_add_u64 v[20:21], v[20:21], 0, s[20:21]
	s_waitcnt vmcnt(0)
	ds_write_b32 v39, v92
	global_load_dwordx2 v[92:93], v[22:23], off
	s_waitcnt vmcnt(0)
	v_cvt_pk_f16_f32 v107, v92, v93
	v_lshl_add_u64 v[92:93], v[22:23], 0, s[12:13]
	global_load_dwordx2 v[92:93], v[92:93], off
	ds_write_b32 v39, v46 offset:528
	ds_write_b32 v39, v47 offset:792
	;; [unrolled: 1-line block ×14, first 2 shown]
	v_add_u32_e32 v46, s14, v38
	v_add_u32_e32 v52, s19, v38
	v_ashrrev_i32_e32 v47, 31, v46
	v_ashrrev_i32_e32 v53, 31, v52
	v_lshl_add_u64 v[46:47], v[46:47], 3, s[0:1]
	v_lshl_add_u64 v[52:53], v[52:53], 3, s[0:1]
	;; [unrolled: 1-line block ×3, first 2 shown]
	s_waitcnt vmcnt(0)
	v_cvt_pk_f16_f32 v108, v92, v93
	v_add_u32_e32 v92, s30, v38
	v_ashrrev_i32_e32 v93, 31, v92
	v_lshl_add_u64 v[92:93], v[92:93], 3, s[0:1]
	global_load_dwordx2 v[46:47], v[46:47], off
	s_nop 0
	global_load_dwordx2 v[52:53], v[52:53], off
	s_nop 0
	;; [unrolled: 2-line block ×3, first 2 shown]
	global_load_dwordx2 v[94:95], v[94:95], off
	s_waitcnt vmcnt(3)
	v_cvt_pk_f16_f32 v109, v46, v47
	s_waitcnt vmcnt(2)
	v_cvt_pk_f16_f32 v110, v52, v53
	s_waitcnt vmcnt(1)
	v_cvt_pk_f16_f32 v111, v92, v93
	s_waitcnt vmcnt(0)
	v_cvt_pk_f16_f32 v112, v94, v95
	v_add_u32_e32 v46, s33, v38
	v_add_u32_e32 v52, s34, v38
	;; [unrolled: 1-line block ×4, first 2 shown]
	v_ashrrev_i32_e32 v47, 31, v46
	v_ashrrev_i32_e32 v53, 31, v52
	;; [unrolled: 1-line block ×4, first 2 shown]
	v_lshl_add_u64 v[46:47], v[46:47], 3, s[0:1]
	v_lshl_add_u64 v[52:53], v[52:53], 3, s[0:1]
	;; [unrolled: 1-line block ×4, first 2 shown]
	global_load_dwordx2 v[46:47], v[46:47], off
	s_nop 0
	global_load_dwordx2 v[52:53], v[52:53], off
	s_nop 0
	;; [unrolled: 2-line block ×3, first 2 shown]
	global_load_dwordx2 v[94:95], v[94:95], off
	s_waitcnt vmcnt(3)
	v_cvt_pk_f16_f32 v113, v46, v47
	s_waitcnt vmcnt(2)
	v_cvt_pk_f16_f32 v114, v52, v53
	;; [unrolled: 2-line block ×3, first 2 shown]
	v_add_u32_e32 v46, s37, v38
	v_add_u32_e32 v52, s38, v38
	v_add_u32_e32 v92, s39, v38
	v_ashrrev_i32_e32 v47, 31, v46
	v_ashrrev_i32_e32 v53, 31, v52
	;; [unrolled: 1-line block ×3, first 2 shown]
	v_lshl_add_u64 v[46:47], v[46:47], 3, s[0:1]
	v_lshl_add_u64 v[52:53], v[52:53], 3, s[0:1]
	;; [unrolled: 1-line block ×3, first 2 shown]
	global_load_dwordx2 v[46:47], v[46:47], off
	s_nop 0
	global_load_dwordx2 v[52:53], v[52:53], off
	s_nop 0
	global_load_dwordx2 v[92:93], v[92:93], off
	s_waitcnt vmcnt(3)
	v_cvt_pk_f16_f32 v116, v94, v95
	v_add_u32_e32 v38, 0x1c0, v38
	v_cmp_le_i32_e32 vcc, s5, v38
	s_or_b64 s[16:17], vcc, s[16:17]
	s_waitcnt vmcnt(2)
	v_cvt_pk_f16_f32 v117, v46, v47
	s_waitcnt vmcnt(1)
	v_cvt_pk_f16_f32 v118, v52, v53
	;; [unrolled: 2-line block ×3, first 2 shown]
	ds_read_b64 v[46:47], v40
	ds_read_b64 v[52:53], v40 offset:32
	ds_read_b64 v[92:93], v40 offset:64
	ds_read_b64 v[94:95], v40 offset:96
	ds_read_b64 v[96:97], v40 offset:128
	ds_read_b64 v[98:99], v40 offset:160
	ds_read_b64 v[100:101], v40 offset:192
	ds_read_b64 v[102:103], v40 offset:224
	ds_write_b32 v39, v18
	ds_write_b32 v39, v41 offset:264
	ds_write_b32 v39, v42 offset:528
	ds_write_b32 v39, v43 offset:792
	ds_write_b32 v39, v44 offset:1056
	ds_write_b32 v39, v26 offset:1320
	ds_write_b32 v39, v27 offset:1584
	ds_write_b32 v39, v24 offset:1848
	ds_write_b32 v39, v25 offset:2112
	ds_write_b32 v39, v28 offset:2376
	ds_write_b32 v39, v29 offset:2640
	ds_write_b32 v39, v30 offset:2904
	ds_write_b32 v39, v31 offset:3168
	ds_write_b32 v39, v32 offset:3432
	ds_write_b32 v39, v33 offset:3696
	ds_write_b32 v39, v48 offset:3960
	ds_read_b64 v[24:25], v40
	ds_read_b64 v[26:27], v40 offset:32
	ds_read_b64 v[28:29], v40 offset:64
	ds_read_b64 v[30:31], v40 offset:96
	ds_read_b64 v[32:33], v40 offset:128
	ds_read_b64 v[42:43], v40 offset:160
	ds_read_b64 v[44:45], v40 offset:192
	ds_read_b64 v[104:105], v40 offset:224
	ds_write_b32 v39, v49
	ds_write_b32 v39, v51 offset:264
	ds_write_b32 v39, v55 offset:528
	ds_write_b32 v39, v56 offset:792
	ds_write_b32 v39, v59 offset:1056
	ds_write_b32 v39, v60 offset:1320
	ds_write_b32 v39, v63 offset:1584
	ds_write_b32 v39, v64 offset:1848
	ds_write_b32 v39, v67 offset:2112
	ds_write_b32 v39, v69 offset:2376
	ds_write_b32 v39, v71 offset:2640
	ds_write_b32 v39, v72 offset:2904
	ds_write_b32 v39, v73 offset:3168
	ds_write_b32 v39, v74 offset:3432
	ds_write_b32 v39, v75 offset:3696
	ds_write_b32 v39, v76 offset:3960
	;; [unrolled: 24-line block ×4, first 2 shown]
	ds_read_b64 v[82:83], v40
	ds_read_b64 v[84:85], v40 offset:32
	ds_read_b64 v[86:87], v40 offset:64
	ds_read_b64 v[88:89], v40 offset:96
	s_waitcnt lgkmcnt(3)
	v_mfma_f32_16x16x16_f16 v[12:15], v[46:47], v[82:83], v[12:15]
	v_mfma_f32_16x16x16_f16 v[8:11], v[24:25], v[82:83], v[8:11]
	ds_read_b64 v[24:25], v40 offset:128
	v_mfma_f32_16x16x16_f16 v[0:3], v[48:49], v[82:83], v[0:3]
	v_mfma_f32_16x16x16_f16 v[4:7], v[66:67], v[82:83], v[4:7]
	s_waitcnt lgkmcnt(3)
	v_mfma_f32_16x16x16_f16 v[12:15], v[52:53], v[84:85], v[12:15]
	v_mfma_f32_16x16x16_f16 v[8:11], v[26:27], v[84:85], v[8:11]
	v_mfma_f32_16x16x16_f16 v[0:3], v[50:51], v[84:85], v[0:3]
	v_mfma_f32_16x16x16_f16 v[4:7], v[68:69], v[84:85], v[4:7]
	s_waitcnt lgkmcnt(2)
	v_mfma_f32_16x16x16_f16 v[12:15], v[92:93], v[86:87], v[12:15]
	v_mfma_f32_16x16x16_f16 v[8:11], v[28:29], v[86:87], v[8:11]
	;; [unrolled: 5-line block ×3, first 2 shown]
	ds_read_b64 v[26:27], v40 offset:160
	ds_read_b64 v[28:29], v40 offset:192
	;; [unrolled: 1-line block ×3, first 2 shown]
	v_mfma_f32_16x16x16_f16 v[0:3], v[56:57], v[88:89], v[0:3]
	v_mfma_f32_16x16x16_f16 v[4:7], v[72:73], v[88:89], v[4:7]
	s_waitcnt lgkmcnt(3)
	v_mfma_f32_16x16x16_f16 v[12:15], v[96:97], v[24:25], v[12:15]
	v_mfma_f32_16x16x16_f16 v[8:11], v[32:33], v[24:25], v[8:11]
	v_mfma_f32_16x16x16_f16 v[0:3], v[58:59], v[24:25], v[0:3]
	v_mfma_f32_16x16x16_f16 v[4:7], v[74:75], v[24:25], v[4:7]
	s_waitcnt lgkmcnt(2)
	v_mfma_f32_16x16x16_f16 v[12:15], v[98:99], v[26:27], v[12:15]
	v_mfma_f32_16x16x16_f16 v[8:11], v[42:43], v[26:27], v[8:11]
	;; [unrolled: 5-line block ×4, first 2 shown]
	v_mfma_f32_16x16x16_f16 v[0:3], v[64:65], v[30:31], v[0:3]
	v_mfma_f32_16x16x16_f16 v[4:7], v[80:81], v[30:31], v[4:7]
	s_andn2_b64 exec, exec, s[16:17]
	s_cbranch_execnz .LBB119_4
; %bb.5:
	s_or_b64 exec, exec, s[16:17]
.LBB119_6:
	s_or_b64 exec, exec, s[24:25]
	s_waitcnt lgkmcnt(0)
	s_mul_hi_i32 s1, s15, s4
	s_mul_i32 s0, s15, s4
	s_lshl_b64 s[0:1], s[0:1], 2
	s_mul_i32 s4, s11, s3
	s_add_u32 s3, s6, s0
	s_addc_u32 s6, s7, s1
	s_ashr_i32 s5, s4, 31
	v_lshl_add_u32 v16, v36, 2, 0
	v_mul_u32_u24_e32 v17, 0x708, v37
	v_and_b32_e32 v18, 0x3f0, v35
	s_lshl_b64 s[0:1], s[4:5], 2
	v_add3_u32 v16, v16, v17, v18
	s_add_u32 s0, s3, s0
	s_barrier
	s_movk_i32 s3, 0x708
	ds_write2_b32 v16, v12, v13 offset1:1
	ds_write2_b32 v16, v14, v15 offset0:2 offset1:3
	ds_write2_b32 v16, v8, v9 offset0:16 offset1:17
	;; [unrolled: 1-line block ×7, first 2 shown]
	v_lshl_add_u32 v2, v35, 2, 0
	v_mad_u32_u24 v3, v34, s3, v2
	s_waitcnt lgkmcnt(0)
	s_barrier
	ds_read2st64_b32 v[0:1], v3 offset1:1
	ds_read2st64_b32 v[4:5], v3 offset0:2 offset1:3
	ds_read2st64_b32 v[6:7], v3 offset0:4 offset1:5
	ds_read_b32 v3, v3 offset:1536
	s_addc_u32 s1, s6, s1
	v_cmp_gt_u32_e32 vcc, 6, v34
	s_waitcnt lgkmcnt(3)
	v_add_f32_e32 v0, 0, v0
	v_add_f32_e32 v0, v0, v1
	s_waitcnt lgkmcnt(2)
	v_add_f32_e32 v0, v0, v4
	v_add_f32_e32 v0, v0, v5
	s_waitcnt lgkmcnt(1)
	v_add_f32_e32 v0, v0, v6
	v_add_f32_e32 v0, v0, v7
	s_waitcnt lgkmcnt(0)
	v_add_f32_e32 v3, v0, v3
	v_mul_lo_u32 v0, v34, s18
	v_add3_u32 v0, s2, v35, v0
	v_mov_b32_e32 v1, 0
	v_lshl_add_u64 v[4:5], v[0:1], 2, s[0:1]
	global_store_dword v[4:5], v3, off
	s_and_saveexec_b64 s[2:3], vcc
	s_cbranch_execz .LBB119_8
; %bb.7:
	v_mul_u32_u24_e32 v3, 0x708, v34
	v_add_u32_e32 v6, v3, v2
	v_add_u32_e32 v7, 56, v6
	ds_read2st64_b32 v[2:3], v7 offset0:49 offset1:50
	ds_read2st64_b32 v[4:5], v7 offset0:51 offset1:52
	ds_read_b32 v8, v6 offset:14136
	ds_read2st64_b32 v[6:7], v7 offset0:53 offset1:54
	s_waitcnt lgkmcnt(3)
	v_add_f32_e32 v2, 0, v2
	v_add_f32_e32 v2, v2, v3
	s_waitcnt lgkmcnt(2)
	v_add_f32_e32 v2, v2, v4
	v_add_f32_e32 v2, v2, v5
	;; [unrolled: 3-line block ×3, first 2 shown]
	v_add_f32_e32 v4, v2, v8
	v_mad_u64_u32 v[2:3], s[2:3], s18, 7, v[0:1]
	v_mov_b32_e32 v3, v1
	v_lshl_add_u64 v[0:1], v[2:3], 2, s[0:1]
	global_store_dword v[0:1], v4, off
.LBB119_8:
	s_endpgm
	.section	.rodata,"a",@progbits
	.p2align	6, 0x0
	.amdhsa_kernel _ZL9mul_mat_fI7__half2Li64ELi13ELi7ELb0EEvPKT_PKfPKiPfiiiiiiiiiiiiiiii
		.amdhsa_group_segment_fixed_size 0
		.amdhsa_private_segment_fixed_size 0
		.amdhsa_kernarg_size 96
		.amdhsa_user_sgpr_count 2
		.amdhsa_user_sgpr_dispatch_ptr 0
		.amdhsa_user_sgpr_queue_ptr 0
		.amdhsa_user_sgpr_kernarg_segment_ptr 1
		.amdhsa_user_sgpr_dispatch_id 0
		.amdhsa_user_sgpr_kernarg_preload_length 0
		.amdhsa_user_sgpr_kernarg_preload_offset 0
		.amdhsa_user_sgpr_private_segment_size 0
		.amdhsa_uses_dynamic_stack 0
		.amdhsa_enable_private_segment 0
		.amdhsa_system_sgpr_workgroup_id_x 1
		.amdhsa_system_sgpr_workgroup_id_y 1
		.amdhsa_system_sgpr_workgroup_id_z 1
		.amdhsa_system_sgpr_workgroup_info 0
		.amdhsa_system_vgpr_workitem_id 1
		.amdhsa_next_free_vgpr 120
		.amdhsa_next_free_sgpr 97
		.amdhsa_accum_offset 120
		.amdhsa_reserve_vcc 1
		.amdhsa_float_round_mode_32 0
		.amdhsa_float_round_mode_16_64 0
		.amdhsa_float_denorm_mode_32 3
		.amdhsa_float_denorm_mode_16_64 3
		.amdhsa_dx10_clamp 1
		.amdhsa_ieee_mode 1
		.amdhsa_fp16_overflow 0
		.amdhsa_tg_split 0
		.amdhsa_exception_fp_ieee_invalid_op 0
		.amdhsa_exception_fp_denorm_src 0
		.amdhsa_exception_fp_ieee_div_zero 0
		.amdhsa_exception_fp_ieee_overflow 0
		.amdhsa_exception_fp_ieee_underflow 0
		.amdhsa_exception_fp_ieee_inexact 0
		.amdhsa_exception_int_div_zero 0
	.end_amdhsa_kernel
	.section	.text._ZL9mul_mat_fI7__half2Li64ELi13ELi7ELb0EEvPKT_PKfPKiPfiiiiiiiiiiiiiiii,"axG",@progbits,_ZL9mul_mat_fI7__half2Li64ELi13ELi7ELb0EEvPKT_PKfPKiPfiiiiiiiiiiiiiiii,comdat
.Lfunc_end119:
	.size	_ZL9mul_mat_fI7__half2Li64ELi13ELi7ELb0EEvPKT_PKfPKiPfiiiiiiiiiiiiiiii, .Lfunc_end119-_ZL9mul_mat_fI7__half2Li64ELi13ELi7ELb0EEvPKT_PKfPKiPfiiiiiiiiiiiiiiii
                                        ; -- End function
	.set _ZL9mul_mat_fI7__half2Li64ELi13ELi7ELb0EEvPKT_PKfPKiPfiiiiiiiiiiiiiiii.num_vgpr, 120
	.set _ZL9mul_mat_fI7__half2Li64ELi13ELi7ELb0EEvPKT_PKfPKiPfiiiiiiiiiiiiiiii.num_agpr, 0
	.set _ZL9mul_mat_fI7__half2Li64ELi13ELi7ELb0EEvPKT_PKfPKiPfiiiiiiiiiiiiiiii.numbered_sgpr, 97
	.set _ZL9mul_mat_fI7__half2Li64ELi13ELi7ELb0EEvPKT_PKfPKiPfiiiiiiiiiiiiiiii.num_named_barrier, 0
	.set _ZL9mul_mat_fI7__half2Li64ELi13ELi7ELb0EEvPKT_PKfPKiPfiiiiiiiiiiiiiiii.private_seg_size, 0
	.set _ZL9mul_mat_fI7__half2Li64ELi13ELi7ELb0EEvPKT_PKfPKiPfiiiiiiiiiiiiiiii.uses_vcc, 1
	.set _ZL9mul_mat_fI7__half2Li64ELi13ELi7ELb0EEvPKT_PKfPKiPfiiiiiiiiiiiiiiii.uses_flat_scratch, 0
	.set _ZL9mul_mat_fI7__half2Li64ELi13ELi7ELb0EEvPKT_PKfPKiPfiiiiiiiiiiiiiiii.has_dyn_sized_stack, 0
	.set _ZL9mul_mat_fI7__half2Li64ELi13ELi7ELb0EEvPKT_PKfPKiPfiiiiiiiiiiiiiiii.has_recursion, 0
	.set _ZL9mul_mat_fI7__half2Li64ELi13ELi7ELb0EEvPKT_PKfPKiPfiiiiiiiiiiiiiiii.has_indirect_call, 0
	.section	.AMDGPU.csdata,"",@progbits
; Kernel info:
; codeLenInByte = 4792
; TotalNumSgprs: 103
; NumVgprs: 120
; NumAgprs: 0
; TotalNumVgprs: 120
; ScratchSize: 0
; MemoryBound: 0
; FloatMode: 240
; IeeeMode: 1
; LDSByteSize: 0 bytes/workgroup (compile time only)
; SGPRBlocks: 12
; VGPRBlocks: 14
; NumSGPRsForWavesPerEU: 103
; NumVGPRsForWavesPerEU: 120
; AccumOffset: 120
; Occupancy: 4
; WaveLimiterHint : 0
; COMPUTE_PGM_RSRC2:SCRATCH_EN: 0
; COMPUTE_PGM_RSRC2:USER_SGPR: 2
; COMPUTE_PGM_RSRC2:TRAP_HANDLER: 0
; COMPUTE_PGM_RSRC2:TGID_X_EN: 1
; COMPUTE_PGM_RSRC2:TGID_Y_EN: 1
; COMPUTE_PGM_RSRC2:TGID_Z_EN: 1
; COMPUTE_PGM_RSRC2:TIDIG_COMP_CNT: 1
; COMPUTE_PGM_RSRC3_GFX90A:ACCUM_OFFSET: 29
; COMPUTE_PGM_RSRC3_GFX90A:TG_SPLIT: 0
	.section	.text._ZL13mul_mat_f_idsI7__half2Li64ELi13ELi8EEvPKT_PKfPKiS7_S7_Pfiiiiiiiiiiiiii15HIP_vector_typeIjLj3EESA_,"axG",@progbits,_ZL13mul_mat_f_idsI7__half2Li64ELi13ELi8EEvPKT_PKfPKiS7_S7_Pfiiiiiiiiiiiiii15HIP_vector_typeIjLj3EESA_,comdat
	.globl	_ZL13mul_mat_f_idsI7__half2Li64ELi13ELi8EEvPKT_PKfPKiS7_S7_Pfiiiiiiiiiiiiii15HIP_vector_typeIjLj3EESA_ ; -- Begin function _ZL13mul_mat_f_idsI7__half2Li64ELi13ELi8EEvPKT_PKfPKiS7_S7_Pfiiiiiiiiiiiiii15HIP_vector_typeIjLj3EESA_
	.p2align	8
	.type	_ZL13mul_mat_f_idsI7__half2Li64ELi13ELi8EEvPKT_PKfPKiS7_S7_Pfiiiiiiiiiiiiii15HIP_vector_typeIjLj3EESA_,@function
_ZL13mul_mat_f_idsI7__half2Li64ELi13ELi8EEvPKT_PKfPKiS7_S7_Pfiiiiiiiiiiiiii15HIP_vector_typeIjLj3EESA_: ; @_ZL13mul_mat_f_idsI7__half2Li64ELi13ELi8EEvPKT_PKfPKiS7_S7_Pfiiiiiiiiiiiiii15HIP_vector_typeIjLj3EESA_
; %bb.0:
	s_load_dwordx2 s[6:7], s[0:1], 0x20
	s_mov_b32 s34, s3
	s_ashr_i32 s35, s3, 31
	s_lshl_b64 s[8:9], s[34:35], 2
	s_waitcnt lgkmcnt(0)
	s_add_u32 s6, s6, s8
	s_addc_u32 s7, s7, s9
	s_load_dwordx2 s[30:31], s[6:7], 0x0
	s_waitcnt lgkmcnt(0)
	s_sub_i32 s26, s31, s30
	s_add_i32 s3, s26, 12
	s_mul_hi_i32 s3, s3, 0x4ec4ec4f
	s_lshr_b32 s5, s3, 31
	s_ashr_i32 s3, s3, 2
	s_add_i32 s3, s3, s5
	s_cmp_ge_i32 s4, s3
	s_cbranch_scc1 .LBB120_53
; %bb.1:
	v_bfe_u32 v16, v0, 10, 10
	v_lshlrev_b32_e32 v86, 6, v16
	v_and_b32_e32 v17, 0x3ff, v0
	s_load_dwordx4 s[12:15], s[0:1], 0x30
	s_load_dwordx2 s[20:21], s[0:1], 0x40
	s_load_dwordx4 s[8:11], s[0:1], 0x4c
	s_load_dwordx4 s[16:19], s[0:1], 0x68
	s_load_dwordx2 s[24:25], s[0:1], 0x78
	v_add_u32_e32 v88, v86, v17
	s_ashr_i32 s31, s30, 31
	s_waitcnt lgkmcnt(0)
	v_cmp_le_i32_e32 vcc, s12, v88
	v_and_b32_e32 v87, 15, v17
	s_and_saveexec_b64 s[6:7], vcc
	s_xor_b64 s[6:7], exec, s[6:7]
; %bb.2:
	v_and_b32_e32 v87, 15, v17
                                        ; implicit-def: $vgpr88
; %bb.3:
	s_or_saveexec_b64 s[36:37], s[6:7]
	s_load_dwordx2 s[22:23], s[0:1], 0x18
	s_load_dwordx2 s[6:7], s[0:1], 0x28
                                        ; implicit-def: $vgpr118 : SGPR spill to VGPR lane
	v_mov_b32_e32 v15, 0
	s_lshl_b32 s11, s2, 6
	s_mul_i32 s28, s4, 13
	v_mov_b32_e32 v14, v15
	s_waitcnt lgkmcnt(0)
	v_writelane_b32 v118, s6, 0
	v_mov_b32_e32 v13, v15
	v_mov_b32_e32 v12, v15
	;; [unrolled: 1-line block ×14, first 2 shown]
	v_writelane_b32 v118, s7, 1
	s_xor_b64 exec, exec, s[36:37]
	s_cbranch_execz .LBB120_46
; %bb.4:
	s_load_dwordx4 s[4:7], s[0:1], 0x0
	s_load_dwordx2 s[2:3], s[0:1], 0x10
	v_writelane_b32 v118, s36, 2
	s_mul_i32 s0, s8, s34
	s_ashr_i32 s1, s0, 31
	v_writelane_b32 v118, s37, 3
	v_writelane_b32 v118, s22, 4
	s_lshl_b64 s[64:65], s[0:1], 2
	s_waitcnt lgkmcnt(0)
	s_add_u32 s0, s4, s64
	v_writelane_b32 v118, s23, 5
	s_mul_i32 s22, s15, s11
	v_writelane_b32 v118, s24, 6
	s_addc_u32 s1, s5, s65
	s_ashr_i32 s23, s22, 31
	v_writelane_b32 v118, s25, 7
	s_lshl_b64 s[66:67], s[22:23], 2
	v_writelane_b32 v118, s11, 8
	s_add_u32 s0, s0, s66
	s_addc_u32 s1, s1, s67
	v_writelane_b32 v118, s30, 9
	s_lshl_b64 s[22:23], s[30:31], 2
	s_add_u32 s8, s2, s22
	s_addc_u32 s11, s3, s23
	s_movk_i32 s2, 0x1080
	s_cmp_lt_i32 s28, s26
	v_writelane_b32 v118, s31, 10
	v_mad_u32_u24 v1, v16, s2, 0
	s_cselect_b64 s[2:3], -1, 0
	v_writelane_b32 v118, s2, 11
	s_ashr_i32 s29, s28, 31
	s_mov_b32 s22, s15
	v_writelane_b32 v118, s3, 12
	s_lshl_b64 s[2:3], s[28:29], 2
	s_add_u32 s36, s8, s2
	s_addc_u32 s37, s11, s3
	s_add_i32 s2, s28, 1
	s_cmp_lt_i32 s2, s26
	s_cselect_b64 s[2:3], -1, 0
	v_writelane_b32 v118, s2, 13
	v_lshrrev_b32_e32 v3, 1, v17
	v_mov_b32_e32 v19, 0
	v_writelane_b32 v118, s3, 14
	s_add_i32 s2, s28, 2
	s_cmp_lt_i32 s2, s26
	s_cselect_b64 s[2:3], -1, 0
	v_writelane_b32 v118, s2, 15
	v_lshlrev_b32_e32 v0, 2, v17
	v_mul_u32_u24_e32 v2, 0x108, v87
	v_writelane_b32 v118, s3, 16
	s_add_i32 s2, s28, 3
	s_cmp_lt_i32 s2, s26
	s_cselect_b64 s[2:3], -1, 0
	v_writelane_b32 v118, s2, 17
	v_and_b32_e32 v3, 0x1f8, v3
	v_lshlrev_b32_e32 v18, 8, v16
	v_writelane_b32 v118, s3, 18
	s_add_i32 s2, s28, 4
	s_cmp_lt_i32 s2, s26
	s_cselect_b64 s[2:3], -1, 0
	v_writelane_b32 v118, s2, 19
	v_add_u32_e32 v89, v1, v0
	v_add3_u32 v90, v1, v2, v3
	v_writelane_b32 v118, s3, 20
	s_add_i32 s2, s28, 5
	s_cmp_lt_i32 s2, s26
	s_cselect_b64 s[2:3], -1, 0
	v_writelane_b32 v118, s2, 21
	v_mov_b32_e32 v1, v19
	s_mul_i32 s8, s15, 3
	v_writelane_b32 v118, s3, 22
	s_add_i32 s2, s28, 6
	s_cmp_lt_i32 s2, s26
	s_cselect_b64 s[48:49], -1, 0
	s_add_i32 s2, s28, 7
	s_cmp_lt_i32 s2, s26
	s_cselect_b64 s[50:51], -1, 0
	;; [unrolled: 3-line block ×5, first 2 shown]
	s_add_i32 s2, s28, 11
	s_cmp_lt_i32 s2, s26
	s_mov_b32 s2, s28
	v_writelane_b32 v118, s2, 23
	s_cselect_b64 s[58:59], -1, 0
	s_mul_i32 s69, s15, 5
	v_writelane_b32 v118, s3, 24
	s_add_i32 s2, s28, 12
	s_cmp_lt_i32 s2, s26
	s_cselect_b64 s[60:61], -1, 0
	s_ashr_i32 s23, s15, 31
	s_add_i32 s3, s15, s15
	s_lshl_b32 s68, s15, 2
	s_lshl_b32 s72, s15, 3
	;; [unrolled: 1-line block ×4, first 2 shown]
	s_lshl_b64 s[62:63], s[22:23], 2
	s_add_u32 s22, s64, s66
	s_addc_u32 s23, s65, s67
	v_lshl_add_u64 v[2:3], s[22:23], 0, v[18:19]
	v_lshl_add_u64 v[0:1], v[2:3], 0, v[0:1]
	v_writelane_b32 v118, s26, 25
	s_mul_i32 s70, s15, 6
	s_mul_i32 s71, s15, 7
	s_mul_i32 s73, s15, 9
	s_mul_i32 s74, s15, 10
	s_mul_i32 s75, s15, 11
	s_mul_i32 s76, s15, 12
	s_mul_i32 s77, s15, 13
	s_mul_i32 s78, s15, 14
	s_mul_i32 s79, s15, 15
	s_mul_i32 s81, s15, 17
	s_mul_i32 s82, s15, 18
	s_mul_i32 s83, s15, 19
	s_mul_i32 s84, s15, 20
	s_mul_i32 s64, s15, 21
	s_mul_i32 s65, s15, 22
	s_mul_i32 s66, s15, 23
	s_mul_i32 s67, s15, 24
	s_mul_i32 s86, s15, 25
	s_mul_i32 s87, s15, 26
	s_mul_i32 s88, s15, 27
	s_mul_i32 s89, s15, 28
	v_lshl_add_u64 v[20:21], s[4:5], 0, v[0:1]
	v_mov_b32_e32 v8, 0
	v_mov_b32_e32 v9, v19
	;; [unrolled: 1-line block ×16, first 2 shown]
	s_mul_i32 s90, s15, 29
	s_mul_i32 s91, s15, 30
	s_mul_i32 s92, s15, 31
	s_mul_i32 s93, s15, 33
	s_mul_i32 s94, s15, 34
	s_mul_i32 s95, s15, 35
	s_mul_i32 s96, s15, 36
	s_mul_i32 s97, s15, 37
	s_mul_i32 s98, s15, 38
	s_mul_i32 s99, s15, 39
	s_mul_i32 s24, s15, 40
	s_mul_i32 s25, s15, 41
	s_mul_i32 s22, s15, 42
	s_mul_i32 s23, s15, 43
	s_mul_i32 s11, s15, 44
	s_mul_i32 s28, s15, 45
	s_mul_i32 s29, s15, 46
	s_mul_i32 s30, s15, 47
	s_mul_i32 s31, s15, 48
	s_mul_i32 s26, s15, 49
	s_mul_i32 s27, s15, 50
	s_mul_i32 s2, s15, 51
	s_mul_i32 s33, s15, 52
	s_mul_i32 s34, s15, 53
	s_mul_i32 s35, s15, 54
	s_mul_i32 s38, s15, 55
	s_mul_i32 s39, s15, 56
	s_mul_i32 s40, s15, 57
	s_mul_i32 s41, s15, 58
	s_mul_i32 s42, s15, 59
	s_mul_i32 s43, s15, 60
	s_mul_i32 s44, s15, 61
	s_mul_i32 s45, s15, 62
	s_mul_i32 s15, s15, 63
	s_mov_b32 s46, 0x5040100
	s_mov_b64 s[4:5], 0
	s_branch .LBB120_6
.LBB120_5:                              ;   in Loop: Header=BB120_6 Depth=1
	v_perm_b32 v18, v18, v91, s46
	v_perm_b32 v91, v93, v94, s46
	ds_write2_b32 v89, v18, v91 offset1:66
	v_perm_b32 v18, v95, v92, s46
	v_perm_b32 v91, v97, v98, s46
	ds_write2_b32 v89, v18, v91 offset0:132 offset1:198
	v_perm_b32 v18, v99, v96, s46
	v_perm_b32 v91, v101, v102, s46
	v_add_u32_e32 v92, 0x400, v89
	ds_write2_b32 v92, v18, v91 offset0:8 offset1:74
	v_perm_b32 v18, v103, v100, s46
	v_perm_b32 v91, v105, v106, s46
	ds_write2_b32 v92, v18, v91 offset0:140 offset1:206
	v_perm_b32 v18, v107, v104, s46
	v_perm_b32 v91, v109, v110, s46
	v_add_u32_e32 v92, 0x800, v89
	ds_write2_b32 v92, v18, v91 offset0:16 offset1:82
	v_perm_b32 v18, v111, v108, s46
	v_perm_b32 v91, v113, v114, s46
	ds_write2_b32 v92, v18, v91 offset0:148 offset1:214
	v_perm_b32 v18, v115, v112, s46
	v_add_u32_e32 v91, 0xc00, v89
	ds_write2_b32 v91, v18, v19 offset0:24 offset1:90
	ds_write2_b32 v91, v19, v19 offset0:156 offset1:222
	ds_read2_b64 v[92:95], v90 offset1:4
	s_waitcnt lgkmcnt(0)
	v_mfma_f32_16x16x16_f16 v[0:3], v[54:55], v[92:93], v[0:3]
	v_add_u32_e32 v88, 0x200, v88
	s_mov_b64 vcc, 0x800
	v_lshl_add_u64 v[20:21], v[20:21], 0, vcc
	v_mfma_f32_16x16x16_f16 v[8:11], v[38:39], v[92:93], v[8:11]
	v_cmp_le_i32_e32 vcc, s12, v88
	s_or_b64 s[4:5], vcc, s[4:5]
	v_mfma_f32_16x16x16_f16 v[4:7], v[70:71], v[92:93], v[4:7]
	v_mfma_f32_16x16x16_f16 v[12:15], v[84:85], v[92:93], v[12:15]
	v_mfma_f32_16x16x16_f16 v[0:3], v[52:53], v[94:95], v[0:3]
	ds_read2_b64 v[52:55], v90 offset0:8 offset1:12
	v_mfma_f32_16x16x16_f16 v[8:11], v[34:35], v[94:95], v[8:11]
	v_mfma_f32_16x16x16_f16 v[4:7], v[68:69], v[94:95], v[4:7]
	v_mfma_f32_16x16x16_f16 v[12:15], v[82:83], v[94:95], v[12:15]
	s_waitcnt lgkmcnt(0)
	v_mfma_f32_16x16x16_f16 v[8:11], v[32:33], v[52:53], v[8:11]
	v_mfma_f32_16x16x16_f16 v[0:3], v[48:49], v[52:53], v[0:3]
	v_mfma_f32_16x16x16_f16 v[4:7], v[66:67], v[52:53], v[4:7]
	v_mfma_f32_16x16x16_f16 v[12:15], v[78:79], v[52:53], v[12:15]
	v_mfma_f32_16x16x16_f16 v[8:11], v[30:31], v[54:55], v[8:11]
	ds_read2_b64 v[30:33], v90 offset0:16 offset1:20
	v_mfma_f32_16x16x16_f16 v[0:3], v[46:47], v[54:55], v[0:3]
	v_mfma_f32_16x16x16_f16 v[4:7], v[64:65], v[54:55], v[4:7]
	v_mfma_f32_16x16x16_f16 v[12:15], v[74:75], v[54:55], v[12:15]
	s_waitcnt lgkmcnt(0)
	v_mfma_f32_16x16x16_f16 v[8:11], v[28:29], v[30:31], v[8:11]
	v_mfma_f32_16x16x16_f16 v[0:3], v[44:45], v[30:31], v[0:3]
	;; [unrolled: 10-line block ×3, first 2 shown]
	v_mfma_f32_16x16x16_f16 v[4:7], v[56:57], v[26:27], v[4:7]
	v_mfma_f32_16x16x16_f16 v[12:15], v[72:73], v[26:27], v[12:15]
	;; [unrolled: 1-line block ×6, first 2 shown]
	s_andn2_b64 exec, exec, s[4:5]
	s_cbranch_execz .LBB120_45
.LBB120_6:                              ; =>This Inner Loop Header: Depth=1
	v_lshl_add_u64 v[22:23], v[20:21], 0, s[62:63]
	global_load_dword v18, v[20:21], off
	global_load_dword v48, v[22:23], off
	v_add_u32_e32 v22, s3, v88
	v_ashrrev_i32_e32 v23, 31, v22
	v_add_u32_e32 v24, s8, v88
	v_add_u32_e32 v26, s68, v88
	;; [unrolled: 1-line block ×5, first 2 shown]
	v_lshl_add_u64 v[22:23], v[22:23], 2, s[0:1]
	v_ashrrev_i32_e32 v25, 31, v24
	v_ashrrev_i32_e32 v27, 31, v26
	;; [unrolled: 1-line block ×5, first 2 shown]
	v_lshl_add_u64 v[24:25], v[24:25], 2, s[0:1]
	v_lshl_add_u64 v[26:27], v[26:27], 2, s[0:1]
	;; [unrolled: 1-line block ×5, first 2 shown]
	global_load_dword v49, v[22:23], off
	global_load_dword v50, v[24:25], off
	;; [unrolled: 1-line block ×6, first 2 shown]
	v_add_u32_e32 v22, s72, v88
	v_add_u32_e32 v40, s81, v88
	;; [unrolled: 1-line block ×10, first 2 shown]
	v_ashrrev_i32_e32 v23, 31, v22
	v_ashrrev_i32_e32 v41, 31, v40
	;; [unrolled: 1-line block ×10, first 2 shown]
	v_lshl_add_u64 v[22:23], v[22:23], 2, s[0:1]
	v_lshl_add_u64 v[40:41], v[40:41], 2, s[0:1]
	v_add_u32_e32 v42, s82, v88
	v_add_u32_e32 v44, s83, v88
	;; [unrolled: 1-line block ×3, first 2 shown]
	v_lshl_add_u64 v[24:25], v[24:25], 2, s[0:1]
	v_lshl_add_u64 v[26:27], v[26:27], 2, s[0:1]
	;; [unrolled: 1-line block ×8, first 2 shown]
	global_load_dword v55, v[22:23], off
	global_load_dword v56, v[24:25], off
	;; [unrolled: 1-line block ×9, first 2 shown]
	s_nop 0
	global_load_dword v40, v[40:41], off
	v_add_u32_e32 v22, s64, v88
	v_ashrrev_i32_e32 v43, 31, v42
	v_ashrrev_i32_e32 v45, 31, v44
	v_ashrrev_i32_e32 v47, 31, v46
	v_ashrrev_i32_e32 v23, 31, v22
	v_add_u32_e32 v24, s65, v88
	v_add_u32_e32 v26, s66, v88
	;; [unrolled: 1-line block ×4, first 2 shown]
	v_lshl_add_u64 v[42:43], v[42:43], 2, s[0:1]
	v_lshl_add_u64 v[44:45], v[44:45], 2, s[0:1]
	;; [unrolled: 1-line block ×4, first 2 shown]
	v_ashrrev_i32_e32 v25, 31, v24
	v_ashrrev_i32_e32 v27, 31, v26
	;; [unrolled: 1-line block ×4, first 2 shown]
	v_lshl_add_u64 v[24:25], v[24:25], 2, s[0:1]
	v_lshl_add_u64 v[26:27], v[26:27], 2, s[0:1]
	;; [unrolled: 1-line block ×4, first 2 shown]
	v_add_u32_e32 v32, s92, v88
	v_add_u32_e32 v34, s85, v88
	;; [unrolled: 1-line block ×3, first 2 shown]
	v_ashrrev_i32_e32 v33, 31, v32
	v_ashrrev_i32_e32 v35, 31, v34
	;; [unrolled: 1-line block ×3, first 2 shown]
	v_lshl_add_u64 v[32:33], v[32:33], 2, s[0:1]
	s_waitcnt vmcnt(17)
	ds_write_b32 v89, v18
	s_waitcnt vmcnt(16)
	ds_write_b32 v89, v48 offset:264
	s_waitcnt vmcnt(15)
	ds_write_b32 v89, v49 offset:528
	;; [unrolled: 2-line block ×7, first 2 shown]
	global_load_dword v18, v[42:43], off
	global_load_dword v41, v[44:45], off
	s_nop 0
	global_load_dword v42, v[46:47], off
	global_load_dword v43, v[22:23], off
	global_load_dword v44, v[24:25], off
	global_load_dword v45, v[26:27], off
	s_nop 0
	global_load_dword v46, v[28:29], off
	global_load_dword v47, v[30:31], off
	v_add_u32_e32 v22, s87, v88
	v_ashrrev_i32_e32 v23, 31, v22
	v_add_u32_e32 v24, s88, v88
	v_add_u32_e32 v26, s89, v88
	;; [unrolled: 1-line block ×4, first 2 shown]
	v_lshl_add_u64 v[22:23], v[22:23], 2, s[0:1]
	v_ashrrev_i32_e32 v25, 31, v24
	v_ashrrev_i32_e32 v27, 31, v26
	v_ashrrev_i32_e32 v29, 31, v28
	v_ashrrev_i32_e32 v31, 31, v30
	v_lshl_add_u64 v[24:25], v[24:25], 2, s[0:1]
	v_lshl_add_u64 v[26:27], v[26:27], 2, s[0:1]
	v_lshl_add_u64 v[28:29], v[28:29], 2, s[0:1]
	v_lshl_add_u64 v[30:31], v[30:31], 2, s[0:1]
	v_lshl_add_u64 v[34:35], v[34:35], 2, s[0:1]
	v_lshl_add_u64 v[36:37], v[36:37], 2, s[0:1]
	global_load_dword v48, v[22:23], off
	global_load_dword v49, v[24:25], off
	global_load_dword v50, v[26:27], off
	global_load_dword v51, v[28:29], off
	global_load_dword v52, v[30:31], off
	global_load_dword v53, v[32:33], off
	global_load_dword v64, v[34:35], off
	global_load_dword v65, v[36:37], off
	v_add_u32_e32 v22, s94, v88
	v_ashrrev_i32_e32 v23, 31, v22
	v_add_u32_e32 v24, s95, v88
	v_add_u32_e32 v26, s96, v88
	v_add_u32_e32 v28, s97, v88
	v_add_u32_e32 v30, s98, v88
	v_add_u32_e32 v32, s99, v88
	v_add_u32_e32 v34, s24, v88
	v_add_u32_e32 v36, s25, v88
	v_lshl_add_u64 v[22:23], v[22:23], 2, s[0:1]
	v_ashrrev_i32_e32 v25, 31, v24
	v_ashrrev_i32_e32 v27, 31, v26
	v_ashrrev_i32_e32 v29, 31, v28
	v_ashrrev_i32_e32 v31, 31, v30
	v_ashrrev_i32_e32 v33, 31, v32
	v_ashrrev_i32_e32 v35, 31, v34
	v_ashrrev_i32_e32 v37, 31, v36
	v_lshl_add_u64 v[24:25], v[24:25], 2, s[0:1]
	v_lshl_add_u64 v[26:27], v[26:27], 2, s[0:1]
	v_lshl_add_u64 v[28:29], v[28:29], 2, s[0:1]
	v_lshl_add_u64 v[30:31], v[30:31], 2, s[0:1]
	v_lshl_add_u64 v[32:33], v[32:33], 2, s[0:1]
	v_lshl_add_u64 v[34:35], v[34:35], 2, s[0:1]
	v_lshl_add_u64 v[36:37], v[36:37], 2, s[0:1]
	global_load_dword v66, v[22:23], off
	global_load_dword v67, v[24:25], off
	global_load_dword v68, v[26:27], off
	global_load_dword v69, v[28:29], off
	global_load_dword v70, v[30:31], off
	global_load_dword v71, v[32:33], off
	global_load_dword v72, v[34:35], off
	global_load_dword v73, v[36:37], off
	v_add_u32_e32 v22, s22, v88
	v_ashrrev_i32_e32 v23, 31, v22
	v_add_u32_e32 v24, s23, v88
	v_add_u32_e32 v26, s11, v88
	v_add_u32_e32 v28, s28, v88
	v_add_u32_e32 v30, s29, v88
	v_add_u32_e32 v32, s30, v88
	v_add_u32_e32 v34, s31, v88
	v_add_u32_e32 v36, s26, v88
	v_lshl_add_u64 v[22:23], v[22:23], 2, s[0:1]
	v_ashrrev_i32_e32 v25, 31, v24
	v_ashrrev_i32_e32 v27, 31, v26
	v_ashrrev_i32_e32 v29, 31, v28
	v_ashrrev_i32_e32 v31, 31, v30
	v_ashrrev_i32_e32 v33, 31, v32
	v_ashrrev_i32_e32 v35, 31, v34
	v_ashrrev_i32_e32 v37, 31, v36
	v_lshl_add_u64 v[24:25], v[24:25], 2, s[0:1]
	;; [unrolled: 32-line block ×3, first 2 shown]
	v_lshl_add_u64 v[26:27], v[26:27], 2, s[0:1]
	v_lshl_add_u64 v[28:29], v[28:29], 2, s[0:1]
	;; [unrolled: 1-line block ×6, first 2 shown]
	global_load_dword v82, v[22:23], off
	global_load_dword v83, v[24:25], off
	;; [unrolled: 1-line block ×8, first 2 shown]
	v_add_u32_e32 v22, s41, v88
	v_ashrrev_i32_e32 v23, 31, v22
	v_add_u32_e32 v24, s42, v88
	v_add_u32_e32 v26, s43, v88
	;; [unrolled: 1-line block ×5, first 2 shown]
	v_lshl_add_u64 v[22:23], v[22:23], 2, s[0:1]
	v_ashrrev_i32_e32 v25, 31, v24
	v_ashrrev_i32_e32 v27, 31, v26
	;; [unrolled: 1-line block ×5, first 2 shown]
	v_lshl_add_u64 v[24:25], v[24:25], 2, s[0:1]
	v_lshl_add_u64 v[26:27], v[26:27], 2, s[0:1]
	v_lshl_add_u64 v[28:29], v[28:29], 2, s[0:1]
	v_lshl_add_u64 v[30:31], v[30:31], 2, s[0:1]
	v_lshl_add_u64 v[32:33], v[32:33], 2, s[0:1]
	global_load_dword v95, v[22:23], off
	global_load_dword v96, v[24:25], off
	;; [unrolled: 1-line block ×6, first 2 shown]
	s_waitcnt vmcnt(55)
	ds_write_b32 v89, v55 offset:2112
	s_waitcnt vmcnt(54)
	ds_write_b32 v89, v56 offset:2376
	s_waitcnt vmcnt(53)
	ds_write_b32 v89, v57 offset:2640
	s_waitcnt vmcnt(52)
	ds_write_b32 v89, v58 offset:2904
	s_waitcnt vmcnt(51)
	ds_write_b32 v89, v59 offset:3168
	s_waitcnt vmcnt(50)
	ds_write_b32 v89, v60 offset:3432
	s_waitcnt vmcnt(49)
	ds_write_b32 v89, v61 offset:3696
	s_waitcnt vmcnt(48)
	ds_write_b32 v89, v62 offset:3960
	ds_read_b64 v[38:39], v90
	ds_read_b64 v[34:35], v90 offset:32
	ds_read_b64 v[32:33], v90 offset:64
	ds_read_b64 v[30:31], v90 offset:96
	ds_read_b64 v[28:29], v90 offset:128
	ds_read_b64 v[26:27], v90 offset:160
	ds_read_b64 v[24:25], v90 offset:192
	ds_read_b64 v[22:23], v90 offset:224
	s_waitcnt vmcnt(47)
	ds_write_b32 v89, v63
	s_waitcnt vmcnt(46)
	ds_write_b32 v89, v40 offset:264
	s_waitcnt vmcnt(45)
	ds_write_b32 v89, v18 offset:528
	s_waitcnt vmcnt(44)
	ds_write_b32 v89, v41 offset:792
	s_waitcnt vmcnt(43)
	ds_write_b32 v89, v42 offset:1056
	s_waitcnt vmcnt(42)
	ds_write_b32 v89, v43 offset:1320
	s_waitcnt vmcnt(41)
	ds_write_b32 v89, v44 offset:1584
	s_waitcnt vmcnt(40)
	ds_write_b32 v89, v45 offset:1848
	s_waitcnt vmcnt(39)
	ds_write_b32 v89, v46 offset:2112
	s_waitcnt vmcnt(38)
	ds_write_b32 v89, v47 offset:2376
	s_waitcnt vmcnt(37)
	ds_write_b32 v89, v48 offset:2640
	s_waitcnt vmcnt(36)
	ds_write_b32 v89, v49 offset:2904
	s_waitcnt vmcnt(35)
	ds_write_b32 v89, v50 offset:3168
	s_waitcnt vmcnt(34)
	ds_write_b32 v89, v51 offset:3432
	s_waitcnt vmcnt(33)
	ds_write_b32 v89, v52 offset:3696
	s_waitcnt vmcnt(32)
	ds_write_b32 v89, v53 offset:3960
	ds_read_b64 v[54:55], v90
	ds_read_b64 v[52:53], v90 offset:32
	ds_read_b64 v[48:49], v90 offset:64
	ds_read_b64 v[46:47], v90 offset:96
	ds_read_b64 v[44:45], v90 offset:128
	ds_read_b64 v[42:43], v90 offset:160
	ds_read_b64 v[40:41], v90 offset:192
	ds_read_b64 v[36:37], v90 offset:224
	s_waitcnt vmcnt(31)
	ds_write_b32 v89, v64
	s_waitcnt vmcnt(30)
	ds_write_b32 v89, v65 offset:264
	s_waitcnt vmcnt(29)
	ds_write_b32 v89, v66 offset:528
	s_waitcnt vmcnt(28)
	ds_write_b32 v89, v67 offset:792
	s_waitcnt vmcnt(27)
	ds_write_b32 v89, v68 offset:1056
	s_waitcnt vmcnt(26)
	ds_write_b32 v89, v69 offset:1320
	s_waitcnt vmcnt(25)
	ds_write_b32 v89, v70 offset:1584
	s_waitcnt vmcnt(24)
	ds_write_b32 v89, v71 offset:1848
	s_waitcnt vmcnt(23)
	ds_write_b32 v89, v72 offset:2112
	s_waitcnt vmcnt(22)
	ds_write_b32 v89, v73 offset:2376
	s_waitcnt vmcnt(21)
	ds_write_b32 v89, v74 offset:2640
	s_waitcnt vmcnt(20)
	ds_write_b32 v89, v75 offset:2904
	s_waitcnt vmcnt(19)
	ds_write_b32 v89, v76 offset:3168
	s_waitcnt vmcnt(18)
	ds_write_b32 v89, v77 offset:3432
	s_waitcnt vmcnt(17)
	ds_write_b32 v89, v78 offset:3696
	s_waitcnt vmcnt(16)
	ds_write_b32 v89, v79 offset:3960
	ds_read_b64 v[70:71], v90
	ds_read_b64 v[68:69], v90 offset:32
	ds_read_b64 v[66:67], v90 offset:64
	ds_read_b64 v[64:65], v90 offset:96
	ds_read_b64 v[62:63], v90 offset:128
	ds_read_b64 v[58:59], v90 offset:160
	ds_read_b64 v[56:57], v90 offset:192
	ds_read_b64 v[50:51], v90 offset:224
	s_waitcnt vmcnt(15)
	ds_write_b32 v89, v80
	s_waitcnt vmcnt(14)
	ds_write_b32 v89, v81 offset:264
	s_waitcnt vmcnt(13)
	ds_write_b32 v89, v82 offset:528
	s_waitcnt vmcnt(12)
	ds_write_b32 v89, v83 offset:792
	s_waitcnt vmcnt(11)
	ds_write_b32 v89, v84 offset:1056
	s_waitcnt vmcnt(10)
	ds_write_b32 v89, v85 offset:1320
	s_waitcnt vmcnt(9)
	ds_write_b32 v89, v91 offset:1584
	s_waitcnt vmcnt(8)
	ds_write_b32 v89, v92 offset:1848
	s_waitcnt vmcnt(7)
	ds_write_b32 v89, v93 offset:2112
	s_waitcnt vmcnt(6)
	ds_write_b32 v89, v94 offset:2376
	;; [unrolled: 2-line block ×8, first 2 shown]
	ds_read_b64 v[84:85], v90
	ds_read_b64 v[82:83], v90 offset:32
	ds_read_b64 v[78:79], v90 offset:64
	;; [unrolled: 1-line block ×7, first 2 shown]
	v_readlane_b32 vcc_lo, v118, 11
	v_readlane_b32 vcc_hi, v118, 12
	s_andn2_b64 vcc, exec, vcc
	v_mov_b32_e32 v91, 0
	v_mov_b32_e32 v18, 0
	s_cbranch_vccnz .LBB120_9
; %bb.7:                                ;   in Loop: Header=BB120_6 Depth=1
	s_load_dword s47, s[36:37], 0x0
	v_mov_b32_e32 v18, 0
	v_mov_b32_e32 v91, 0
	s_waitcnt lgkmcnt(0)
	s_mul_hi_u32 vcc_lo, s47, s16
	s_add_i32 vcc_lo, s47, vcc_lo
	s_lshr_b32 vcc_lo, vcc_lo, s17
	s_cmp_ge_i32 vcc_lo, s13
	s_cbranch_scc1 .LBB120_9
; %bb.8:                                ;   in Loop: Header=BB120_6 Depth=1
	s_mul_i32 vcc_hi, vcc_lo, s18
	s_sub_i32 s47, s47, vcc_hi
	s_mul_i32 vcc_lo, vcc_lo, s20
	s_mul_i32 s47, s47, s9
	v_add_u32_e32 v18, vcc_lo, v88
	v_lshl_add_u32 v92, v18, 1, s47
	v_ashrrev_i32_e32 v93, 31, v92
	v_lshl_add_u64 v[92:93], v[92:93], 2, s[6:7]
	global_load_dwordx2 v[92:93], v[92:93], off
	s_waitcnt vmcnt(0)
	v_cvt_f16_f32_e32 v91, v92
	v_cvt_f16_f32_e32 v18, v93
.LBB120_9:                              ;   in Loop: Header=BB120_6 Depth=1
	v_readlane_b32 vcc_lo, v118, 13
	v_readlane_b32 vcc_hi, v118, 14
	v_mov_b32_e32 v92, 0
	s_andn2_b64 vcc, exec, vcc
	v_mov_b32_e32 v94, 0
	v_mov_b32_e32 v93, 0
	s_cbranch_vccnz .LBB120_12
; %bb.10:                               ;   in Loop: Header=BB120_6 Depth=1
	s_load_dword s47, s[36:37], 0x4
	v_mov_b32_e32 v93, 0
	v_mov_b32_e32 v94, 0
	s_waitcnt lgkmcnt(0)
	s_mul_hi_u32 vcc_lo, s47, s16
	s_add_i32 vcc_lo, s47, vcc_lo
	s_lshr_b32 vcc_lo, vcc_lo, s17
	s_cmp_ge_i32 vcc_lo, s13
	s_cbranch_scc1 .LBB120_12
; %bb.11:                               ;   in Loop: Header=BB120_6 Depth=1
	s_mul_i32 vcc_hi, vcc_lo, s18
	s_sub_i32 s47, s47, vcc_hi
	s_mul_i32 vcc_lo, vcc_lo, s20
	s_mul_i32 s47, s47, s9
	v_add_u32_e32 v93, vcc_lo, v88
	v_lshl_add_u32 v94, v93, 1, s47
	v_ashrrev_i32_e32 v95, 31, v94
	v_lshl_add_u64 v[94:95], v[94:95], 2, s[6:7]
	global_load_dwordx2 v[94:95], v[94:95], off
	s_waitcnt vmcnt(0)
	v_cvt_f16_f32_e32 v94, v94
	v_cvt_f16_f32_e32 v93, v95
.LBB120_12:                             ;   in Loop: Header=BB120_6 Depth=1
	v_readlane_b32 vcc_lo, v118, 15
	v_readlane_b32 vcc_hi, v118, 16
	s_andn2_b64 vcc, exec, vcc
	v_mov_b32_e32 v95, 0
	s_cbranch_vccnz .LBB120_15
; %bb.13:                               ;   in Loop: Header=BB120_6 Depth=1
	s_load_dword s47, s[36:37], 0x8
	v_mov_b32_e32 v95, 0
	v_mov_b32_e32 v92, 0
	s_waitcnt lgkmcnt(0)
	s_mul_hi_u32 vcc_lo, s47, s16
	s_add_i32 vcc_lo, s47, vcc_lo
	s_lshr_b32 vcc_lo, vcc_lo, s17
	s_cmp_ge_i32 vcc_lo, s13
	s_cbranch_scc1 .LBB120_15
; %bb.14:                               ;   in Loop: Header=BB120_6 Depth=1
	s_mul_i32 vcc_hi, vcc_lo, s18
	s_sub_i32 s47, s47, vcc_hi
	s_mul_i32 vcc_lo, vcc_lo, s20
	s_mul_i32 s47, s47, s9
	v_add_u32_e32 v92, vcc_lo, v88
	v_lshl_add_u32 v96, v92, 1, s47
	v_ashrrev_i32_e32 v97, 31, v96
	v_lshl_add_u64 v[96:97], v[96:97], 2, s[6:7]
	global_load_dwordx2 v[96:97], v[96:97], off
	s_waitcnt vmcnt(0)
	v_cvt_f16_f32_e32 v92, v96
	v_cvt_f16_f32_e32 v95, v97
.LBB120_15:                             ;   in Loop: Header=BB120_6 Depth=1
	v_readlane_b32 vcc_lo, v118, 17
	v_readlane_b32 vcc_hi, v118, 18
	v_mov_b32_e32 v96, 0
	s_andn2_b64 vcc, exec, vcc
	v_mov_b32_e32 v98, 0
	v_mov_b32_e32 v97, 0
	s_cbranch_vccnz .LBB120_18
; %bb.16:                               ;   in Loop: Header=BB120_6 Depth=1
	s_load_dword s47, s[36:37], 0xc
	v_mov_b32_e32 v97, 0
	v_mov_b32_e32 v98, 0
	s_waitcnt lgkmcnt(0)
	s_mul_hi_u32 vcc_lo, s47, s16
	s_add_i32 vcc_lo, s47, vcc_lo
	s_lshr_b32 vcc_lo, vcc_lo, s17
	s_cmp_ge_i32 vcc_lo, s13
	s_cbranch_scc1 .LBB120_18
; %bb.17:                               ;   in Loop: Header=BB120_6 Depth=1
	s_mul_i32 vcc_hi, vcc_lo, s18
	s_sub_i32 s47, s47, vcc_hi
	s_mul_i32 vcc_lo, vcc_lo, s20
	s_mul_i32 s47, s47, s9
	v_add_u32_e32 v97, vcc_lo, v88
	v_lshl_add_u32 v98, v97, 1, s47
	v_ashrrev_i32_e32 v99, 31, v98
	v_lshl_add_u64 v[98:99], v[98:99], 2, s[6:7]
	global_load_dwordx2 v[98:99], v[98:99], off
	s_waitcnt vmcnt(0)
	v_cvt_f16_f32_e32 v98, v98
	v_cvt_f16_f32_e32 v97, v99
.LBB120_18:                             ;   in Loop: Header=BB120_6 Depth=1
	v_readlane_b32 vcc_lo, v118, 19
	v_readlane_b32 vcc_hi, v118, 20
	s_andn2_b64 vcc, exec, vcc
	v_mov_b32_e32 v99, 0
	s_cbranch_vccnz .LBB120_21
; %bb.19:                               ;   in Loop: Header=BB120_6 Depth=1
	s_load_dword s47, s[36:37], 0x10
	v_mov_b32_e32 v99, 0
	v_mov_b32_e32 v96, 0
	s_waitcnt lgkmcnt(0)
	s_mul_hi_u32 vcc_lo, s47, s16
	s_add_i32 vcc_lo, s47, vcc_lo
	s_lshr_b32 vcc_lo, vcc_lo, s17
	s_cmp_ge_i32 vcc_lo, s13
	s_cbranch_scc1 .LBB120_21
; %bb.20:                               ;   in Loop: Header=BB120_6 Depth=1
	s_mul_i32 vcc_hi, vcc_lo, s18
	s_sub_i32 s47, s47, vcc_hi
	s_mul_i32 vcc_lo, vcc_lo, s20
	s_mul_i32 s47, s47, s9
	v_add_u32_e32 v96, vcc_lo, v88
	v_lshl_add_u32 v100, v96, 1, s47
	v_ashrrev_i32_e32 v101, 31, v100
	v_lshl_add_u64 v[100:101], v[100:101], 2, s[6:7]
	global_load_dwordx2 v[100:101], v[100:101], off
	s_waitcnt vmcnt(0)
	v_cvt_f16_f32_e32 v96, v100
	v_cvt_f16_f32_e32 v99, v101
.LBB120_21:                             ;   in Loop: Header=BB120_6 Depth=1
	v_readlane_b32 vcc_lo, v118, 21
	v_readlane_b32 vcc_hi, v118, 22
	v_mov_b32_e32 v100, 0
	s_andn2_b64 vcc, exec, vcc
	v_mov_b32_e32 v102, 0
	v_mov_b32_e32 v101, 0
	s_cbranch_vccnz .LBB120_24
; %bb.22:                               ;   in Loop: Header=BB120_6 Depth=1
	s_load_dword s47, s[36:37], 0x14
	v_mov_b32_e32 v101, 0
	v_mov_b32_e32 v102, 0
	s_waitcnt lgkmcnt(0)
	s_mul_hi_u32 vcc_lo, s47, s16
	s_add_i32 vcc_lo, s47, vcc_lo
	s_lshr_b32 vcc_lo, vcc_lo, s17
	s_cmp_ge_i32 vcc_lo, s13
	s_cbranch_scc1 .LBB120_24
; %bb.23:                               ;   in Loop: Header=BB120_6 Depth=1
	s_mul_i32 vcc_hi, vcc_lo, s18
	s_sub_i32 s47, s47, vcc_hi
	s_mul_i32 vcc_lo, vcc_lo, s20
	s_mul_i32 s47, s47, s9
	v_add_u32_e32 v101, vcc_lo, v88
	v_lshl_add_u32 v102, v101, 1, s47
	v_ashrrev_i32_e32 v103, 31, v102
	v_lshl_add_u64 v[102:103], v[102:103], 2, s[6:7]
	global_load_dwordx2 v[102:103], v[102:103], off
	s_waitcnt vmcnt(0)
	v_cvt_f16_f32_e32 v102, v102
	v_cvt_f16_f32_e32 v101, v103
.LBB120_24:                             ;   in Loop: Header=BB120_6 Depth=1
	s_andn2_b64 vcc, exec, s[48:49]
	v_mov_b32_e32 v103, 0
	s_cbranch_vccnz .LBB120_27
; %bb.25:                               ;   in Loop: Header=BB120_6 Depth=1
	s_load_dword s47, s[36:37], 0x18
	v_mov_b32_e32 v103, 0
	v_mov_b32_e32 v100, 0
	s_waitcnt lgkmcnt(0)
	s_mul_hi_u32 vcc_lo, s47, s16
	s_add_i32 vcc_lo, s47, vcc_lo
	s_lshr_b32 vcc_lo, vcc_lo, s17
	s_cmp_ge_i32 vcc_lo, s13
	s_cbranch_scc1 .LBB120_27
; %bb.26:                               ;   in Loop: Header=BB120_6 Depth=1
	s_mul_i32 vcc_hi, vcc_lo, s18
	s_sub_i32 s47, s47, vcc_hi
	s_mul_i32 vcc_lo, vcc_lo, s20
	s_mul_i32 s47, s47, s9
	v_add_u32_e32 v100, vcc_lo, v88
	v_lshl_add_u32 v104, v100, 1, s47
	v_ashrrev_i32_e32 v105, 31, v104
	v_lshl_add_u64 v[104:105], v[104:105], 2, s[6:7]
	global_load_dwordx2 v[104:105], v[104:105], off
	s_waitcnt vmcnt(0)
	v_cvt_f16_f32_e32 v100, v104
	v_cvt_f16_f32_e32 v103, v105
.LBB120_27:                             ;   in Loop: Header=BB120_6 Depth=1
	v_mov_b32_e32 v104, 0
	s_andn2_b64 vcc, exec, s[50:51]
	v_mov_b32_e32 v106, 0
	v_mov_b32_e32 v105, 0
	s_cbranch_vccnz .LBB120_30
; %bb.28:                               ;   in Loop: Header=BB120_6 Depth=1
	s_load_dword s47, s[36:37], 0x1c
	v_mov_b32_e32 v105, 0
	v_mov_b32_e32 v106, 0
	s_waitcnt lgkmcnt(0)
	s_mul_hi_u32 vcc_lo, s47, s16
	s_add_i32 vcc_lo, s47, vcc_lo
	s_lshr_b32 vcc_lo, vcc_lo, s17
	s_cmp_ge_i32 vcc_lo, s13
	s_cbranch_scc1 .LBB120_30
; %bb.29:                               ;   in Loop: Header=BB120_6 Depth=1
	s_mul_i32 vcc_hi, vcc_lo, s18
	s_sub_i32 s47, s47, vcc_hi
	s_mul_i32 vcc_lo, vcc_lo, s20
	s_mul_i32 s47, s47, s9
	v_add_u32_e32 v105, vcc_lo, v88
	v_lshl_add_u32 v106, v105, 1, s47
	v_ashrrev_i32_e32 v107, 31, v106
	v_lshl_add_u64 v[106:107], v[106:107], 2, s[6:7]
	global_load_dwordx2 v[106:107], v[106:107], off
	s_waitcnt vmcnt(0)
	v_cvt_f16_f32_e32 v106, v106
	v_cvt_f16_f32_e32 v105, v107
.LBB120_30:                             ;   in Loop: Header=BB120_6 Depth=1
	s_andn2_b64 vcc, exec, s[52:53]
	v_mov_b32_e32 v107, 0
	s_cbranch_vccnz .LBB120_33
; %bb.31:                               ;   in Loop: Header=BB120_6 Depth=1
	s_load_dword s47, s[36:37], 0x20
	v_mov_b32_e32 v107, 0
	v_mov_b32_e32 v104, 0
	s_waitcnt lgkmcnt(0)
	s_mul_hi_u32 vcc_lo, s47, s16
	s_add_i32 vcc_lo, s47, vcc_lo
	s_lshr_b32 vcc_lo, vcc_lo, s17
	s_cmp_ge_i32 vcc_lo, s13
	s_cbranch_scc1 .LBB120_33
; %bb.32:                               ;   in Loop: Header=BB120_6 Depth=1
	s_mul_i32 vcc_hi, vcc_lo, s18
	s_sub_i32 s47, s47, vcc_hi
	s_mul_i32 vcc_lo, vcc_lo, s20
	s_mul_i32 s47, s47, s9
	v_add_u32_e32 v104, vcc_lo, v88
	v_lshl_add_u32 v108, v104, 1, s47
	v_ashrrev_i32_e32 v109, 31, v108
	v_lshl_add_u64 v[108:109], v[108:109], 2, s[6:7]
	global_load_dwordx2 v[108:109], v[108:109], off
	s_waitcnt vmcnt(0)
	v_cvt_f16_f32_e32 v104, v108
	v_cvt_f16_f32_e32 v107, v109
.LBB120_33:                             ;   in Loop: Header=BB120_6 Depth=1
	v_mov_b32_e32 v108, 0
	s_andn2_b64 vcc, exec, s[54:55]
	;; [unrolled: 56-line block ×3, first 2 shown]
	v_mov_b32_e32 v114, 0
	v_mov_b32_e32 v113, 0
	s_cbranch_vccnz .LBB120_42
; %bb.40:                               ;   in Loop: Header=BB120_6 Depth=1
	s_load_dword s47, s[36:37], 0x2c
	v_mov_b32_e32 v113, 0
	v_mov_b32_e32 v114, 0
	s_waitcnt lgkmcnt(0)
	s_mul_hi_u32 vcc_lo, s47, s16
	s_add_i32 vcc_lo, s47, vcc_lo
	s_lshr_b32 vcc_lo, vcc_lo, s17
	s_cmp_ge_i32 vcc_lo, s13
	s_cbranch_scc1 .LBB120_42
; %bb.41:                               ;   in Loop: Header=BB120_6 Depth=1
	s_mul_i32 vcc_hi, vcc_lo, s18
	s_sub_i32 s47, s47, vcc_hi
	s_mul_i32 vcc_lo, vcc_lo, s20
	s_mul_i32 s47, s47, s9
	v_add_u32_e32 v113, vcc_lo, v88
	v_lshl_add_u32 v114, v113, 1, s47
	v_ashrrev_i32_e32 v115, 31, v114
	v_lshl_add_u64 v[114:115], v[114:115], 2, s[6:7]
	global_load_dwordx2 v[114:115], v[114:115], off
	s_waitcnt vmcnt(0)
	v_cvt_f16_f32_e32 v114, v114
	v_cvt_f16_f32_e32 v113, v115
.LBB120_42:                             ;   in Loop: Header=BB120_6 Depth=1
	s_andn2_b64 vcc, exec, s[60:61]
	v_mov_b32_e32 v115, 0
	s_cbranch_vccnz .LBB120_5
; %bb.43:                               ;   in Loop: Header=BB120_6 Depth=1
	s_load_dword s47, s[36:37], 0x30
	v_mov_b32_e32 v115, 0
	v_mov_b32_e32 v112, 0
	s_waitcnt lgkmcnt(0)
	s_mul_hi_u32 vcc_lo, s47, s16
	s_add_i32 vcc_lo, s47, vcc_lo
	s_lshr_b32 vcc_lo, vcc_lo, s17
	s_cmp_ge_i32 vcc_lo, s13
	s_cbranch_scc1 .LBB120_5
; %bb.44:                               ;   in Loop: Header=BB120_6 Depth=1
	s_mul_i32 vcc_hi, vcc_lo, s18
	s_sub_i32 s47, s47, vcc_hi
	s_mul_i32 vcc_lo, vcc_lo, s20
	s_mul_i32 s47, s47, s9
	v_add_u32_e32 v112, vcc_lo, v88
	v_lshl_add_u32 v116, v112, 1, s47
	v_ashrrev_i32_e32 v117, 31, v116
	v_lshl_add_u64 v[116:117], v[116:117], 2, s[6:7]
	global_load_dwordx2 v[116:117], v[116:117], off
	s_waitcnt vmcnt(0)
	v_cvt_f16_f32_e32 v112, v116
	v_cvt_f16_f32_e32 v115, v117
	s_branch .LBB120_5
.LBB120_45:
	s_or_b64 exec, exec, s[4:5]
	v_readlane_b32 s24, v118, 6
	v_readlane_b32 s30, v118, 9
	;; [unrolled: 1-line block ×12, first 2 shown]
.LBB120_46:
	s_or_b64 exec, exec, s[36:37]
	s_lshl_b64 s[0:1], s[30:31], 2
	s_add_u32 s4, s22, s0
	v_lshl_add_u32 v18, v86, 2, 0
	v_mul_u32_u24_e32 v19, 0x808, v87
	v_and_b32_e32 v20, 0x3f0, v17
	s_addc_u32 s5, s23, s1
	v_add3_u32 v18, v18, v19, v20
	s_barrier
	ds_write2_b32 v18, v8, v9 offset1:1
	ds_write2_b32 v18, v10, v11 offset0:2 offset1:3
	ds_write2_b32 v18, v0, v1 offset0:16 offset1:17
	;; [unrolled: 1-line block ×7, first 2 shown]
	s_cmp_gt_i32 s14, 0
	v_add_u32_e32 v0, s28, v16
	s_cselect_b64 s[6:7], -1, 0
	v_cmp_gt_i32_e64 s[0:1], s26, v0
	v_cmp_gt_u32_e32 vcc, 13, v16
	s_and_b64 s[0:1], s[6:7], s[0:1]
	v_lshl_add_u32 v3, v17, 2, 0
	v_add_u32_e32 v2, s11, v17
	s_and_b64 s[2:3], vcc, s[0:1]
	s_waitcnt lgkmcnt(0)
	s_barrier
	s_and_saveexec_b64 s[0:1], s[2:3]
	s_cbranch_execz .LBB120_49
; %bb.47:
	v_ashrrev_i32_e32 v1, 31, v0
	v_lshl_add_u64 v[0:1], v[0:1], 2, s[4:5]
	global_load_dword v0, v[0:1], off
	s_waitcnt vmcnt(0)
	v_mul_hi_u32 v1, v0, s19
	v_add_u32_e32 v1, v0, v1
	v_lshrrev_b32_e32 v1, s24, v1
	v_cmp_gt_i32_e32 vcc, s13, v1
	s_and_b64 exec, exec, vcc
	s_cbranch_execz .LBB120_49
; %bb.48:
	s_movk_i32 s2, 0x808
	v_mad_u32_u24 v10, v16, s2, v3
	ds_read2st64_b32 v[4:5], v10 offset1:1
	ds_read2st64_b32 v[6:7], v10 offset0:2 offset1:3
	ds_read2st64_b32 v[8:9], v10 offset0:4 offset1:5
	;; [unrolled: 1-line block ×3, first 2 shown]
	v_mul_lo_u32 v12, v1, s25
	v_sub_u32_e32 v0, v0, v12
	v_mul_lo_u32 v0, v0, s10
	s_waitcnt lgkmcnt(3)
	v_add_f32_e32 v4, 0, v4
	v_add_f32_e32 v4, v4, v5
	s_waitcnt lgkmcnt(2)
	v_add_f32_e32 v4, v4, v6
	v_add_f32_e32 v4, v4, v7
	;; [unrolled: 3-line block ×3, first 2 shown]
	v_mul_lo_u32 v1, v1, s21
	v_readlane_b32 s2, v118, 0
	s_waitcnt lgkmcnt(0)
	v_add_f32_e32 v4, v4, v10
	v_add3_u32 v0, v2, v1, v0
	v_mov_b32_e32 v1, 0
	v_readlane_b32 s3, v118, 1
	v_add_f32_e32 v4, v4, v11
	s_nop 0
	v_lshl_add_u64 v[0:1], v[0:1], 2, s[2:3]
	global_store_dword v[0:1], v4, off
.LBB120_49:
	s_or_b64 exec, exec, s[0:1]
	v_cmp_gt_u32_e32 vcc, 5, v16
	s_and_saveexec_b64 s[0:1], vcc
	s_cbranch_execz .LBB120_53
; %bb.50:
	v_or_b32_e32 v4, 8, v16
	v_add_u32_e32 v0, s28, v4
	v_cmp_gt_i32_e32 vcc, s26, v0
	s_and_b64 s[0:1], s[6:7], vcc
	s_and_b64 exec, exec, s[0:1]
	s_cbranch_execz .LBB120_53
; %bb.51:
	s_ashr_i32 s29, s28, 31
	v_mov_b32_e32 v17, 0
	v_lshl_add_u64 v[0:1], v[16:17], 0, s[28:29]
	v_lshl_add_u64 v[0:1], v[0:1], 2, s[4:5]
	global_load_dword v0, v[0:1], off offset:32
	s_waitcnt vmcnt(0)
	v_mul_hi_u32 v1, v0, s19
	v_add_u32_e32 v1, v0, v1
	v_lshrrev_b32_e32 v1, s24, v1
	v_cmp_gt_i32_e32 vcc, s13, v1
	s_and_b64 exec, exec, vcc
	s_cbranch_execz .LBB120_53
; %bb.52:
	s_movk_i32 s0, 0x808
	v_mad_u32_u24 v3, v4, s0, v3
	ds_read2st64_b32 v[4:5], v3 offset1:1
	ds_read2st64_b32 v[6:7], v3 offset0:2 offset1:3
	ds_read2st64_b32 v[8:9], v3 offset0:4 offset1:5
	;; [unrolled: 1-line block ×3, first 2 shown]
	v_mul_lo_u32 v12, v1, s25
	v_sub_u32_e32 v0, v0, v12
	v_mul_lo_u32 v0, v0, s10
	s_waitcnt lgkmcnt(3)
	v_add_f32_e32 v3, 0, v4
	v_add_f32_e32 v3, v3, v5
	s_waitcnt lgkmcnt(2)
	v_add_f32_e32 v3, v3, v6
	v_add_f32_e32 v3, v3, v7
	;; [unrolled: 3-line block ×3, first 2 shown]
	v_mul_lo_u32 v1, v1, s21
	v_readlane_b32 s0, v118, 0
	s_waitcnt lgkmcnt(0)
	v_add_f32_e32 v3, v3, v10
	v_add3_u32 v16, v2, v1, v0
	v_readlane_b32 s1, v118, 1
	v_add_f32_e32 v3, v3, v11
	s_nop 0
	v_lshl_add_u64 v[0:1], v[16:17], 2, s[0:1]
	global_store_dword v[0:1], v3, off
.LBB120_53:
	s_endpgm
	.section	.rodata,"a",@progbits
	.p2align	6, 0x0
	.amdhsa_kernel _ZL13mul_mat_f_idsI7__half2Li64ELi13ELi8EEvPKT_PKfPKiS7_S7_Pfiiiiiiiiiiiiii15HIP_vector_typeIjLj3EESA_
		.amdhsa_group_segment_fixed_size 0
		.amdhsa_private_segment_fixed_size 0
		.amdhsa_kernarg_size 128
		.amdhsa_user_sgpr_count 2
		.amdhsa_user_sgpr_dispatch_ptr 0
		.amdhsa_user_sgpr_queue_ptr 0
		.amdhsa_user_sgpr_kernarg_segment_ptr 1
		.amdhsa_user_sgpr_dispatch_id 0
		.amdhsa_user_sgpr_kernarg_preload_length 0
		.amdhsa_user_sgpr_kernarg_preload_offset 0
		.amdhsa_user_sgpr_private_segment_size 0
		.amdhsa_uses_dynamic_stack 0
		.amdhsa_enable_private_segment 0
		.amdhsa_system_sgpr_workgroup_id_x 1
		.amdhsa_system_sgpr_workgroup_id_y 1
		.amdhsa_system_sgpr_workgroup_id_z 1
		.amdhsa_system_sgpr_workgroup_info 0
		.amdhsa_system_vgpr_workitem_id 1
		.amdhsa_next_free_vgpr 119
		.amdhsa_next_free_sgpr 100
		.amdhsa_accum_offset 120
		.amdhsa_reserve_vcc 1
		.amdhsa_float_round_mode_32 0
		.amdhsa_float_round_mode_16_64 0
		.amdhsa_float_denorm_mode_32 3
		.amdhsa_float_denorm_mode_16_64 3
		.amdhsa_dx10_clamp 1
		.amdhsa_ieee_mode 1
		.amdhsa_fp16_overflow 0
		.amdhsa_tg_split 0
		.amdhsa_exception_fp_ieee_invalid_op 0
		.amdhsa_exception_fp_denorm_src 0
		.amdhsa_exception_fp_ieee_div_zero 0
		.amdhsa_exception_fp_ieee_overflow 0
		.amdhsa_exception_fp_ieee_underflow 0
		.amdhsa_exception_fp_ieee_inexact 0
		.amdhsa_exception_int_div_zero 0
	.end_amdhsa_kernel
	.section	.text._ZL13mul_mat_f_idsI7__half2Li64ELi13ELi8EEvPKT_PKfPKiS7_S7_Pfiiiiiiiiiiiiii15HIP_vector_typeIjLj3EESA_,"axG",@progbits,_ZL13mul_mat_f_idsI7__half2Li64ELi13ELi8EEvPKT_PKfPKiS7_S7_Pfiiiiiiiiiiiiii15HIP_vector_typeIjLj3EESA_,comdat
.Lfunc_end120:
	.size	_ZL13mul_mat_f_idsI7__half2Li64ELi13ELi8EEvPKT_PKfPKiS7_S7_Pfiiiiiiiiiiiiii15HIP_vector_typeIjLj3EESA_, .Lfunc_end120-_ZL13mul_mat_f_idsI7__half2Li64ELi13ELi8EEvPKT_PKfPKiS7_S7_Pfiiiiiiiiiiiiii15HIP_vector_typeIjLj3EESA_
                                        ; -- End function
	.set _ZL13mul_mat_f_idsI7__half2Li64ELi13ELi8EEvPKT_PKfPKiS7_S7_Pfiiiiiiiiiiiiii15HIP_vector_typeIjLj3EESA_.num_vgpr, 119
	.set _ZL13mul_mat_f_idsI7__half2Li64ELi13ELi8EEvPKT_PKfPKiS7_S7_Pfiiiiiiiiiiiiii15HIP_vector_typeIjLj3EESA_.num_agpr, 0
	.set _ZL13mul_mat_f_idsI7__half2Li64ELi13ELi8EEvPKT_PKfPKiS7_S7_Pfiiiiiiiiiiiiii15HIP_vector_typeIjLj3EESA_.numbered_sgpr, 100
	.set _ZL13mul_mat_f_idsI7__half2Li64ELi13ELi8EEvPKT_PKfPKiS7_S7_Pfiiiiiiiiiiiiii15HIP_vector_typeIjLj3EESA_.num_named_barrier, 0
	.set _ZL13mul_mat_f_idsI7__half2Li64ELi13ELi8EEvPKT_PKfPKiS7_S7_Pfiiiiiiiiiiiiii15HIP_vector_typeIjLj3EESA_.private_seg_size, 0
	.set _ZL13mul_mat_f_idsI7__half2Li64ELi13ELi8EEvPKT_PKfPKiS7_S7_Pfiiiiiiiiiiiiii15HIP_vector_typeIjLj3EESA_.uses_vcc, 1
	.set _ZL13mul_mat_f_idsI7__half2Li64ELi13ELi8EEvPKT_PKfPKiS7_S7_Pfiiiiiiiiiiiiii15HIP_vector_typeIjLj3EESA_.uses_flat_scratch, 0
	.set _ZL13mul_mat_f_idsI7__half2Li64ELi13ELi8EEvPKT_PKfPKiS7_S7_Pfiiiiiiiiiiiiii15HIP_vector_typeIjLj3EESA_.has_dyn_sized_stack, 0
	.set _ZL13mul_mat_f_idsI7__half2Li64ELi13ELi8EEvPKT_PKfPKiS7_S7_Pfiiiiiiiiiiiiii15HIP_vector_typeIjLj3EESA_.has_recursion, 0
	.set _ZL13mul_mat_f_idsI7__half2Li64ELi13ELi8EEvPKT_PKfPKiS7_S7_Pfiiiiiiiiiiiiii15HIP_vector_typeIjLj3EESA_.has_indirect_call, 0
	.section	.AMDGPU.csdata,"",@progbits
; Kernel info:
; codeLenInByte = 6620
; TotalNumSgprs: 106
; NumVgprs: 119
; NumAgprs: 0
; TotalNumVgprs: 119
; ScratchSize: 0
; MemoryBound: 0
; FloatMode: 240
; IeeeMode: 1
; LDSByteSize: 0 bytes/workgroup (compile time only)
; SGPRBlocks: 13
; VGPRBlocks: 14
; NumSGPRsForWavesPerEU: 106
; NumVGPRsForWavesPerEU: 119
; AccumOffset: 120
; Occupancy: 4
; WaveLimiterHint : 1
; COMPUTE_PGM_RSRC2:SCRATCH_EN: 0
; COMPUTE_PGM_RSRC2:USER_SGPR: 2
; COMPUTE_PGM_RSRC2:TRAP_HANDLER: 0
; COMPUTE_PGM_RSRC2:TGID_X_EN: 1
; COMPUTE_PGM_RSRC2:TGID_Y_EN: 1
; COMPUTE_PGM_RSRC2:TGID_Z_EN: 1
; COMPUTE_PGM_RSRC2:TIDIG_COMP_CNT: 1
; COMPUTE_PGM_RSRC3_GFX90A:ACCUM_OFFSET: 29
; COMPUTE_PGM_RSRC3_GFX90A:TG_SPLIT: 0
	.section	.text._ZL9mul_mat_fI7__half2Li64ELi13ELi8ELb1EEvPKT_PKfPKiPfiiiiiiiiiiiiiiii,"axG",@progbits,_ZL9mul_mat_fI7__half2Li64ELi13ELi8ELb1EEvPKT_PKfPKiPfiiiiiiiiiiiiiiii,comdat
	.globl	_ZL9mul_mat_fI7__half2Li64ELi13ELi8ELb1EEvPKT_PKfPKiPfiiiiiiiiiiiiiiii ; -- Begin function _ZL9mul_mat_fI7__half2Li64ELi13ELi8ELb1EEvPKT_PKfPKiPfiiiiiiiiiiiiiiii
	.p2align	8
	.type	_ZL9mul_mat_fI7__half2Li64ELi13ELi8ELb1EEvPKT_PKfPKiPfiiiiiiiiiiiiiiii,@function
_ZL9mul_mat_fI7__half2Li64ELi13ELi8ELb1EEvPKT_PKfPKiPfiiiiiiiiiiiiiiii: ; @_ZL9mul_mat_fI7__half2Li64ELi13ELi8ELb1EEvPKT_PKfPKiPfiiiiiiiiiiiiiiii
; %bb.0:
	s_load_dwordx8 s[36:43], s[0:1], 0x20
	s_mov_b32 s22, s4
	s_load_dwordx2 s[8:9], s[0:1], 0x10
	v_and_b32_e32 v16, 0x3ff, v0
	v_bfe_u32 v17, v0, 10, 10
	s_waitcnt lgkmcnt(0)
	s_add_i32 s4, s37, 12
	s_mul_hi_i32 s4, s4, 0x4ec4ec4f
	s_lshr_b32 s5, s4, 31
	s_ashr_i32 s4, s4, 2
	s_add_i32 s4, s4, s5
	v_cvt_f32_u32_e32 v1, s4
	s_load_dwordx4 s[44:47], s[0:1], 0x44
	s_load_dword s5, s[0:1], 0x64
	s_add_u32 s12, s0, 0x60
	s_addc_u32 s13, s1, 0
	v_rcp_iflag_f32_e32 v1, v1
	s_sub_i32 s6, 0, s4
	v_mul_f32_e32 v1, 0x4f7ffffe, v1
	v_cvt_u32_f32_e32 v1, v1
	v_mul_lo_u32 v2, s6, v1
	v_mul_hi_u32 v2, v1, v2
	v_add_u32_e32 v1, v1, v2
	s_waitcnt lgkmcnt(0)
	v_mul_hi_u32 v1, s5, v1
	v_mul_lo_u32 v2, v1, s4
	v_sub_u32_e32 v2, s5, v2
	v_add_u32_e32 v3, 1, v1
	v_subrev_u32_e32 v4, s4, v2
	v_cmp_le_u32_e32 vcc, s4, v2
	s_nop 1
	v_cndmask_b32_e32 v1, v1, v3, vcc
	v_cndmask_b32_e32 v2, v2, v4, vcc
	v_add_u32_e32 v3, 1, v1
	v_cmp_le_u32_e32 vcc, s4, v2
	s_abs_i32 s4, s47
	s_sub_i32 s5, 0, s4
	v_cndmask_b32_e32 v1, v1, v3, vcc
	v_cvt_f32_u32_e32 v2, v1
	v_cvt_f32_u32_e32 v3, s4
	v_cmp_eq_u32_e32 vcc, 0, v16
	v_rcp_iflag_f32_e32 v2, v2
	v_rcp_iflag_f32_e32 v3, v3
	v_mul_f32_e32 v2, 0x4f7ffffe, v2
	v_cvt_u32_f32_e32 v2, v2
	v_mul_f32_e32 v3, 0x4f7ffffe, v3
	v_cvt_u32_f32_e32 v8, v3
	v_sub_u32_e32 v3, 0, v1
	v_mul_lo_u32 v3, v3, v2
	v_mul_hi_u32 v3, v2, v3
	v_add_u32_e32 v2, v2, v3
	v_mul_hi_u32 v2, s3, v2
	s_and_saveexec_b64 s[6:7], vcc
; %bb.1:
	v_mov_b32_e32 v3, 0x100
	v_lshl_add_u32 v3, v17, 2, v3
	v_mov_b32_e32 v4, -1
	ds_write_b32 v3, v4
; %bb.2:
	s_or_b64 exec, exec, s[6:7]
	v_mul_lo_u32 v3, v2, v1
	v_sub_u32_e32 v3, s3, v3
	v_add_u32_e32 v4, 1, v2
	v_sub_u32_e32 v5, v3, v1
	v_cmp_ge_u32_e64 s[6:7], v3, v1
	v_mul_lo_u32 v9, s5, v8
	s_nop 0
	v_cndmask_b32_e64 v2, v2, v4, s[6:7]
	v_cndmask_b32_e64 v3, v3, v5, s[6:7]
	v_add_u32_e32 v4, 1, v2
	v_cmp_ge_u32_e64 s[6:7], v3, v1
	s_nop 1
	v_cndmask_b32_e64 v2, v2, v4, s[6:7]
	v_mul_lo_u32 v94, v2, 13
	v_mul_lo_u32 v1, v2, v1
	v_mul_hi_i32 v3, v94, s43
	v_mul_lo_u32 v2, v94, s43
	v_sub_u32_e32 v18, s3, v1
	v_lshlrev_b64 v[2:3], 2, v[2:3]
	v_add_u32_e32 v1, v17, v94
	v_lshl_add_u64 v[2:3], s[8:9], 0, v[2:3]
	v_cmp_gt_i32_e64 s[6:7], s38, v16
	v_cmp_gt_i32_e64 s[24:25], s37, v1
	v_mov_b32_e32 v1, 0
	s_and_saveexec_b64 s[14:15], s[24:25]
	s_cbranch_execz .LBB121_10
; %bb.3:
	v_mov_b32_e32 v1, 0
	s_and_saveexec_b64 s[16:17], s[6:7]
	s_cbranch_execz .LBB121_9
; %bb.4:
	v_mul_lo_u32 v4, v17, s43
	v_ashrrev_i32_e32 v5, 31, v4
	v_mov_b32_e32 v1, 0x100
	v_lshl_add_u64 v[4:5], v[4:5], 2, v[2:3]
	v_lshl_add_u32 v10, v17, 2, v1
	v_mul_lo_u32 v6, v16, s42
	s_lshl_b32 s3, s42, 6
	v_mov_b32_e32 v1, 0
	s_mov_b64 s[18:19], 0
	v_mov_b32_e32 v11, v16
	s_branch .LBB121_6
.LBB121_5:                              ;   in Loop: Header=BB121_6 Depth=1
	s_or_b64 exec, exec, s[20:21]
	v_add_u32_e32 v11, 64, v11
	v_cmp_le_i32_e64 s[10:11], s38, v11
	s_xor_b64 s[8:9], s[8:9], -1
	s_or_b64 s[8:9], s[8:9], s[10:11]
	s_and_b64 s[8:9], exec, s[8:9]
	s_or_b64 s[18:19], s[8:9], s[18:19]
	v_add_u32_e32 v6, s3, v6
	s_andn2_b64 exec, exec, s[18:19]
	s_cbranch_execz .LBB121_8
.LBB121_6:                              ; =>This Inner Loop Header: Depth=1
	v_ashrrev_i32_e32 v7, 31, v6
	v_lshl_add_u64 v[12:13], v[6:7], 2, v[4:5]
	global_load_dword v7, v[12:13], off
	s_waitcnt vmcnt(0)
	v_cmp_ne_u32_e64 s[8:9], v7, v18
	v_cmp_eq_u32_e64 s[10:11], v7, v18
	s_and_saveexec_b64 s[20:21], s[10:11]
	s_cbranch_execz .LBB121_5
; %bb.7:                                ;   in Loop: Header=BB121_6 Depth=1
	v_mov_b32_e32 v1, 1
	ds_write_b32 v10, v11
	s_branch .LBB121_5
.LBB121_8:
	s_or_b64 exec, exec, s[18:19]
.LBB121_9:
	s_or_b64 exec, exec, s[16:17]
.LBB121_10:
	s_or_b64 exec, exec, s[14:15]
	v_mul_hi_u32 v4, v8, v9
	s_and_saveexec_b64 s[8:9], vcc
; %bb.11:
	v_mov_b32_e32 v5, 0x100
	v_lshl_add_u32 v5, v17, 2, v5
	v_mov_b32_e32 v6, -1
	ds_write_b32 v5, v6 offset:32
; %bb.12:
	s_or_b64 exec, exec, s[8:9]
	s_load_dwordx4 s[28:31], s[0:1], 0x54
	v_add_u32_e32 v95, 8, v17
	s_abs_i32 s3, s22
	v_add_u32_e32 v6, v8, v4
	v_add_u32_e32 v4, v95, v94
	v_cmp_gt_i32_e64 s[10:11], s37, v4
	s_mov_b64 s[8:9], exec
                                        ; implicit-def: $vgpr109 : SGPR spill to VGPR lane
	s_nop 0
	v_writelane_b32 v109, s10, 0
	s_nop 1
	v_writelane_b32 v109, s11, 1
	s_and_b64 s[10:11], s[8:9], s[10:11]
	s_mov_b64 exec, s[10:11]
	s_cbranch_execz .LBB121_20
; %bb.13:
	s_and_saveexec_b64 s[10:11], s[6:7]
	s_cbranch_execz .LBB121_19
; %bb.14:
	v_mul_lo_u32 v4, v95, s43
	v_ashrrev_i32_e32 v5, 31, v4
	v_lshl_add_u64 v[2:3], v[4:5], 2, v[2:3]
	v_mov_b32_e32 v4, 0x100
	v_lshl_add_u32 v7, v17, 2, v4
	v_mul_lo_u32 v4, v16, s42
	s_lshl_b32 s5, s42, 6
	s_mov_b64 s[14:15], 0
	v_mov_b32_e32 v8, v16
	s_branch .LBB121_16
.LBB121_15:                             ;   in Loop: Header=BB121_16 Depth=1
	s_or_b64 exec, exec, s[16:17]
	v_add_u32_e32 v8, 64, v8
	v_cmp_le_i32_e64 s[6:7], s38, v8
	s_xor_b64 s[16:17], vcc, -1
	s_or_b64 s[6:7], s[16:17], s[6:7]
	s_and_b64 s[6:7], exec, s[6:7]
	s_or_b64 s[14:15], s[6:7], s[14:15]
	v_add_u32_e32 v4, s5, v4
	s_andn2_b64 exec, exec, s[14:15]
	s_cbranch_execz .LBB121_18
.LBB121_16:                             ; =>This Inner Loop Header: Depth=1
	v_ashrrev_i32_e32 v5, 31, v4
	v_lshl_add_u64 v[10:11], v[4:5], 2, v[2:3]
	global_load_dword v5, v[10:11], off
	s_waitcnt vmcnt(0)
	v_cmp_ne_u32_e32 vcc, v5, v18
	v_cmp_eq_u32_e64 s[6:7], v5, v18
	s_and_saveexec_b64 s[16:17], s[6:7]
	s_cbranch_execz .LBB121_15
; %bb.17:                               ;   in Loop: Header=BB121_16 Depth=1
	v_mov_b32_e32 v1, 1
	ds_write_b32 v7, v8 offset:32
	s_branch .LBB121_15
.LBB121_18:
	s_or_b64 exec, exec, s[14:15]
.LBB121_19:
	s_or_b64 exec, exec, s[10:11]
.LBB121_20:
	s_or_b64 exec, exec, s[8:9]
	s_load_dwordx2 s[6:7], s[12:13], 0xc
	s_load_dwordx2 s[8:9], s[0:1], 0x8
	;; [unrolled: 1-line block ×3, first 2 shown]
	v_or_b32_dpp v1, v1, v1 row_shl:1 row_mask:0xf bank_mask:0xf bound_ctrl:1
	v_mul_hi_u32 v19, s3, v6
	s_waitcnt lgkmcnt(0)
	s_and_b32 s5, s7, 0xffff
	s_lshr_b32 s7, s6, 16
	v_writelane_b32 v109, s10, 2
	s_and_b32 s6, s6, 0xffff
	v_or_b32_dpp v1, v1, v1 row_shl:2 row_mask:0xf bank_mask:0xf bound_ctrl:1
	v_writelane_b32 v109, s11, 3
	s_mul_i32 s10, s7, s6
	v_or_b32_dpp v1, v1, v1 row_shl:4 row_mask:0xf bank_mask:0xf bound_ctrl:1
	s_bfe_i32 s10, s10, 0x180000
	s_mul_i32 s5, s10, s5
	v_or_b32_dpp v1, v1, v1 row_shl:8 row_mask:0xf bank_mask:0xf bound_ctrl:1
	s_add_i32 s10, s5, 63
	s_bitcmp1_b32 exec_hi, 0
	v_mov_b32_dpp v2, v1 wave_shl:1 row_mask:0xf bank_mask:0xf bound_ctrl:1
                                        ; kill: killed $sgpr12 killed $sgpr13
	s_nop 1
	v_or_b32_dpp v1, v2, v1 row_mirror row_mask:0xf bank_mask:0xf bound_ctrl:1
	s_nop 0
	v_readlane_b32 s5, v1, 32
	s_cselect_b32 s5, s5, 0
	v_readlane_b32 s11, v1, 0
	s_or_b32 s5, s5, s11
	s_andn2_b32 s10, s10, 63
	s_cmp_lg_u32 s10, 64
	v_mov_b32_e32 v1, s5
	s_cbranch_scc0 .LBB121_27
; %bb.21:
	v_bfe_u32 v0, v0, 20, 10
	v_mbcnt_lo_u32_b32 v1, -1, 0
	v_mad_u32_u24 v0, v0, s7, v17
	v_mbcnt_hi_u32_b32 v2, -1, v1
	v_mad_u64_u32 v[0:1], s[6:7], v0, s6, v[16:17]
	v_lshrrev_b32_e32 v1, 6, v0
	v_or_b32_e32 v1, v2, v1
	v_cmp_eq_u32_e32 vcc, 0, v1
	s_and_saveexec_b64 s[6:7], vcc
; %bb.22:
	v_mov_b32_e32 v1, 0
	v_mov_b32_e32 v3, s5
	ds_write_b32 v1, v3
; %bb.23:
	s_or_b64 exec, exec, s[6:7]
	v_cmp_eq_u32_e32 vcc, 0, v2
	v_cmp_lt_u32_e64 s[6:7], 63, v0
	s_and_b64 s[10:11], s[6:7], vcc
	s_waitcnt lgkmcnt(0)
	s_barrier
	s_and_saveexec_b64 s[6:7], s[10:11]
	s_cbranch_execz .LBB121_26
; %bb.24:
	v_mbcnt_lo_u32_b32 v0, exec_lo, 0
	v_mbcnt_hi_u32_b32 v0, exec_hi, v0
	v_cmp_eq_u32_e32 vcc, 0, v0
	s_and_b64 exec, exec, vcc
; %bb.25:
	v_mov_b32_e32 v0, 0
	v_mov_b32_e32 v1, s5
	ds_or_b32 v0, v1
.LBB121_26:
	s_or_b64 exec, exec, s[6:7]
	v_mov_b32_e32 v0, 0
	s_waitcnt lgkmcnt(0)
	s_barrier
	ds_read_b32 v1, v0
	s_waitcnt lgkmcnt(0)
	s_barrier
.LBB121_27:
	s_load_dwordx2 s[0:1], s[0:1], 0x0
	v_cmp_ne_u32_e32 vcc, 0, v1
	s_ashr_i32 s5, s22, 31
	s_ashr_i32 s10, s47, 31
	s_cbranch_vccz .LBB121_93
; %bb.28:
	v_lshlrev_b32_e32 v96, 6, v17
	v_add_u32_e32 v98, v96, v16
	v_cmp_le_i32_e32 vcc, s36, v98
	v_and_b32_e32 v97, 15, v16
	s_and_saveexec_b64 s[6:7], vcc
	s_xor_b64 s[6:7], exec, s[6:7]
; %bb.29:
	v_and_b32_e32 v97, 15, v16
                                        ; implicit-def: $vgpr98
                                        ; implicit-def: $vgpr19
                                        ; implicit-def: $vgpr18
; %bb.30:
	s_or_saveexec_b64 s[12:13], s[6:7]
	v_mov_b32_e32 v7, 0
	s_lshl_b32 s6, s2, 6
	v_mov_b32_e32 v6, v7
	v_mov_b32_e32 v5, v7
	;; [unrolled: 1-line block ×15, first 2 shown]
	v_writelane_b32 v109, s12, 4
	s_nop 1
	v_writelane_b32 v109, s13, 5
	s_xor_b64 exec, exec, s[12:13]
	s_cbranch_execz .LBB121_86
; %bb.31:
	v_mul_lo_u32 v0, v19, s4
	v_sub_u32_e32 v0, s3, v0
	v_add_u32_e32 v1, 1, v19
	v_subrev_u32_e32 v2, s4, v0
	v_cmp_le_u32_e32 vcc, s4, v0
	s_xor_b32 s2, s5, s10
	v_writelane_b32 v109, s24, 6
	v_cndmask_b32_e32 v1, v19, v1, vcc
	v_cndmask_b32_e32 v0, v0, v2, vcc
	v_add_u32_e32 v2, 1, v1
	v_cmp_le_u32_e32 vcc, s4, v0
	v_writelane_b32 v109, s25, 7
	v_writelane_b32 v109, s6, 8
	v_cndmask_b32_e32 v0, v1, v2, vcc
	v_xor_b32_e32 v0, s2, v0
	v_subrev_u32_e32 v0, s2, v0
	v_mul_hi_i32 v1, v0, s28
	v_mul_lo_u32 v0, v0, s28
	v_mul_lo_u32 v2, v18, s44
	v_ashrrev_i32_e32 v3, 31, v2
	s_mul_i32 s2, s39, s6
	v_lshlrev_b64 v[0:1], 2, v[0:1]
	s_movk_i32 s4, 0x1080
	v_mov_b32_e32 v99, 0x100
	v_writelane_b32 v109, s22, 9
	s_waitcnt lgkmcnt(0)
	v_lshl_add_u64 v[4:5], s[0:1], 0, v[0:1]
	v_lshlrev_b64 v[2:3], 2, v[2:3]
	s_ashr_i32 s3, s2, 31
	v_mad_u32_u24 v6, v17, s4, v99
	s_mul_hi_i32 s5, s29, s22
	v_writelane_b32 v109, s28, 10
	s_mul_i32 s4, s29, s22
	v_lshl_add_u64 v[4:5], v[4:5], 0, v[2:3]
	s_lshl_b64 s[2:3], s[2:3], 2
	s_lshl_b64 s[4:5], s[4:5], 2
	v_lshl_add_u64 v[18:19], v[4:5], 0, s[2:3]
	v_writelane_b32 v109, s29, 11
	v_mul_hi_i32 v5, s40, v94
	v_mul_lo_u32 v4, s40, v94
	s_add_u32 s4, s8, s4
	v_writelane_b32 v109, s30, 12
	v_lshlrev_b64 v[4:5], 3, v[4:5]
	s_addc_u32 s5, s9, s5
	v_writelane_b32 v109, s31, 13
	v_lshl_add_u64 v[20:21], s[4:5], 0, v[4:5]
	s_lshl_b32 s4, s40, 3
	v_writelane_b32 v109, s4, 14
	s_mul_i32 s4, s40, 6
	v_writelane_b32 v109, s4, 15
	s_lshl_b32 s4, s40, 4
	v_writelane_b32 v109, s4, 16
	s_mul_i32 s4, s40, 10
	v_writelane_b32 v109, s4, 17
	s_mul_i32 s4, s40, 12
	;; [unrolled: 2-line block ×3, first 2 shown]
	v_lshl_add_u64 v[0:1], v[0:1], 0, s[2:3]
	v_writelane_b32 v109, s4, 19
	s_mul_i32 s4, s40, 22
	v_lshrrev_b32_e32 v5, 1, v16
	v_lshl_add_u64 v[0:1], v[0:1], 0, v[2:3]
	v_writelane_b32 v109, s4, 20
	s_mul_i32 s4, s40, 20
	v_mul_u32_u24_e32 v4, 0x108, v97
	v_and_b32_e32 v5, 0x1f8, v5
	v_add_u32_e32 v26, 1, v94
	v_add_u32_e32 v27, 2, v94
	s_lshl_b32 s38, s40, 2
	v_add_u32_e32 v28, 3, v94
	v_add_u32_e32 v29, 4, v94
	;; [unrolled: 1-line block ×10, first 2 shown]
	s_ashr_i32 s7, s39, 31
	s_mov_b32 s6, s39
	v_lshl_add_u64 v[0:1], s[0:1], 0, v[0:1]
	v_lshlrev_b32_e32 v2, 1, v16
	v_lshlrev_b32_e32 v22, 2, v98
	v_mov_b32_e32 v23, 0
	v_writelane_b32 v109, s4, 21
	s_mul_i32 s4, s40, 18
	v_lshl_add_u32 v100, v16, 2, v6
	v_add3_u32 v101, v6, v4, v5
	s_add_i32 s54, s39, s39
	s_mul_i32 s55, s39, 3
	s_lshl_b32 s56, s39, 2
	s_mul_i32 s57, s39, 5
	s_mul_i32 s58, s39, 6
	;; [unrolled: 1-line block ×3, first 2 shown]
	s_lshl_b32 s60, s39, 3
	s_mul_i32 s61, s39, 9
	s_mul_i32 s62, s39, 10
	;; [unrolled: 1-line block ×7, first 2 shown]
	s_lshl_b32 s68, s39, 4
	s_mul_i32 s69, s39, 17
	s_mul_i32 s70, s39, 18
	;; [unrolled: 1-line block ×15, first 2 shown]
	s_lshl_b32 s84, s39, 5
	s_mul_i32 s85, s39, 33
	s_mul_i32 s86, s39, 34
	;; [unrolled: 1-line block ×17, first 2 shown]
	v_cmp_gt_i32_e64 s[0:1], s37, v94
	s_mul_i32 s53, s39, 50
	s_mul_i32 s34, s39, 51
	v_lshl_add_u32 v102, v17, 7, v2
	s_lshl_b64 s[2:3], s[6:7], 2
	v_lshl_add_u64 v[24:25], v[0:1], 0, v[22:23]
	v_mov_b32_e32 v12, 0
	v_mov_b32_e32 v13, v23
	;; [unrolled: 1-line block ×16, first 2 shown]
	s_mul_i32 s35, s39, 52
	s_mul_i32 s42, s39, 53
	;; [unrolled: 1-line block ×12, first 2 shown]
	v_writelane_b32 v109, s4, 22
	s_mul_i32 s4, s40, 14
	s_lshl_b32 s40, s40, 1
	v_cmp_gt_i32_e64 s[6:7], s37, v26
	v_cmp_gt_i32_e64 s[8:9], s37, v27
	;; [unrolled: 1-line block ×12, first 2 shown]
	s_mov_b32 s37, s38
	s_mov_b64 s[38:39], 0
	s_branch .LBB121_34
.LBB121_32:                             ;   in Loop: Header=BB121_34 Depth=1
	v_mul_lo_u32 v22, v22, s45
	v_readlane_b32 vcc_lo, v109, 19
	s_nop 1
	v_add_u32_e32 v22, vcc_lo, v22
	v_add_u32_e32 v90, v22, v102
	v_ashrrev_i32_e32 v91, 31, v90
	v_lshl_add_u64 v[90:91], v[90:91], 2, v[20:21]
	global_load_dwordx2 v[90:91], v[90:91], off
.LBB121_33:                             ;   in Loop: Header=BB121_34 Depth=1
	s_waitcnt vmcnt(0)
	v_cvt_pk_f16_f32 v22, v90, v91
	v_add_u32_e32 v90, 0xc00, v100
	ds_write2_b32 v90, v22, v23 offset0:40 offset1:106
	ds_write2_b32 v90, v23, v23 offset0:172 offset1:238
	ds_read2_b64 v[90:93], v101 offset0:8 offset1:12
	v_add_u32_e32 v98, 0x200, v98
	s_mov_b64 vcc, 0x800
	v_lshl_add_u64 v[24:25], v[24:25], 0, vcc
	s_waitcnt lgkmcnt(0)
	v_mfma_f32_16x16x16_f16 v[0:3], v[58:59], v[90:91], v[0:3]
	v_cmp_le_i32_e32 vcc, s36, v98
	v_add_u32_e32 v102, 0x400, v102
	s_or_b64 s[38:39], vcc, s[38:39]
	v_mfma_f32_16x16x16_f16 v[4:7], v[42:43], v[90:91], v[4:7]
	v_mfma_f32_16x16x16_f16 v[8:11], v[74:75], v[90:91], v[8:11]
	v_mfma_f32_16x16x16_f16 v[12:15], v[88:89], v[90:91], v[12:15]
	v_mfma_f32_16x16x16_f16 v[0:3], v[56:57], v[92:93], v[0:3]
	ds_read2_b64 v[56:59], v101 offset0:16 offset1:20
	v_mfma_f32_16x16x16_f16 v[4:7], v[38:39], v[92:93], v[4:7]
	v_mfma_f32_16x16x16_f16 v[8:11], v[72:73], v[92:93], v[8:11]
	v_mfma_f32_16x16x16_f16 v[12:15], v[86:87], v[92:93], v[12:15]
	s_waitcnt lgkmcnt(0)
	v_mfma_f32_16x16x16_f16 v[4:7], v[36:37], v[56:57], v[4:7]
	v_mfma_f32_16x16x16_f16 v[0:3], v[54:55], v[56:57], v[0:3]
	v_mfma_f32_16x16x16_f16 v[8:11], v[70:71], v[56:57], v[8:11]
	v_mfma_f32_16x16x16_f16 v[12:15], v[82:83], v[56:57], v[12:15]
	v_mfma_f32_16x16x16_f16 v[4:7], v[34:35], v[58:59], v[4:7]
	ds_read2_b64 v[34:37], v101 offset0:24 offset1:28
	v_mfma_f32_16x16x16_f16 v[0:3], v[52:53], v[58:59], v[0:3]
	v_mfma_f32_16x16x16_f16 v[8:11], v[68:69], v[58:59], v[8:11]
	v_mfma_f32_16x16x16_f16 v[12:15], v[78:79], v[58:59], v[12:15]
	s_waitcnt lgkmcnt(0)
	v_mfma_f32_16x16x16_f16 v[4:7], v[32:33], v[34:35], v[4:7]
	;; [unrolled: 10-line block ×3, first 2 shown]
	v_mfma_f32_16x16x16_f16 v[0:3], v[46:47], v[30:31], v[0:3]
	v_mfma_f32_16x16x16_f16 v[8:11], v[60:61], v[30:31], v[8:11]
	;; [unrolled: 1-line block ×7, first 2 shown]
	s_andn2_b64 exec, exec, s[38:39]
	s_cbranch_execz .LBB121_85
.LBB121_34:                             ; =>This Inner Loop Header: Depth=1
	v_lshl_add_u64 v[26:27], v[24:25], 0, s[2:3]
	global_load_dword v22, v[24:25], off
	global_load_dword v52, v[26:27], off
	v_add_u32_e32 v26, s54, v98
	v_ashrrev_i32_e32 v27, 31, v26
	v_add_u32_e32 v28, s55, v98
	v_add_u32_e32 v30, s56, v98
	;; [unrolled: 1-line block ×5, first 2 shown]
	v_lshl_add_u64 v[26:27], v[26:27], 2, v[18:19]
	v_ashrrev_i32_e32 v29, 31, v28
	v_ashrrev_i32_e32 v31, 31, v30
	;; [unrolled: 1-line block ×5, first 2 shown]
	v_lshl_add_u64 v[28:29], v[28:29], 2, v[18:19]
	v_lshl_add_u64 v[30:31], v[30:31], 2, v[18:19]
	;; [unrolled: 1-line block ×5, first 2 shown]
	global_load_dword v53, v[26:27], off
	global_load_dword v54, v[28:29], off
	;; [unrolled: 1-line block ×6, first 2 shown]
	v_add_u32_e32 v26, s60, v98
	v_add_u32_e32 v44, s69, v98
	;; [unrolled: 1-line block ×10, first 2 shown]
	v_ashrrev_i32_e32 v27, 31, v26
	v_ashrrev_i32_e32 v45, 31, v44
	;; [unrolled: 1-line block ×10, first 2 shown]
	v_lshl_add_u64 v[26:27], v[26:27], 2, v[18:19]
	v_lshl_add_u64 v[44:45], v[44:45], 2, v[18:19]
	v_add_u32_e32 v46, s70, v98
	v_add_u32_e32 v48, s71, v98
	v_add_u32_e32 v50, s72, v98
	v_lshl_add_u64 v[28:29], v[28:29], 2, v[18:19]
	v_lshl_add_u64 v[30:31], v[30:31], 2, v[18:19]
	;; [unrolled: 1-line block ×8, first 2 shown]
	global_load_dword v59, v[26:27], off
	global_load_dword v60, v[28:29], off
	;; [unrolled: 1-line block ×9, first 2 shown]
	s_nop 0
	global_load_dword v44, v[44:45], off
	v_add_u32_e32 v26, s73, v98
	v_ashrrev_i32_e32 v47, 31, v46
	v_ashrrev_i32_e32 v49, 31, v48
	;; [unrolled: 1-line block ×4, first 2 shown]
	v_add_u32_e32 v28, s74, v98
	v_add_u32_e32 v30, s75, v98
	;; [unrolled: 1-line block ×4, first 2 shown]
	v_lshl_add_u64 v[46:47], v[46:47], 2, v[18:19]
	v_lshl_add_u64 v[48:49], v[48:49], 2, v[18:19]
	;; [unrolled: 1-line block ×4, first 2 shown]
	v_ashrrev_i32_e32 v29, 31, v28
	v_ashrrev_i32_e32 v31, 31, v30
	;; [unrolled: 1-line block ×4, first 2 shown]
	v_lshl_add_u64 v[28:29], v[28:29], 2, v[18:19]
	v_lshl_add_u64 v[30:31], v[30:31], 2, v[18:19]
	;; [unrolled: 1-line block ×4, first 2 shown]
	v_add_u32_e32 v36, s83, v98
	v_add_u32_e32 v38, s84, v98
	v_add_u32_e32 v40, s85, v98
	v_ashrrev_i32_e32 v37, 31, v36
	v_ashrrev_i32_e32 v39, 31, v38
	;; [unrolled: 1-line block ×3, first 2 shown]
	v_lshl_add_u64 v[36:37], v[36:37], 2, v[18:19]
	s_waitcnt vmcnt(17)
	ds_write_b32 v100, v22 offset:64
	s_waitcnt vmcnt(16)
	ds_write_b32 v100, v52 offset:328
	;; [unrolled: 2-line block ×8, first 2 shown]
	global_load_dword v22, v[46:47], off
	global_load_dword v45, v[48:49], off
	s_nop 0
	global_load_dword v46, v[50:51], off
	global_load_dword v47, v[26:27], off
	;; [unrolled: 1-line block ×4, first 2 shown]
	s_nop 0
	global_load_dword v50, v[32:33], off
	global_load_dword v51, v[34:35], off
	v_add_u32_e32 v26, s78, v98
	v_ashrrev_i32_e32 v27, 31, v26
	v_add_u32_e32 v28, s79, v98
	v_add_u32_e32 v30, s80, v98
	;; [unrolled: 1-line block ×4, first 2 shown]
	v_lshl_add_u64 v[26:27], v[26:27], 2, v[18:19]
	v_ashrrev_i32_e32 v29, 31, v28
	v_ashrrev_i32_e32 v31, 31, v30
	;; [unrolled: 1-line block ×4, first 2 shown]
	v_lshl_add_u64 v[28:29], v[28:29], 2, v[18:19]
	v_lshl_add_u64 v[30:31], v[30:31], 2, v[18:19]
	v_lshl_add_u64 v[32:33], v[32:33], 2, v[18:19]
	v_lshl_add_u64 v[34:35], v[34:35], 2, v[18:19]
	v_lshl_add_u64 v[38:39], v[38:39], 2, v[18:19]
	v_lshl_add_u64 v[40:41], v[40:41], 2, v[18:19]
	global_load_dword v52, v[26:27], off
	global_load_dword v53, v[28:29], off
	global_load_dword v54, v[30:31], off
	global_load_dword v55, v[32:33], off
	global_load_dword v56, v[34:35], off
	global_load_dword v57, v[36:37], off
	global_load_dword v68, v[38:39], off
	global_load_dword v69, v[40:41], off
	v_add_u32_e32 v26, s86, v98
	v_ashrrev_i32_e32 v27, 31, v26
	v_add_u32_e32 v28, s87, v98
	v_add_u32_e32 v30, s88, v98
	v_add_u32_e32 v32, s89, v98
	v_add_u32_e32 v34, s90, v98
	v_add_u32_e32 v36, s91, v98
	v_add_u32_e32 v38, s92, v98
	v_add_u32_e32 v40, s93, v98
	v_lshl_add_u64 v[26:27], v[26:27], 2, v[18:19]
	v_ashrrev_i32_e32 v29, 31, v28
	v_ashrrev_i32_e32 v31, 31, v30
	v_ashrrev_i32_e32 v33, 31, v32
	v_ashrrev_i32_e32 v35, 31, v34
	v_ashrrev_i32_e32 v37, 31, v36
	v_ashrrev_i32_e32 v39, 31, v38
	v_ashrrev_i32_e32 v41, 31, v40
	v_lshl_add_u64 v[28:29], v[28:29], 2, v[18:19]
	v_lshl_add_u64 v[30:31], v[30:31], 2, v[18:19]
	v_lshl_add_u64 v[32:33], v[32:33], 2, v[18:19]
	v_lshl_add_u64 v[34:35], v[34:35], 2, v[18:19]
	v_lshl_add_u64 v[36:37], v[36:37], 2, v[18:19]
	v_lshl_add_u64 v[38:39], v[38:39], 2, v[18:19]
	v_lshl_add_u64 v[40:41], v[40:41], 2, v[18:19]
	global_load_dword v70, v[26:27], off
	global_load_dword v71, v[28:29], off
	global_load_dword v72, v[30:31], off
	global_load_dword v73, v[32:33], off
	global_load_dword v74, v[34:35], off
	global_load_dword v75, v[36:37], off
	global_load_dword v76, v[38:39], off
	global_load_dword v77, v[40:41], off
	v_add_u32_e32 v26, s94, v98
	v_ashrrev_i32_e32 v27, 31, v26
	v_add_u32_e32 v28, s95, v98
	v_add_u32_e32 v30, s96, v98
	v_add_u32_e32 v32, s97, v98
	v_add_u32_e32 v34, s98, v98
	v_add_u32_e32 v36, s99, v98
	v_add_u32_e32 v38, s5, v98
	v_add_u32_e32 v40, s52, v98
	v_lshl_add_u64 v[26:27], v[26:27], 2, v[18:19]
	v_ashrrev_i32_e32 v29, 31, v28
	v_ashrrev_i32_e32 v31, 31, v30
	v_ashrrev_i32_e32 v33, 31, v32
	v_ashrrev_i32_e32 v35, 31, v34
	v_ashrrev_i32_e32 v37, 31, v36
	v_ashrrev_i32_e32 v39, 31, v38
	v_ashrrev_i32_e32 v41, 31, v40
	v_lshl_add_u64 v[28:29], v[28:29], 2, v[18:19]
	;; [unrolled: 32-line block ×3, first 2 shown]
	v_lshl_add_u64 v[30:31], v[30:31], 2, v[18:19]
	v_lshl_add_u64 v[32:33], v[32:33], 2, v[18:19]
	;; [unrolled: 1-line block ×6, first 2 shown]
	global_load_dword v86, v[26:27], off
	global_load_dword v87, v[28:29], off
	;; [unrolled: 1-line block ×8, first 2 shown]
	v_add_u32_e32 v26, s33, v98
	v_ashrrev_i32_e32 v27, 31, v26
	v_add_u32_e32 v28, s44, v98
	v_add_u32_e32 v30, s47, v98
	;; [unrolled: 1-line block ×5, first 2 shown]
	v_lshl_add_u64 v[26:27], v[26:27], 2, v[18:19]
	v_ashrrev_i32_e32 v29, 31, v28
	v_ashrrev_i32_e32 v31, 31, v30
	;; [unrolled: 1-line block ×5, first 2 shown]
	v_lshl_add_u64 v[28:29], v[28:29], 2, v[18:19]
	v_lshl_add_u64 v[30:31], v[30:31], 2, v[18:19]
	;; [unrolled: 1-line block ×5, first 2 shown]
	global_load_dword v103, v[26:27], off
	global_load_dword v104, v[28:29], off
	;; [unrolled: 1-line block ×6, first 2 shown]
	s_waitcnt vmcnt(55)
	ds_write_b32 v100, v59 offset:2176
	s_waitcnt vmcnt(54)
	ds_write_b32 v100, v60 offset:2440
	s_waitcnt vmcnt(53)
	ds_write_b32 v100, v61 offset:2704
	s_waitcnt vmcnt(52)
	ds_write_b32 v100, v62 offset:2968
	s_waitcnt vmcnt(51)
	ds_write_b32 v100, v63 offset:3232
	s_waitcnt vmcnt(50)
	ds_write_b32 v100, v64 offset:3496
	s_waitcnt vmcnt(49)
	ds_write_b32 v100, v65 offset:3760
	s_waitcnt vmcnt(48)
	ds_write_b32 v100, v66 offset:4024
	ds_read_b64 v[42:43], v101 offset:64
	ds_read_b64 v[38:39], v101 offset:96
	ds_read_b64 v[36:37], v101 offset:128
	ds_read_b64 v[34:35], v101 offset:160
	ds_read_b64 v[32:33], v101 offset:192
	ds_read_b64 v[30:31], v101 offset:224
	ds_read_b64 v[28:29], v101 offset:256
	ds_read_b64 v[26:27], v101 offset:288
	s_waitcnt vmcnt(47)
	ds_write_b32 v100, v67 offset:64
	s_waitcnt vmcnt(46)
	ds_write_b32 v100, v44 offset:328
	s_waitcnt vmcnt(45)
	ds_write_b32 v100, v22 offset:592
	s_waitcnt vmcnt(44)
	ds_write_b32 v100, v45 offset:856
	s_waitcnt vmcnt(43)
	ds_write_b32 v100, v46 offset:1120
	s_waitcnt vmcnt(42)
	ds_write_b32 v100, v47 offset:1384
	s_waitcnt vmcnt(41)
	ds_write_b32 v100, v48 offset:1648
	s_waitcnt vmcnt(40)
	ds_write_b32 v100, v49 offset:1912
	s_waitcnt vmcnt(39)
	ds_write_b32 v100, v50 offset:2176
	s_waitcnt vmcnt(38)
	ds_write_b32 v100, v51 offset:2440
	s_waitcnt vmcnt(37)
	ds_write_b32 v100, v52 offset:2704
	s_waitcnt vmcnt(36)
	ds_write_b32 v100, v53 offset:2968
	s_waitcnt vmcnt(35)
	ds_write_b32 v100, v54 offset:3232
	s_waitcnt vmcnt(34)
	ds_write_b32 v100, v55 offset:3496
	s_waitcnt vmcnt(33)
	ds_write_b32 v100, v56 offset:3760
	s_waitcnt vmcnt(32)
	ds_write_b32 v100, v57 offset:4024
	ds_read_b64 v[58:59], v101 offset:64
	ds_read_b64 v[56:57], v101 offset:96
	ds_read_b64 v[54:55], v101 offset:128
	ds_read_b64 v[52:53], v101 offset:160
	ds_read_b64 v[50:51], v101 offset:192
	ds_read_b64 v[48:49], v101 offset:224
	ds_read_b64 v[46:47], v101 offset:256
	ds_read_b64 v[40:41], v101 offset:288
	s_waitcnt vmcnt(31)
	ds_write_b32 v100, v68 offset:64
	s_waitcnt vmcnt(30)
	ds_write_b32 v100, v69 offset:328
	s_waitcnt vmcnt(29)
	ds_write_b32 v100, v70 offset:592
	s_waitcnt vmcnt(28)
	ds_write_b32 v100, v71 offset:856
	s_waitcnt vmcnt(27)
	ds_write_b32 v100, v72 offset:1120
	s_waitcnt vmcnt(26)
	ds_write_b32 v100, v73 offset:1384
	s_waitcnt vmcnt(25)
	ds_write_b32 v100, v74 offset:1648
	s_waitcnt vmcnt(24)
	ds_write_b32 v100, v75 offset:1912
	;; [unrolled: 40-line block ×3, first 2 shown]
	s_waitcnt vmcnt(7)
	ds_write_b32 v100, v92 offset:2176
	s_waitcnt vmcnt(6)
	ds_write_b32 v100, v93 offset:2440
	;; [unrolled: 2-line block ×8, first 2 shown]
	ds_read_b64 v[88:89], v101 offset:64
	ds_read_b64 v[86:87], v101 offset:96
	;; [unrolled: 1-line block ×8, first 2 shown]
	s_andn2_b64 vcc, exec, s[0:1]
	v_mov_b32_e32 v90, 0
	v_mov_b32_e32 v91, 0
	s_cbranch_vccnz .LBB121_38
; %bb.35:                               ;   in Loop: Header=BB121_34 Depth=1
	ds_read_b32 v22, v99
	s_waitcnt lgkmcnt(0)
	v_cmp_gt_i32_e32 vcc, 0, v22
	s_cbranch_vccnz .LBB121_37
; %bb.36:                               ;   in Loop: Header=BB121_34 Depth=1
	v_mul_lo_u32 v22, v22, s45
	v_add_u32_e32 v90, v102, v22
	v_ashrrev_i32_e32 v91, 31, v90
	v_lshl_add_u64 v[90:91], v[90:91], 2, v[20:21]
	global_load_dwordx2 v[90:91], v[90:91], off
	s_branch .LBB121_38
.LBB121_37:                             ;   in Loop: Header=BB121_34 Depth=1
	v_mov_b32_e32 v90, 0
	v_mov_b32_e32 v91, 0
.LBB121_38:                             ;   in Loop: Header=BB121_34 Depth=1
	s_waitcnt vmcnt(0)
	v_cvt_pk_f16_f32 v22, v90, v91
	v_mov_b32_e32 v90, 0
	s_andn2_b64 vcc, exec, s[6:7]
	v_mov_b32_e32 v92, 0
	v_mov_b32_e32 v93, 0
	ds_write_b32 v100, v22 offset:64
	s_cbranch_vccnz .LBB121_42
; %bb.39:                               ;   in Loop: Header=BB121_34 Depth=1
	ds_read_b32 v22, v99 offset:4
	s_waitcnt lgkmcnt(0)
	v_cmp_gt_i32_e32 vcc, 0, v22
	s_cbranch_vccnz .LBB121_41
; %bb.40:                               ;   in Loop: Header=BB121_34 Depth=1
	v_mul_lo_u32 v22, v22, s45
	v_add_u32_e32 v22, s40, v22
	v_add_u32_e32 v92, v22, v102
	v_ashrrev_i32_e32 v93, 31, v92
	v_lshl_add_u64 v[92:93], v[92:93], 2, v[20:21]
	global_load_dwordx2 v[92:93], v[92:93], off
	s_branch .LBB121_42
.LBB121_41:                             ;   in Loop: Header=BB121_34 Depth=1
	v_mov_b32_e32 v92, 0
	v_mov_b32_e32 v93, 0
.LBB121_42:                             ;   in Loop: Header=BB121_34 Depth=1
	s_waitcnt vmcnt(0)
	v_cvt_pk_f16_f32 v22, v92, v93
	s_andn2_b64 vcc, exec, s[8:9]
	v_mov_b32_e32 v91, 0
	ds_write_b32 v100, v22 offset:328
	s_cbranch_vccnz .LBB121_46
; %bb.43:                               ;   in Loop: Header=BB121_34 Depth=1
	ds_read_b32 v22, v99 offset:8
	s_waitcnt lgkmcnt(0)
	v_cmp_gt_i32_e32 vcc, 0, v22
	s_cbranch_vccnz .LBB121_45
; %bb.44:                               ;   in Loop: Header=BB121_34 Depth=1
	v_mul_lo_u32 v22, v22, s45
	v_add_u32_e32 v22, s37, v22
	v_add_u32_e32 v90, v22, v102
	v_ashrrev_i32_e32 v91, 31, v90
	v_lshl_add_u64 v[90:91], v[90:91], 2, v[20:21]
	global_load_dwordx2 v[90:91], v[90:91], off
	s_branch .LBB121_46
.LBB121_45:                             ;   in Loop: Header=BB121_34 Depth=1
	v_mov_b32_e32 v90, 0
	v_mov_b32_e32 v91, 0
.LBB121_46:                             ;   in Loop: Header=BB121_34 Depth=1
	s_waitcnt vmcnt(0)
	v_cvt_pk_f16_f32 v22, v90, v91
	v_mov_b32_e32 v90, 0
	s_andn2_b64 vcc, exec, s[10:11]
	v_mov_b32_e32 v92, 0
	v_mov_b32_e32 v93, 0
	ds_write_b32 v100, v22 offset:592
	s_cbranch_vccnz .LBB121_50
; %bb.47:                               ;   in Loop: Header=BB121_34 Depth=1
	ds_read_b32 v22, v99 offset:12
	s_waitcnt lgkmcnt(0)
	v_cmp_gt_i32_e32 vcc, 0, v22
	s_cbranch_vccnz .LBB121_49
; %bb.48:                               ;   in Loop: Header=BB121_34 Depth=1
	v_mul_lo_u32 v22, v22, s45
	v_readlane_b32 vcc_lo, v109, 15
	s_nop 1
	v_add_u32_e32 v22, vcc_lo, v22
	v_add_u32_e32 v92, v22, v102
	v_ashrrev_i32_e32 v93, 31, v92
	v_lshl_add_u64 v[92:93], v[92:93], 2, v[20:21]
	global_load_dwordx2 v[92:93], v[92:93], off
	s_branch .LBB121_50
.LBB121_49:                             ;   in Loop: Header=BB121_34 Depth=1
	v_mov_b32_e32 v92, 0
	v_mov_b32_e32 v93, 0
.LBB121_50:                             ;   in Loop: Header=BB121_34 Depth=1
	s_waitcnt vmcnt(0)
	v_cvt_pk_f16_f32 v22, v92, v93
	s_andn2_b64 vcc, exec, s[12:13]
	v_mov_b32_e32 v91, 0
	ds_write_b32 v100, v22 offset:856
	s_cbranch_vccnz .LBB121_54
; %bb.51:                               ;   in Loop: Header=BB121_34 Depth=1
	ds_read_b32 v22, v99 offset:16
	s_waitcnt lgkmcnt(0)
	v_cmp_gt_i32_e32 vcc, 0, v22
	s_cbranch_vccnz .LBB121_53
; %bb.52:                               ;   in Loop: Header=BB121_34 Depth=1
	v_mul_lo_u32 v22, v22, s45
	v_readlane_b32 vcc_lo, v109, 14
	s_nop 1
	v_add_u32_e32 v22, vcc_lo, v22
	v_add_u32_e32 v90, v22, v102
	v_ashrrev_i32_e32 v91, 31, v90
	v_lshl_add_u64 v[90:91], v[90:91], 2, v[20:21]
	global_load_dwordx2 v[90:91], v[90:91], off
	s_branch .LBB121_54
.LBB121_53:                             ;   in Loop: Header=BB121_34 Depth=1
	v_mov_b32_e32 v90, 0
	v_mov_b32_e32 v91, 0
.LBB121_54:                             ;   in Loop: Header=BB121_34 Depth=1
	s_waitcnt vmcnt(0)
	v_cvt_pk_f16_f32 v22, v90, v91
	v_mov_b32_e32 v90, 0
	s_andn2_b64 vcc, exec, s[14:15]
	v_mov_b32_e32 v92, 0
	v_mov_b32_e32 v93, 0
	ds_write_b32 v100, v22 offset:1120
	s_cbranch_vccnz .LBB121_58
; %bb.55:                               ;   in Loop: Header=BB121_34 Depth=1
	ds_read_b32 v22, v99 offset:20
	s_waitcnt lgkmcnt(0)
	v_cmp_gt_i32_e32 vcc, 0, v22
	s_cbranch_vccnz .LBB121_57
; %bb.56:                               ;   in Loop: Header=BB121_34 Depth=1
	v_mul_lo_u32 v22, v22, s45
	v_readlane_b32 vcc_lo, v109, 17
	s_nop 1
	v_add_u32_e32 v22, vcc_lo, v22
	v_add_u32_e32 v92, v22, v102
	v_ashrrev_i32_e32 v93, 31, v92
	v_lshl_add_u64 v[92:93], v[92:93], 2, v[20:21]
	global_load_dwordx2 v[92:93], v[92:93], off
	s_branch .LBB121_58
.LBB121_57:                             ;   in Loop: Header=BB121_34 Depth=1
	v_mov_b32_e32 v92, 0
	v_mov_b32_e32 v93, 0
.LBB121_58:                             ;   in Loop: Header=BB121_34 Depth=1
	s_waitcnt vmcnt(0)
	v_cvt_pk_f16_f32 v22, v92, v93
	s_andn2_b64 vcc, exec, s[16:17]
	v_mov_b32_e32 v91, 0
	ds_write_b32 v100, v22 offset:1384
	s_cbranch_vccnz .LBB121_62
; %bb.59:                               ;   in Loop: Header=BB121_34 Depth=1
	ds_read_b32 v22, v99 offset:24
	s_waitcnt lgkmcnt(0)
	v_cmp_gt_i32_e32 vcc, 0, v22
	s_cbranch_vccnz .LBB121_61
; %bb.60:                               ;   in Loop: Header=BB121_34 Depth=1
	v_mul_lo_u32 v22, v22, s45
	v_readlane_b32 vcc_lo, v109, 18
	s_nop 1
	v_add_u32_e32 v22, vcc_lo, v22
	v_add_u32_e32 v90, v22, v102
	v_ashrrev_i32_e32 v91, 31, v90
	v_lshl_add_u64 v[90:91], v[90:91], 2, v[20:21]
	global_load_dwordx2 v[90:91], v[90:91], off
	s_branch .LBB121_62
.LBB121_61:                             ;   in Loop: Header=BB121_34 Depth=1
	v_mov_b32_e32 v90, 0
	v_mov_b32_e32 v91, 0
.LBB121_62:                             ;   in Loop: Header=BB121_34 Depth=1
	s_waitcnt vmcnt(0)
	v_cvt_pk_f16_f32 v22, v90, v91
	v_mov_b32_e32 v90, 0
	s_andn2_b64 vcc, exec, s[18:19]
	v_mov_b32_e32 v92, 0
	v_mov_b32_e32 v93, 0
	ds_write_b32 v100, v22 offset:1648
	s_cbranch_vccnz .LBB121_66
; %bb.63:                               ;   in Loop: Header=BB121_34 Depth=1
	ds_read_b32 v22, v99 offset:28
	s_waitcnt lgkmcnt(0)
	v_cmp_gt_i32_e32 vcc, 0, v22
	s_cbranch_vccnz .LBB121_65
; %bb.64:                               ;   in Loop: Header=BB121_34 Depth=1
	v_mul_lo_u32 v22, v22, s45
	v_add_u32_e32 v22, s4, v22
	v_add_u32_e32 v92, v22, v102
	v_ashrrev_i32_e32 v93, 31, v92
	v_lshl_add_u64 v[92:93], v[92:93], 2, v[20:21]
	global_load_dwordx2 v[92:93], v[92:93], off
	s_branch .LBB121_66
.LBB121_65:                             ;   in Loop: Header=BB121_34 Depth=1
	v_mov_b32_e32 v92, 0
	v_mov_b32_e32 v93, 0
.LBB121_66:                             ;   in Loop: Header=BB121_34 Depth=1
	s_waitcnt vmcnt(0)
	v_cvt_pk_f16_f32 v22, v92, v93
	s_andn2_b64 vcc, exec, s[20:21]
	v_mov_b32_e32 v91, 0
	ds_write_b32 v100, v22 offset:1912
	s_cbranch_vccnz .LBB121_70
; %bb.67:                               ;   in Loop: Header=BB121_34 Depth=1
	ds_read_b32 v22, v99 offset:32
	s_waitcnt lgkmcnt(0)
	v_cmp_gt_i32_e32 vcc, 0, v22
	s_cbranch_vccnz .LBB121_69
; %bb.68:                               ;   in Loop: Header=BB121_34 Depth=1
	v_mul_lo_u32 v22, v22, s45
	v_readlane_b32 vcc_lo, v109, 16
	s_nop 1
	v_add_u32_e32 v22, vcc_lo, v22
	v_add_u32_e32 v90, v22, v102
	v_ashrrev_i32_e32 v91, 31, v90
	v_lshl_add_u64 v[90:91], v[90:91], 2, v[20:21]
	global_load_dwordx2 v[90:91], v[90:91], off
	s_branch .LBB121_70
.LBB121_69:                             ;   in Loop: Header=BB121_34 Depth=1
	v_mov_b32_e32 v90, 0
	v_mov_b32_e32 v91, 0
.LBB121_70:                             ;   in Loop: Header=BB121_34 Depth=1
	s_waitcnt vmcnt(0)
	v_cvt_pk_f16_f32 v22, v90, v91
	v_mov_b32_e32 v90, 0
	s_andn2_b64 vcc, exec, s[22:23]
	v_mov_b32_e32 v92, 0
	v_mov_b32_e32 v93, 0
	ds_write_b32 v100, v22 offset:2176
	s_cbranch_vccnz .LBB121_74
; %bb.71:                               ;   in Loop: Header=BB121_34 Depth=1
	ds_read_b32 v22, v99 offset:36
	s_waitcnt lgkmcnt(0)
	v_cmp_gt_i32_e32 vcc, 0, v22
	s_cbranch_vccnz .LBB121_73
; %bb.72:                               ;   in Loop: Header=BB121_34 Depth=1
	v_mul_lo_u32 v22, v22, s45
	v_readlane_b32 vcc_lo, v109, 22
	s_nop 1
	v_add_u32_e32 v22, vcc_lo, v22
	v_add_u32_e32 v92, v22, v102
	v_ashrrev_i32_e32 v93, 31, v92
	v_lshl_add_u64 v[92:93], v[92:93], 2, v[20:21]
	global_load_dwordx2 v[92:93], v[92:93], off
	s_branch .LBB121_74
.LBB121_73:                             ;   in Loop: Header=BB121_34 Depth=1
	v_mov_b32_e32 v92, 0
	v_mov_b32_e32 v93, 0
.LBB121_74:                             ;   in Loop: Header=BB121_34 Depth=1
	s_waitcnt vmcnt(0)
	v_cvt_pk_f16_f32 v22, v92, v93
	s_andn2_b64 vcc, exec, s[24:25]
	v_mov_b32_e32 v91, 0
	ds_write_b32 v100, v22 offset:2440
	s_cbranch_vccnz .LBB121_78
; %bb.75:                               ;   in Loop: Header=BB121_34 Depth=1
	ds_read_b32 v22, v99 offset:40
	s_waitcnt lgkmcnt(0)
	v_cmp_gt_i32_e32 vcc, 0, v22
	s_cbranch_vccnz .LBB121_77
; %bb.76:                               ;   in Loop: Header=BB121_34 Depth=1
	v_mul_lo_u32 v22, v22, s45
	v_readlane_b32 vcc_lo, v109, 21
	s_nop 1
	v_add_u32_e32 v22, vcc_lo, v22
	v_add_u32_e32 v90, v22, v102
	v_ashrrev_i32_e32 v91, 31, v90
	v_lshl_add_u64 v[90:91], v[90:91], 2, v[20:21]
	global_load_dwordx2 v[90:91], v[90:91], off
	s_branch .LBB121_78
.LBB121_77:                             ;   in Loop: Header=BB121_34 Depth=1
	v_mov_b32_e32 v90, 0
	v_mov_b32_e32 v91, 0
.LBB121_78:                             ;   in Loop: Header=BB121_34 Depth=1
	s_waitcnt vmcnt(0)
	v_cvt_pk_f16_f32 v22, v90, v91
	v_mov_b32_e32 v90, 0
	s_andn2_b64 vcc, exec, s[26:27]
	v_mov_b32_e32 v92, 0
	v_mov_b32_e32 v93, 0
	ds_write_b32 v100, v22 offset:2704
	s_cbranch_vccnz .LBB121_82
; %bb.79:                               ;   in Loop: Header=BB121_34 Depth=1
	ds_read_b32 v22, v99 offset:44
	s_waitcnt lgkmcnt(0)
	v_cmp_gt_i32_e32 vcc, 0, v22
	s_cbranch_vccnz .LBB121_81
; %bb.80:                               ;   in Loop: Header=BB121_34 Depth=1
	v_mul_lo_u32 v22, v22, s45
	v_readlane_b32 vcc_lo, v109, 20
	s_nop 1
	v_add_u32_e32 v22, vcc_lo, v22
	v_add_u32_e32 v92, v22, v102
	v_ashrrev_i32_e32 v93, 31, v92
	v_lshl_add_u64 v[92:93], v[92:93], 2, v[20:21]
	global_load_dwordx2 v[92:93], v[92:93], off
	s_branch .LBB121_82
.LBB121_81:                             ;   in Loop: Header=BB121_34 Depth=1
	v_mov_b32_e32 v92, 0
	v_mov_b32_e32 v93, 0
.LBB121_82:                             ;   in Loop: Header=BB121_34 Depth=1
	s_waitcnt vmcnt(0)
	v_cvt_pk_f16_f32 v22, v92, v93
	s_andn2_b64 vcc, exec, s[28:29]
	v_mov_b32_e32 v91, 0
	ds_write_b32 v100, v22 offset:2968
	s_cbranch_vccnz .LBB121_33
; %bb.83:                               ;   in Loop: Header=BB121_34 Depth=1
	ds_read_b32 v22, v99 offset:48
	s_waitcnt lgkmcnt(0)
	v_cmp_gt_i32_e32 vcc, 0, v22
	s_cbranch_vccz .LBB121_32
; %bb.84:                               ;   in Loop: Header=BB121_34 Depth=1
	v_mov_b32_e32 v90, 0
	v_mov_b32_e32 v91, 0
	s_branch .LBB121_33
.LBB121_85:
	s_or_b64 exec, exec, s[38:39]
	v_readlane_b32 s24, v109, 6
	v_readlane_b32 s28, v109, 10
	;; [unrolled: 1-line block ×8, first 2 shown]
.LBB121_86:
	s_waitcnt lgkmcnt(0)
	v_readlane_b32 s0, v109, 4
	v_readlane_b32 s1, v109, 5
	s_or_b64 exec, exec, s[0:1]
	v_mov_b32_e32 v19, 0x100
	v_lshl_add_u32 v18, v96, 2, v19
	v_mul_u32_u24_e32 v20, 0x808, v97
	v_and_b32_e32 v21, 0x3f0, v16
	v_add3_u32 v20, v18, v20, v21
	s_barrier
	s_movk_i32 s0, 0x808
	ds_write2_b32 v20, v4, v5 offset0:16 offset1:17
	ds_write2_b32 v20, v6, v7 offset0:18 offset1:19
	;; [unrolled: 1-line block ×8, first 2 shown]
	v_lshl_add_u32 v11, v16, 2, v19
	v_mad_u32_u24 v0, v17, s0, v11
	s_waitcnt lgkmcnt(0)
	s_barrier
	ds_read2_b32 v[8:9], v0 offset0:16 offset1:80
	ds_read2_b32 v[4:5], v0 offset0:144 offset1:208
	v_add_u32_e32 v0, 64, v0
	ds_read2st64_b32 v[6:7], v0 offset0:4 offset1:5
	ds_read2st64_b32 v[2:3], v0 offset0:6 offset1:7
	v_cmp_gt_u32_e32 vcc, 13, v17
	v_mov_b32_e32 v12, -1
	s_and_saveexec_b64 s[0:1], vcc
; %bb.87:
	s_movk_i32 s2, 0xff04
	v_mad_i32_i24 v0, v17, s2, v18
	ds_read_b32 v12, v0
; %bb.88:
	s_or_b64 exec, exec, s[0:1]
	s_mul_hi_i32 s1, s30, s22
	s_mul_i32 s0, s30, s22
	s_lshl_b64 s[0:1], s[0:1], 2
	v_readlane_b32 s2, v109, 2
	v_mul_hi_i32 v1, v94, s41
	v_mul_lo_u32 v0, v94, s41
	v_readlane_b32 s3, v109, 3
	s_add_u32 s0, s2, s0
	s_addc_u32 s1, s3, s1
	v_lshlrev_b64 v[0:1], 2, v[0:1]
	s_waitcnt lgkmcnt(0)
	v_cmp_lt_i32_e32 vcc, -1, v12
	v_add_u32_e32 v10, s6, v16
	v_lshl_add_u64 v[0:1], s[0:1], 0, v[0:1]
	s_and_b64 s[2:3], vcc, s[24:25]
	s_and_saveexec_b64 s[0:1], s[2:3]
	s_cbranch_execz .LBB121_90
; %bb.89:
	v_add_f32_e32 v8, 0, v8
	v_add_f32_e32 v8, v8, v9
	;; [unrolled: 1-line block ×8, first 2 shown]
	v_mul_lo_u32 v2, v12, s46
	v_mul_lo_u32 v3, v17, s41
	v_add3_u32 v2, v10, v3, v2
	v_mov_b32_e32 v3, 0
	v_lshl_add_u64 v[2:3], v[2:3], 2, v[0:1]
	global_store_dword v[2:3], v4, off
.LBB121_90:
	s_or_b64 exec, exec, s[0:1]
	v_cmp_gt_u32_e32 vcc, 5, v17
	s_and_saveexec_b64 s[0:1], vcc
	s_cbranch_execz .LBB121_93
; %bb.91:
	v_mov_b32_e32 v2, 0x100
	v_lshl_add_u32 v2, v17, 2, v2
	ds_read_b32 v2, v2 offset:32
	v_readlane_b32 s0, v109, 0
	v_readlane_b32 s1, v109, 1
	s_waitcnt lgkmcnt(0)
	v_cmp_lt_i32_e32 vcc, -1, v2
	s_and_b64 s[0:1], vcc, s[0:1]
	s_and_b64 exec, exec, s[0:1]
	s_cbranch_execz .LBB121_93
; %bb.92:
	v_mul_u32_u24_e32 v3, 0x808, v17
	v_add_u32_e32 v3, v3, v11
	v_add_u32_e32 v8, 0x80, v3
	ds_read2st64_b32 v[4:5], v8 offset0:64 offset1:65
	v_mul_lo_u32 v11, v2, s46
	ds_read2st64_b32 v[2:3], v8 offset0:66 offset1:67
	ds_read2st64_b32 v[6:7], v8 offset0:68 offset1:69
	;; [unrolled: 1-line block ×3, first 2 shown]
	s_waitcnt lgkmcnt(3)
	v_add_f32_e32 v4, 0, v4
	v_add_f32_e32 v4, v4, v5
	s_waitcnt lgkmcnt(2)
	v_add_f32_e32 v2, v4, v2
	v_add_f32_e32 v2, v2, v3
	s_waitcnt lgkmcnt(1)
	v_add_f32_e32 v2, v2, v6
	v_add_f32_e32 v2, v2, v7
	s_waitcnt lgkmcnt(0)
	v_add_f32_e32 v2, v2, v8
	v_add_f32_e32 v4, v2, v9
	v_mul_lo_u32 v2, v95, s41
	v_add3_u32 v2, v10, v2, v11
	v_mov_b32_e32 v3, 0
	v_lshl_add_u64 v[0:1], v[2:3], 2, v[0:1]
	global_store_dword v[0:1], v4, off
.LBB121_93:
	s_endpgm
	.section	.rodata,"a",@progbits
	.p2align	6, 0x0
	.amdhsa_kernel _ZL9mul_mat_fI7__half2Li64ELi13ELi8ELb1EEvPKT_PKfPKiPfiiiiiiiiiiiiiiii
		.amdhsa_group_segment_fixed_size 256
		.amdhsa_private_segment_fixed_size 0
		.amdhsa_kernarg_size 352
		.amdhsa_user_sgpr_count 2
		.amdhsa_user_sgpr_dispatch_ptr 0
		.amdhsa_user_sgpr_queue_ptr 0
		.amdhsa_user_sgpr_kernarg_segment_ptr 1
		.amdhsa_user_sgpr_dispatch_id 0
		.amdhsa_user_sgpr_kernarg_preload_length 0
		.amdhsa_user_sgpr_kernarg_preload_offset 0
		.amdhsa_user_sgpr_private_segment_size 0
		.amdhsa_uses_dynamic_stack 0
		.amdhsa_enable_private_segment 0
		.amdhsa_system_sgpr_workgroup_id_x 1
		.amdhsa_system_sgpr_workgroup_id_y 1
		.amdhsa_system_sgpr_workgroup_id_z 1
		.amdhsa_system_sgpr_workgroup_info 0
		.amdhsa_system_vgpr_workitem_id 2
		.amdhsa_next_free_vgpr 110
		.amdhsa_next_free_sgpr 100
		.amdhsa_accum_offset 112
		.amdhsa_reserve_vcc 1
		.amdhsa_float_round_mode_32 0
		.amdhsa_float_round_mode_16_64 0
		.amdhsa_float_denorm_mode_32 3
		.amdhsa_float_denorm_mode_16_64 3
		.amdhsa_dx10_clamp 1
		.amdhsa_ieee_mode 1
		.amdhsa_fp16_overflow 0
		.amdhsa_tg_split 0
		.amdhsa_exception_fp_ieee_invalid_op 0
		.amdhsa_exception_fp_denorm_src 0
		.amdhsa_exception_fp_ieee_div_zero 0
		.amdhsa_exception_fp_ieee_overflow 0
		.amdhsa_exception_fp_ieee_underflow 0
		.amdhsa_exception_fp_ieee_inexact 0
		.amdhsa_exception_int_div_zero 0
	.end_amdhsa_kernel
	.section	.text._ZL9mul_mat_fI7__half2Li64ELi13ELi8ELb1EEvPKT_PKfPKiPfiiiiiiiiiiiiiiii,"axG",@progbits,_ZL9mul_mat_fI7__half2Li64ELi13ELi8ELb1EEvPKT_PKfPKiPfiiiiiiiiiiiiiiii,comdat
.Lfunc_end121:
	.size	_ZL9mul_mat_fI7__half2Li64ELi13ELi8ELb1EEvPKT_PKfPKiPfiiiiiiiiiiiiiiii, .Lfunc_end121-_ZL9mul_mat_fI7__half2Li64ELi13ELi8ELb1EEvPKT_PKfPKiPfiiiiiiiiiiiiiiii
                                        ; -- End function
	.set _ZL9mul_mat_fI7__half2Li64ELi13ELi8ELb1EEvPKT_PKfPKiPfiiiiiiiiiiiiiiii.num_vgpr, 110
	.set _ZL9mul_mat_fI7__half2Li64ELi13ELi8ELb1EEvPKT_PKfPKiPfiiiiiiiiiiiiiiii.num_agpr, 0
	.set _ZL9mul_mat_fI7__half2Li64ELi13ELi8ELb1EEvPKT_PKfPKiPfiiiiiiiiiiiiiiii.numbered_sgpr, 100
	.set _ZL9mul_mat_fI7__half2Li64ELi13ELi8ELb1EEvPKT_PKfPKiPfiiiiiiiiiiiiiiii.num_named_barrier, 0
	.set _ZL9mul_mat_fI7__half2Li64ELi13ELi8ELb1EEvPKT_PKfPKiPfiiiiiiiiiiiiiiii.private_seg_size, 0
	.set _ZL9mul_mat_fI7__half2Li64ELi13ELi8ELb1EEvPKT_PKfPKiPfiiiiiiiiiiiiiiii.uses_vcc, 1
	.set _ZL9mul_mat_fI7__half2Li64ELi13ELi8ELb1EEvPKT_PKfPKiPfiiiiiiiiiiiiiiii.uses_flat_scratch, 0
	.set _ZL9mul_mat_fI7__half2Li64ELi13ELi8ELb1EEvPKT_PKfPKiPfiiiiiiiiiiiiiiii.has_dyn_sized_stack, 0
	.set _ZL9mul_mat_fI7__half2Li64ELi13ELi8ELb1EEvPKT_PKfPKiPfiiiiiiiiiiiiiiii.has_recursion, 0
	.set _ZL9mul_mat_fI7__half2Li64ELi13ELi8ELb1EEvPKT_PKfPKiPfiiiiiiiiiiiiiiii.has_indirect_call, 0
	.section	.AMDGPU.csdata,"",@progbits
; Kernel info:
; codeLenInByte = 7536
; TotalNumSgprs: 106
; NumVgprs: 110
; NumAgprs: 0
; TotalNumVgprs: 110
; ScratchSize: 0
; MemoryBound: 0
; FloatMode: 240
; IeeeMode: 1
; LDSByteSize: 256 bytes/workgroup (compile time only)
; SGPRBlocks: 13
; VGPRBlocks: 13
; NumSGPRsForWavesPerEU: 106
; NumVGPRsForWavesPerEU: 110
; AccumOffset: 112
; Occupancy: 4
; WaveLimiterHint : 0
; COMPUTE_PGM_RSRC2:SCRATCH_EN: 0
; COMPUTE_PGM_RSRC2:USER_SGPR: 2
; COMPUTE_PGM_RSRC2:TRAP_HANDLER: 0
; COMPUTE_PGM_RSRC2:TGID_X_EN: 1
; COMPUTE_PGM_RSRC2:TGID_Y_EN: 1
; COMPUTE_PGM_RSRC2:TGID_Z_EN: 1
; COMPUTE_PGM_RSRC2:TIDIG_COMP_CNT: 2
; COMPUTE_PGM_RSRC3_GFX90A:ACCUM_OFFSET: 27
; COMPUTE_PGM_RSRC3_GFX90A:TG_SPLIT: 0
	.section	.text._ZL9mul_mat_fI7__half2Li64ELi13ELi8ELb0EEvPKT_PKfPKiPfiiiiiiiiiiiiiiii,"axG",@progbits,_ZL9mul_mat_fI7__half2Li64ELi13ELi8ELb0EEvPKT_PKfPKiPfiiiiiiiiiiiiiiii,comdat
	.globl	_ZL9mul_mat_fI7__half2Li64ELi13ELi8ELb0EEvPKT_PKfPKiPfiiiiiiiiiiiiiiii ; -- Begin function _ZL9mul_mat_fI7__half2Li64ELi13ELi8ELb0EEvPKT_PKfPKiPfiiiiiiiiiiiiiiii
	.p2align	8
	.type	_ZL9mul_mat_fI7__half2Li64ELi13ELi8ELb0EEvPKT_PKfPKiPfiiiiiiiiiiiiiiii,@function
_ZL9mul_mat_fI7__half2Li64ELi13ELi8ELb0EEvPKT_PKfPKiPfiiiiiiiiiiiiiiii: ; @_ZL9mul_mat_fI7__half2Li64ELi13ELi8ELb0EEvPKT_PKfPKiPfiiiiiiiiiiiiiiii
; %bb.0:
	s_load_dword s5, s[0:1], 0x20
	s_load_dwordx4 s[16:19], s[0:1], 0x2c
	v_bfe_u32 v34, v0, 10, 10
	v_lshlrev_b32_e32 v36, 6, v34
	v_and_b32_e32 v35, 0x3ff, v0
	v_add_u32_e32 v38, v36, v35
	s_waitcnt lgkmcnt(0)
	s_ashr_i32 s19, s4, 31
	v_cmp_le_i32_e32 vcc, s5, v38
	v_and_b32_e32 v37, 15, v35
	s_and_saveexec_b64 s[6:7], vcc
	s_xor_b64 s[6:7], exec, s[6:7]
; %bb.1:
	v_and_b32_e32 v37, 15, v35
                                        ; implicit-def: $vgpr38
; %bb.2:
	s_or_saveexec_b64 s[24:25], s[6:7]
	s_load_dwordx8 s[8:15], s[0:1], 0x40
	s_load_dwordx2 s[6:7], s[0:1], 0x18
	v_mov_b32_e32 v15, 0
	s_lshl_b32 s2, s2, 6
	v_mov_b32_e32 v14, v15
	v_mov_b32_e32 v13, v15
	;; [unrolled: 1-line block ×15, first 2 shown]
	s_xor_b64 exec, exec, s[24:25]
	s_cbranch_execz .LBB122_6
; %bb.3:
	s_waitcnt lgkmcnt(0)
	s_abs_i32 s26, s8
	v_cvt_f32_u32_e32 v0, s26
	s_abs_i32 s27, s12
	v_cvt_f32_u32_e32 v1, s27
	s_sub_i32 s20, 0, s26
	v_rcp_iflag_f32_e32 v0, v0
	s_abs_i32 s28, s3
	v_rcp_iflag_f32_e32 v1, v1
	s_sub_i32 s21, 0, s27
	v_mul_f32_e32 v0, 0x4f7ffffe, v0
	v_cvt_u32_f32_e32 v0, v0
	v_mul_f32_e32 v1, 0x4f7ffffe, v1
	v_cvt_u32_f32_e32 v1, v1
	s_abs_i32 s29, s4
	v_mul_lo_u32 v2, s20, v0
	v_mul_hi_u32 v2, v0, v2
	v_add_u32_e32 v0, v0, v2
	v_mul_hi_u32 v0, s28, v0
	v_mul_lo_u32 v3, s21, v1
	v_mul_lo_u32 v2, v0, s26
	v_mul_hi_u32 v3, v1, v3
	v_sub_u32_e32 v2, s28, v2
	v_add_u32_e32 v1, v1, v3
	v_add_u32_e32 v3, 1, v0
	v_subrev_u32_e32 v4, s26, v2
	v_cmp_le_u32_e32 vcc, s26, v2
	s_load_dwordx4 s[20:23], s[0:1], 0x0
	s_ashr_i32 s0, s3, 31
	v_cndmask_b32_e32 v0, v0, v3, vcc
	v_cndmask_b32_e32 v2, v2, v4, vcc
	s_ashr_i32 s1, s8, 31
	v_add_u32_e32 v3, 1, v0
	v_cmp_le_u32_e32 vcc, s26, v2
	s_xor_b32 s0, s0, s1
	v_mul_hi_u32 v1, s29, v1
	v_cndmask_b32_e32 v0, v0, v3, vcc
	v_xor_b32_e32 v0, s0, v0
	v_subrev_u32_e32 v2, s0, v0
	v_mul_lo_u32 v0, v1, s27
	v_sub_u32_e32 v0, s29, v0
	v_add_u32_e32 v3, 1, v1
	v_subrev_u32_e32 v4, s27, v0
	v_cmp_le_u32_e32 vcc, s27, v0
	s_ashr_i32 s8, s12, 31
	s_xor_b32 s0, s19, s8
	v_cndmask_b32_e32 v1, v1, v3, vcc
	v_cndmask_b32_e32 v0, v0, v4, vcc
	v_add_u32_e32 v3, 1, v1
	v_cmp_le_u32_e32 vcc, s27, v0
	v_mul_lo_u32 v2, v2, s9
	s_mul_hi_i32 s9, s14, s4
	v_cndmask_b32_e32 v0, v1, v3, vcc
	v_xor_b32_e32 v0, s0, v0
	s_mul_i32 s8, s14, s4
	v_subrev_u32_e32 v0, s0, v0
	s_lshl_b64 s[26:27], s[8:9], 2
	v_mul_hi_i32 v1, v0, s13
	v_mul_lo_u32 v0, v0, s13
	s_mul_i32 s0, s16, s2
	s_mul_i32 s28, s10, s3
	s_waitcnt lgkmcnt(0)
	s_add_u32 s8, s22, s26
	v_ashrrev_i32_e32 v3, 31, v2
	v_lshlrev_b64 v[0:1], 2, v[0:1]
	s_addc_u32 s9, s23, s27
	s_ashr_i32 s1, s0, 31
	s_ashr_i32 s29, s28, 31
	v_lshl_add_u64 v[4:5], s[20:21], 0, v[0:1]
	v_lshlrev_b64 v[2:3], 2, v[2:3]
	s_lshl_b64 s[12:13], s[0:1], 2
	s_lshl_b64 s[28:29], s[28:29], 2
	v_lshl_add_u64 v[4:5], v[4:5], 0, v[2:3]
	s_add_u32 s0, s8, s28
	s_movk_i32 s8, 0x1080
	v_lshrrev_b32_e32 v7, 1, v35
	v_lshl_add_u64 v[2:3], v[2:3], 0, s[12:13]
	v_lshl_add_u64 v[16:17], v[4:5], 0, s[12:13]
	v_mov_b32_e32 v19, 0
	v_mad_u32_u24 v5, v34, s8, 0
	v_lshlrev_b32_e32 v4, 2, v35
	v_mul_u32_u24_e32 v6, 0x108, v37
	v_and_b32_e32 v7, 0x1f8, v7
	v_lshlrev_b32_e32 v18, 8, v34
	v_lshl_add_u64 v[0:1], v[2:3], 0, v[0:1]
	s_addc_u32 s1, s9, s29
	v_add_u32_e32 v39, v5, v4
	v_add3_u32 v40, v5, v6, v7
	s_ashr_i32 s9, s16, 31
	s_mov_b32 s8, s16
	s_ashr_i32 s75, s17, 31
	s_mov_b32 s74, s17
	v_lshl_add_u64 v[0:1], v[0:1], 0, v[18:19]
	v_mov_b32_e32 v5, v19
	s_add_i32 s10, s16, s16
	s_add_i32 s14, s17, s17
	s_lshl_b32 s30, s17, 2
	s_lshl_b32 s35, s17, 3
	;; [unrolled: 1-line block ×6, first 2 shown]
	s_lshl_b64 s[8:9], s[8:9], 2
	s_lshl_b64 s[12:13], s[74:75], 3
	v_lshl_add_u64 v[0:1], v[0:1], 0, v[4:5]
	v_lshlrev_b32_e32 v18, 9, v34
	s_add_u32 s22, s22, s28
	v_lshl_add_u64 v[20:21], s[20:21], 0, v[0:1]
	v_lshl_add_u64 v[0:1], s[26:27], 0, v[18:19]
	v_lshlrev_b32_e32 v18, 3, v35
	s_addc_u32 s23, s23, s29
	v_lshl_add_u64 v[0:1], v[0:1], 0, v[18:19]
	s_mul_i32 s19, s17, 3
	s_mul_i32 s31, s17, 5
	;; [unrolled: 1-line block ×45, first 2 shown]
	v_lshl_add_u64 v[22:23], s[22:23], 0, v[0:1]
	s_mul_i32 s77, s16, 44
	s_mul_i32 s78, s16, 45
	v_mov_b32_e32 v4, 0
	v_mov_b32_e32 v6, v19
	;; [unrolled: 1-line block ×15, first 2 shown]
	s_mul_i32 s79, s16, 46
	s_mul_i32 s80, s16, 47
	;; [unrolled: 1-line block ×18, first 2 shown]
	s_mov_b64 s[16:17], 0
	s_mov_b64 s[20:21], 0x800
	;; [unrolled: 1-line block ×3, first 2 shown]
.LBB122_4:                              ; =>This Inner Loop Header: Depth=1
	v_add_u32_e32 v30, s10, v38
	v_add_u32_e32 v26, s58, v38
	v_lshl_add_u64 v[24:25], v[20:21], 0, s[8:9]
	v_add_u32_e32 v32, s40, v38
	v_ashrrev_i32_e32 v31, 31, v30
	v_ashrrev_i32_e32 v27, 31, v26
	v_add_u32_e32 v28, s59, v38
	global_load_dword v45, v[24:25], off
	v_lshl_add_u64 v[30:31], v[30:31], 2, v[16:17]
	v_add_u32_e32 v24, s60, v38
	v_ashrrev_i32_e32 v33, 31, v32
	v_lshl_add_u64 v[26:27], v[26:27], 2, v[16:17]
	v_add_u32_e32 v42, s41, v38
	global_load_dword v46, v[30:31], off
	v_ashrrev_i32_e32 v29, 31, v28
	global_load_dword v26, v[26:27], off
	v_lshl_add_u64 v[30:31], v[32:33], 2, v[16:17]
	v_add_u32_e32 v32, s61, v38
	v_ashrrev_i32_e32 v25, 31, v24
	v_add_u32_e32 v48, s42, v38
	v_ashrrev_i32_e32 v43, 31, v42
	v_lshl_add_u64 v[28:29], v[28:29], 2, v[16:17]
	v_lshl_add_u64 v[24:25], v[24:25], 2, v[16:17]
	v_ashrrev_i32_e32 v33, 31, v32
	global_load_dword v47, v[30:31], off
	v_ashrrev_i32_e32 v49, 31, v48
	global_load_dword v24, v[24:25], off
	v_add_u32_e32 v54, s43, v38
	global_load_dword v27, v[28:29], off
	v_lshl_add_u64 v[30:31], v[42:43], 2, v[16:17]
	v_lshl_add_u64 v[28:29], v[32:33], 2, v[16:17]
	global_load_dword v50, v[30:31], off
	global_load_dword v25, v[28:29], off
	v_lshl_add_u64 v[30:31], v[48:49], 2, v[16:17]
	global_load_dword v52, v[30:31], off
	v_add_u32_e32 v30, s62, v38
	v_add_u32_e32 v56, s44, v38
	v_ashrrev_i32_e32 v55, 31, v54
	v_add_u32_e32 v48, s63, v38
	v_ashrrev_i32_e32 v31, 31, v30
	v_add_u32_e32 v58, s45, v38
	v_lshl_add_u64 v[42:43], v[54:55], 2, v[16:17]
	v_ashrrev_i32_e32 v57, 31, v56
	v_add_u32_e32 v84, s64, v38
	v_lshl_add_u64 v[28:29], v[30:31], 2, v[16:17]
	v_ashrrev_i32_e32 v49, 31, v48
	v_add_u32_e32 v60, s46, v38
	global_load_dword v53, v[42:43], off
	v_ashrrev_i32_e32 v59, 31, v58
	v_add_u32_e32 v86, s65, v38
	global_load_dword v28, v[28:29], off
	v_lshl_add_u64 v[42:43], v[56:57], 2, v[16:17]
	v_lshl_add_u64 v[30:31], v[48:49], 2, v[16:17]
	v_ashrrev_i32_e32 v85, 31, v84
	v_add_u32_e32 v62, s47, v38
	global_load_dword v54, v[42:43], off
	global_load_dword v29, v[30:31], off
	v_lshl_add_u64 v[42:43], v[58:59], 2, v[16:17]
	v_ashrrev_i32_e32 v61, 31, v60
	v_add_u32_e32 v88, s66, v38
	v_lshl_add_u64 v[30:31], v[84:85], 2, v[16:17]
	v_ashrrev_i32_e32 v87, 31, v86
	v_add_u32_e32 v64, s48, v38
	global_load_dword v57, v[42:43], off
	v_ashrrev_i32_e32 v63, 31, v62
	global_load_dword v30, v[30:31], off
	v_lshl_add_u64 v[42:43], v[60:61], 2, v[16:17]
	v_lshl_add_u64 v[32:33], v[86:87], 2, v[16:17]
	v_ashrrev_i32_e32 v89, 31, v88
	v_add_u32_e32 v66, s49, v38
	global_load_dword v58, v[42:43], off
	global_load_dword v31, v[32:33], off
	v_lshl_add_u64 v[42:43], v[62:63], 2, v[16:17]
	v_ashrrev_i32_e32 v65, 31, v64
	v_lshl_add_u64 v[32:33], v[88:89], 2, v[16:17]
	v_add_u32_e32 v68, s50, v38
	global_load_dword v61, v[42:43], off
	v_ashrrev_i32_e32 v67, 31, v66
	global_load_dword v32, v[32:33], off
	v_lshl_add_u64 v[42:43], v[64:65], 2, v[16:17]
	v_add_u32_e32 v70, s51, v38
	global_load_dword v62, v[42:43], off
	v_lshl_add_u64 v[42:43], v[66:67], 2, v[16:17]
	v_ashrrev_i32_e32 v69, 31, v68
	v_add_u32_e32 v72, s52, v38
	global_load_dword v65, v[42:43], off
	v_lshl_add_u64 v[42:43], v[68:69], 2, v[16:17]
	v_ashrrev_i32_e32 v71, 31, v70
	global_load_dword v66, v[42:43], off
	v_lshl_add_u64 v[42:43], v[70:71], 2, v[16:17]
	v_ashrrev_i32_e32 v73, 31, v72
	global_load_dword v68, v[42:43], off
	v_lshl_add_u64 v[42:43], v[72:73], 2, v[16:17]
	v_add_u32_e32 v72, s67, v38
	v_add_u32_e32 v74, s53, v38
	v_ashrrev_i32_e32 v73, 31, v72
	v_ashrrev_i32_e32 v75, 31, v74
	v_lshl_add_u64 v[48:49], v[72:73], 2, v[16:17]
	global_load_dword v70, v[42:43], off
	global_load_dword v33, v[48:49], off
	v_lshl_add_u64 v[42:43], v[74:75], 2, v[16:17]
	v_add_u32_e32 v74, s68, v38
	v_add_u32_e32 v76, s54, v38
	;; [unrolled: 1-line block ×3, first 2 shown]
	v_ashrrev_i32_e32 v75, 31, v74
	v_add_u32_e32 v78, s55, v38
	v_ashrrev_i32_e32 v77, 31, v76
	v_lshl_add_u64 v[48:49], v[74:75], 2, v[16:17]
	v_ashrrev_i32_e32 v73, 31, v72
	global_load_dword v18, v[42:43], off
	v_ashrrev_i32_e32 v79, 31, v78
	global_load_dword v48, v[48:49], off
	v_lshl_add_u64 v[42:43], v[76:77], 2, v[16:17]
	v_lshl_add_u64 v[72:73], v[72:73], 2, v[16:17]
	global_load_dword v41, v[42:43], off
	global_load_dword v60, v[72:73], off
	v_lshl_add_u64 v[42:43], v[78:79], 2, v[16:17]
	v_add_u32_e32 v78, s69, v38
	v_ashrrev_i32_e32 v79, 31, v78
	v_add_u32_e32 v80, s56, v38
	v_lshl_add_u64 v[74:75], v[78:79], 2, v[16:17]
	v_add_u32_e32 v78, s73, v38
	v_add_u32_e32 v82, s57, v38
	v_ashrrev_i32_e32 v81, 31, v80
	v_ashrrev_i32_e32 v79, 31, v78
	v_lshl_add_u64 v[76:77], v[80:81], 2, v[16:17]
	v_ashrrev_i32_e32 v83, 31, v82
	v_lshl_add_u64 v[72:73], v[78:79], 2, v[16:17]
	global_load_dword v42, v[42:43], off
	v_add_u32_e32 v80, s71, v38
	global_load_dword v49, v[74:75], off
	global_load_dword v63, v[72:73], off
	;; [unrolled: 1-line block ×3, first 2 shown]
	v_lshl_add_u64 v[76:77], v[82:83], 2, v[16:17]
	global_load_dword v44, v[76:77], off
	v_add_u32_e32 v76, s70, v38
	v_ashrrev_i32_e32 v77, 31, v76
	v_lshl_add_u64 v[74:75], v[76:77], 2, v[16:17]
	v_add_u32_e32 v76, s74, v38
	v_ashrrev_i32_e32 v77, 31, v76
	v_ashrrev_i32_e32 v81, 31, v80
	v_lshl_add_u64 v[72:73], v[76:77], 2, v[16:17]
	global_load_dword v51, v[74:75], off
	global_load_dword v64, v[72:73], off
	v_lshl_add_u64 v[74:75], v[80:81], 2, v[16:17]
	v_add_u32_e32 v80, s75, v38
	v_add_u32_e32 v82, s72, v38
	v_ashrrev_i32_e32 v81, 31, v80
	v_add_u32_e32 v84, s28, v38
	v_ashrrev_i32_e32 v83, 31, v82
	v_lshl_add_u64 v[72:73], v[80:81], 2, v[16:17]
	global_load_dword v55, v[74:75], off
	global_load_dword v67, v[72:73], off
	v_lshl_add_u64 v[74:75], v[82:83], 2, v[16:17]
	v_ashrrev_i32_e32 v85, 31, v84
	global_load_dword v56, v[74:75], off
	v_lshl_add_u64 v[74:75], v[84:85], 2, v[16:17]
	global_load_dword v59, v[74:75], off
	v_add_u32_e32 v74, s76, v38
	v_add_u32_e32 v76, s26, v38
	v_ashrrev_i32_e32 v75, 31, v74
	v_lshl_add_u64 v[72:73], v[74:75], 2, v[16:17]
	v_ashrrev_i32_e32 v77, 31, v76
	v_add_u32_e32 v74, s27, v38
	global_load_dword v69, v[72:73], off
	v_lshl_add_u64 v[72:73], v[76:77], 2, v[16:17]
	v_ashrrev_i32_e32 v75, 31, v74
	global_load_dword v71, v[72:73], off
	v_lshl_add_u64 v[72:73], v[74:75], 2, v[16:17]
	v_add_u32_e32 v74, s77, v38
	v_ashrrev_i32_e32 v75, 31, v74
	v_lshl_add_u64 v[74:75], v[74:75], 2, v[16:17]
	global_load_dword v72, v[72:73], off
	v_add_u32_e32 v76, s79, v38
	global_load_dword v73, v[74:75], off
	v_add_u32_e32 v74, s78, v38
	v_ashrrev_i32_e32 v75, 31, v74
	v_ashrrev_i32_e32 v77, 31, v76
	v_lshl_add_u64 v[74:75], v[74:75], 2, v[16:17]
	v_lshl_add_u64 v[76:77], v[76:77], 2, v[16:17]
	global_load_dword v74, v[74:75], off
	v_add_u32_e32 v78, s81, v38
	global_load_dword v75, v[76:77], off
	v_add_u32_e32 v76, s80, v38
	v_ashrrev_i32_e32 v77, 31, v76
	v_ashrrev_i32_e32 v79, 31, v78
	v_lshl_add_u64 v[76:77], v[76:77], 2, v[16:17]
	;; [unrolled: 8-line block ×9, first 2 shown]
	v_lshl_add_u64 v[92:93], v[92:93], 2, v[16:17]
	global_load_dword v90, v[90:91], off
	v_add_u32_e32 v94, s31, v38
	global_load_dword v91, v[92:93], off
	v_add_u32_e32 v92, s96, v38
	v_ashrrev_i32_e32 v93, 31, v92
	v_lshl_add_u64 v[92:93], v[92:93], 2, v[16:17]
	global_load_dword v106, v[92:93], off
	s_nop 0
	global_load_dword v92, v[20:21], off
	s_waitcnt vmcnt(62)
	ds_write_b32 v39, v45 offset:264
	v_ashrrev_i32_e32 v95, 31, v94
	v_lshl_add_u64 v[94:95], v[94:95], 3, s[0:1]
	v_lshl_add_u64 v[20:21], v[20:21], 0, s[20:21]
	s_waitcnt vmcnt(0)
	ds_write_b32 v39, v92
	global_load_dwordx2 v[92:93], v[22:23], off
	s_waitcnt vmcnt(0)
	v_cvt_pk_f16_f32 v107, v92, v93
	v_lshl_add_u64 v[92:93], v[22:23], 0, s[12:13]
	global_load_dwordx2 v[92:93], v[92:93], off
	ds_write_b32 v39, v46 offset:528
	ds_write_b32 v39, v47 offset:792
	;; [unrolled: 1-line block ×14, first 2 shown]
	v_add_u32_e32 v46, s14, v38
	v_add_u32_e32 v52, s19, v38
	v_ashrrev_i32_e32 v47, 31, v46
	v_ashrrev_i32_e32 v53, 31, v52
	v_lshl_add_u64 v[46:47], v[46:47], 3, s[0:1]
	v_lshl_add_u64 v[52:53], v[52:53], 3, s[0:1]
	;; [unrolled: 1-line block ×3, first 2 shown]
	s_waitcnt vmcnt(0)
	v_cvt_pk_f16_f32 v108, v92, v93
	v_add_u32_e32 v92, s30, v38
	v_ashrrev_i32_e32 v93, 31, v92
	v_lshl_add_u64 v[92:93], v[92:93], 3, s[0:1]
	global_load_dwordx2 v[46:47], v[46:47], off
	s_nop 0
	global_load_dwordx2 v[52:53], v[52:53], off
	s_nop 0
	;; [unrolled: 2-line block ×3, first 2 shown]
	global_load_dwordx2 v[94:95], v[94:95], off
	s_waitcnt vmcnt(3)
	v_cvt_pk_f16_f32 v109, v46, v47
	s_waitcnt vmcnt(2)
	v_cvt_pk_f16_f32 v110, v52, v53
	s_waitcnt vmcnt(1)
	v_cvt_pk_f16_f32 v111, v92, v93
	s_waitcnt vmcnt(0)
	v_cvt_pk_f16_f32 v112, v94, v95
	v_add_u32_e32 v46, s33, v38
	v_add_u32_e32 v52, s34, v38
	v_add_u32_e32 v92, s35, v38
	v_add_u32_e32 v94, s36, v38
	v_ashrrev_i32_e32 v47, 31, v46
	v_ashrrev_i32_e32 v53, 31, v52
	v_ashrrev_i32_e32 v93, 31, v92
	v_ashrrev_i32_e32 v95, 31, v94
	v_lshl_add_u64 v[46:47], v[46:47], 3, s[0:1]
	v_lshl_add_u64 v[52:53], v[52:53], 3, s[0:1]
	;; [unrolled: 1-line block ×4, first 2 shown]
	global_load_dwordx2 v[46:47], v[46:47], off
	s_nop 0
	global_load_dwordx2 v[52:53], v[52:53], off
	s_nop 0
	;; [unrolled: 2-line block ×3, first 2 shown]
	global_load_dwordx2 v[94:95], v[94:95], off
	s_waitcnt vmcnt(3)
	v_cvt_pk_f16_f32 v113, v46, v47
	s_waitcnt vmcnt(2)
	v_cvt_pk_f16_f32 v114, v52, v53
	;; [unrolled: 2-line block ×3, first 2 shown]
	v_add_u32_e32 v46, s37, v38
	v_add_u32_e32 v52, s38, v38
	;; [unrolled: 1-line block ×3, first 2 shown]
	v_ashrrev_i32_e32 v47, 31, v46
	v_ashrrev_i32_e32 v53, 31, v52
	;; [unrolled: 1-line block ×3, first 2 shown]
	v_lshl_add_u64 v[46:47], v[46:47], 3, s[0:1]
	v_lshl_add_u64 v[52:53], v[52:53], 3, s[0:1]
	;; [unrolled: 1-line block ×3, first 2 shown]
	global_load_dwordx2 v[46:47], v[46:47], off
	s_nop 0
	global_load_dwordx2 v[52:53], v[52:53], off
	s_nop 0
	global_load_dwordx2 v[92:93], v[92:93], off
	s_waitcnt vmcnt(3)
	v_cvt_pk_f16_f32 v116, v94, v95
	v_add_u32_e32 v38, 0x200, v38
	v_cmp_le_i32_e32 vcc, s5, v38
	s_or_b64 s[16:17], vcc, s[16:17]
	s_waitcnt vmcnt(2)
	v_cvt_pk_f16_f32 v117, v46, v47
	s_waitcnt vmcnt(1)
	v_cvt_pk_f16_f32 v118, v52, v53
	;; [unrolled: 2-line block ×3, first 2 shown]
	ds_read_b64 v[46:47], v40
	ds_read_b64 v[52:53], v40 offset:32
	ds_read_b64 v[92:93], v40 offset:64
	ds_read_b64 v[94:95], v40 offset:96
	ds_read_b64 v[96:97], v40 offset:128
	ds_read_b64 v[98:99], v40 offset:160
	ds_read_b64 v[100:101], v40 offset:192
	ds_read_b64 v[102:103], v40 offset:224
	ds_write_b32 v39, v18
	ds_write_b32 v39, v41 offset:264
	ds_write_b32 v39, v42 offset:528
	ds_write_b32 v39, v43 offset:792
	ds_write_b32 v39, v44 offset:1056
	ds_write_b32 v39, v26 offset:1320
	ds_write_b32 v39, v27 offset:1584
	ds_write_b32 v39, v24 offset:1848
	ds_write_b32 v39, v25 offset:2112
	ds_write_b32 v39, v28 offset:2376
	ds_write_b32 v39, v29 offset:2640
	ds_write_b32 v39, v30 offset:2904
	ds_write_b32 v39, v31 offset:3168
	ds_write_b32 v39, v32 offset:3432
	ds_write_b32 v39, v33 offset:3696
	ds_write_b32 v39, v48 offset:3960
	ds_read_b64 v[24:25], v40
	ds_read_b64 v[26:27], v40 offset:32
	ds_read_b64 v[28:29], v40 offset:64
	ds_read_b64 v[30:31], v40 offset:96
	ds_read_b64 v[32:33], v40 offset:128
	ds_read_b64 v[42:43], v40 offset:160
	ds_read_b64 v[44:45], v40 offset:192
	ds_read_b64 v[104:105], v40 offset:224
	ds_write_b32 v39, v49
	ds_write_b32 v39, v51 offset:264
	ds_write_b32 v39, v55 offset:528
	ds_write_b32 v39, v56 offset:792
	ds_write_b32 v39, v59 offset:1056
	ds_write_b32 v39, v60 offset:1320
	ds_write_b32 v39, v63 offset:1584
	ds_write_b32 v39, v64 offset:1848
	ds_write_b32 v39, v67 offset:2112
	ds_write_b32 v39, v69 offset:2376
	ds_write_b32 v39, v71 offset:2640
	ds_write_b32 v39, v72 offset:2904
	ds_write_b32 v39, v73 offset:3168
	ds_write_b32 v39, v74 offset:3432
	ds_write_b32 v39, v75 offset:3696
	ds_write_b32 v39, v76 offset:3960
	;; [unrolled: 24-line block ×4, first 2 shown]
	ds_read_b64 v[82:83], v40
	ds_read_b64 v[84:85], v40 offset:32
	ds_read_b64 v[86:87], v40 offset:64
	;; [unrolled: 1-line block ×3, first 2 shown]
	s_waitcnt lgkmcnt(3)
	v_mfma_f32_16x16x16_f16 v[12:15], v[46:47], v[82:83], v[12:15]
	v_mfma_f32_16x16x16_f16 v[8:11], v[24:25], v[82:83], v[8:11]
	ds_read_b64 v[24:25], v40 offset:128
	v_mfma_f32_16x16x16_f16 v[0:3], v[48:49], v[82:83], v[0:3]
	v_mfma_f32_16x16x16_f16 v[4:7], v[66:67], v[82:83], v[4:7]
	s_waitcnt lgkmcnt(3)
	v_mfma_f32_16x16x16_f16 v[12:15], v[52:53], v[84:85], v[12:15]
	v_mfma_f32_16x16x16_f16 v[8:11], v[26:27], v[84:85], v[8:11]
	v_mfma_f32_16x16x16_f16 v[0:3], v[50:51], v[84:85], v[0:3]
	v_mfma_f32_16x16x16_f16 v[4:7], v[68:69], v[84:85], v[4:7]
	s_waitcnt lgkmcnt(2)
	v_mfma_f32_16x16x16_f16 v[12:15], v[92:93], v[86:87], v[12:15]
	v_mfma_f32_16x16x16_f16 v[8:11], v[28:29], v[86:87], v[8:11]
	;; [unrolled: 5-line block ×3, first 2 shown]
	ds_read_b64 v[26:27], v40 offset:160
	ds_read_b64 v[28:29], v40 offset:192
	;; [unrolled: 1-line block ×3, first 2 shown]
	v_mfma_f32_16x16x16_f16 v[0:3], v[56:57], v[88:89], v[0:3]
	v_mfma_f32_16x16x16_f16 v[4:7], v[72:73], v[88:89], v[4:7]
	s_waitcnt lgkmcnt(3)
	v_mfma_f32_16x16x16_f16 v[12:15], v[96:97], v[24:25], v[12:15]
	v_mfma_f32_16x16x16_f16 v[8:11], v[32:33], v[24:25], v[8:11]
	v_mfma_f32_16x16x16_f16 v[0:3], v[58:59], v[24:25], v[0:3]
	v_mfma_f32_16x16x16_f16 v[4:7], v[74:75], v[24:25], v[4:7]
	s_waitcnt lgkmcnt(2)
	v_mfma_f32_16x16x16_f16 v[12:15], v[98:99], v[26:27], v[12:15]
	v_mfma_f32_16x16x16_f16 v[8:11], v[42:43], v[26:27], v[8:11]
	;; [unrolled: 5-line block ×4, first 2 shown]
	v_mfma_f32_16x16x16_f16 v[0:3], v[64:65], v[30:31], v[0:3]
	v_mfma_f32_16x16x16_f16 v[4:7], v[80:81], v[30:31], v[4:7]
	s_andn2_b64 exec, exec, s[16:17]
	s_cbranch_execnz .LBB122_4
; %bb.5:
	s_or_b64 exec, exec, s[16:17]
.LBB122_6:
	s_or_b64 exec, exec, s[24:25]
	s_waitcnt lgkmcnt(0)
	s_mul_hi_i32 s1, s15, s4
	s_mul_i32 s0, s15, s4
	s_lshl_b64 s[0:1], s[0:1], 2
	s_mul_i32 s4, s11, s3
	s_add_u32 s3, s6, s0
	s_addc_u32 s6, s7, s1
	s_ashr_i32 s5, s4, 31
	v_lshl_add_u32 v16, v36, 2, 0
	v_mul_u32_u24_e32 v17, 0x808, v37
	v_and_b32_e32 v18, 0x3f0, v35
	s_lshl_b64 s[0:1], s[4:5], 2
	v_add3_u32 v16, v16, v17, v18
	s_add_u32 s0, s3, s0
	s_barrier
	s_movk_i32 s3, 0x808
	ds_write2_b32 v16, v12, v13 offset1:1
	ds_write2_b32 v16, v14, v15 offset0:2 offset1:3
	ds_write2_b32 v16, v8, v9 offset0:16 offset1:17
	;; [unrolled: 1-line block ×7, first 2 shown]
	v_lshl_add_u32 v1, v35, 2, 0
	v_mad_u32_u24 v8, v34, s3, v1
	s_waitcnt lgkmcnt(0)
	s_barrier
	ds_read2st64_b32 v[2:3], v8 offset1:1
	ds_read2st64_b32 v[4:5], v8 offset0:2 offset1:3
	ds_read2st64_b32 v[6:7], v8 offset0:4 offset1:5
	ds_read2st64_b32 v[8:9], v8 offset0:6 offset1:7
	v_add_u32_e32 v0, s2, v35
	s_addc_u32 s1, s6, s1
	v_cmp_gt_u32_e32 vcc, 5, v34
	s_waitcnt lgkmcnt(3)
	v_add_f32_e32 v2, 0, v2
	v_add_f32_e32 v2, v2, v3
	s_waitcnt lgkmcnt(2)
	v_add_f32_e32 v2, v2, v4
	v_add_f32_e32 v2, v2, v5
	;; [unrolled: 3-line block ×4, first 2 shown]
	v_mad_u64_u32 v[2:3], s[4:5], v34, s18, v[0:1]
	v_mov_b32_e32 v3, 0
	v_lshl_add_u64 v[4:5], v[2:3], 2, s[0:1]
	global_store_dword v[4:5], v6, off
	s_and_saveexec_b64 s[4:5], vcc
	s_cbranch_execz .LBB122_8
; %bb.7:
	v_or_b32_e32 v2, 8, v34
	v_mad_u32_u24 v1, v2, s3, v1
	ds_read2st64_b32 v[4:5], v1 offset1:1
	ds_read2st64_b32 v[6:7], v1 offset0:2 offset1:3
	ds_read2st64_b32 v[8:9], v1 offset0:4 offset1:5
	;; [unrolled: 1-line block ×3, first 2 shown]
	s_waitcnt lgkmcnt(3)
	v_add_f32_e32 v1, 0, v4
	v_add_f32_e32 v1, v1, v5
	s_waitcnt lgkmcnt(2)
	v_add_f32_e32 v1, v1, v6
	v_add_f32_e32 v1, v1, v7
	;; [unrolled: 3-line block ×4, first 2 shown]
	v_mad_u64_u32 v[0:1], s[2:3], v2, s18, v[0:1]
	v_mov_b32_e32 v1, v3
	v_lshl_add_u64 v[0:1], v[0:1], 2, s[0:1]
	global_store_dword v[0:1], v4, off
.LBB122_8:
	s_endpgm
	.section	.rodata,"a",@progbits
	.p2align	6, 0x0
	.amdhsa_kernel _ZL9mul_mat_fI7__half2Li64ELi13ELi8ELb0EEvPKT_PKfPKiPfiiiiiiiiiiiiiiii
		.amdhsa_group_segment_fixed_size 0
		.amdhsa_private_segment_fixed_size 0
		.amdhsa_kernarg_size 96
		.amdhsa_user_sgpr_count 2
		.amdhsa_user_sgpr_dispatch_ptr 0
		.amdhsa_user_sgpr_queue_ptr 0
		.amdhsa_user_sgpr_kernarg_segment_ptr 1
		.amdhsa_user_sgpr_dispatch_id 0
		.amdhsa_user_sgpr_kernarg_preload_length 0
		.amdhsa_user_sgpr_kernarg_preload_offset 0
		.amdhsa_user_sgpr_private_segment_size 0
		.amdhsa_uses_dynamic_stack 0
		.amdhsa_enable_private_segment 0
		.amdhsa_system_sgpr_workgroup_id_x 1
		.amdhsa_system_sgpr_workgroup_id_y 1
		.amdhsa_system_sgpr_workgroup_id_z 1
		.amdhsa_system_sgpr_workgroup_info 0
		.amdhsa_system_vgpr_workitem_id 1
		.amdhsa_next_free_vgpr 120
		.amdhsa_next_free_sgpr 97
		.amdhsa_accum_offset 120
		.amdhsa_reserve_vcc 1
		.amdhsa_float_round_mode_32 0
		.amdhsa_float_round_mode_16_64 0
		.amdhsa_float_denorm_mode_32 3
		.amdhsa_float_denorm_mode_16_64 3
		.amdhsa_dx10_clamp 1
		.amdhsa_ieee_mode 1
		.amdhsa_fp16_overflow 0
		.amdhsa_tg_split 0
		.amdhsa_exception_fp_ieee_invalid_op 0
		.amdhsa_exception_fp_denorm_src 0
		.amdhsa_exception_fp_ieee_div_zero 0
		.amdhsa_exception_fp_ieee_overflow 0
		.amdhsa_exception_fp_ieee_underflow 0
		.amdhsa_exception_fp_ieee_inexact 0
		.amdhsa_exception_int_div_zero 0
	.end_amdhsa_kernel
	.section	.text._ZL9mul_mat_fI7__half2Li64ELi13ELi8ELb0EEvPKT_PKfPKiPfiiiiiiiiiiiiiiii,"axG",@progbits,_ZL9mul_mat_fI7__half2Li64ELi13ELi8ELb0EEvPKT_PKfPKiPfiiiiiiiiiiiiiiii,comdat
.Lfunc_end122:
	.size	_ZL9mul_mat_fI7__half2Li64ELi13ELi8ELb0EEvPKT_PKfPKiPfiiiiiiiiiiiiiiii, .Lfunc_end122-_ZL9mul_mat_fI7__half2Li64ELi13ELi8ELb0EEvPKT_PKfPKiPfiiiiiiiiiiiiiiii
                                        ; -- End function
	.set _ZL9mul_mat_fI7__half2Li64ELi13ELi8ELb0EEvPKT_PKfPKiPfiiiiiiiiiiiiiiii.num_vgpr, 120
	.set _ZL9mul_mat_fI7__half2Li64ELi13ELi8ELb0EEvPKT_PKfPKiPfiiiiiiiiiiiiiiii.num_agpr, 0
	.set _ZL9mul_mat_fI7__half2Li64ELi13ELi8ELb0EEvPKT_PKfPKiPfiiiiiiiiiiiiiiii.numbered_sgpr, 97
	.set _ZL9mul_mat_fI7__half2Li64ELi13ELi8ELb0EEvPKT_PKfPKiPfiiiiiiiiiiiiiiii.num_named_barrier, 0
	.set _ZL9mul_mat_fI7__half2Li64ELi13ELi8ELb0EEvPKT_PKfPKiPfiiiiiiiiiiiiiiii.private_seg_size, 0
	.set _ZL9mul_mat_fI7__half2Li64ELi13ELi8ELb0EEvPKT_PKfPKiPfiiiiiiiiiiiiiiii.uses_vcc, 1
	.set _ZL9mul_mat_fI7__half2Li64ELi13ELi8ELb0EEvPKT_PKfPKiPfiiiiiiiiiiiiiiii.uses_flat_scratch, 0
	.set _ZL9mul_mat_fI7__half2Li64ELi13ELi8ELb0EEvPKT_PKfPKiPfiiiiiiiiiiiiiiii.has_dyn_sized_stack, 0
	.set _ZL9mul_mat_fI7__half2Li64ELi13ELi8ELb0EEvPKT_PKfPKiPfiiiiiiiiiiiiiiii.has_recursion, 0
	.set _ZL9mul_mat_fI7__half2Li64ELi13ELi8ELb0EEvPKT_PKfPKiPfiiiiiiiiiiiiiiii.has_indirect_call, 0
	.section	.AMDGPU.csdata,"",@progbits
; Kernel info:
; codeLenInByte = 4796
; TotalNumSgprs: 103
; NumVgprs: 120
; NumAgprs: 0
; TotalNumVgprs: 120
; ScratchSize: 0
; MemoryBound: 0
; FloatMode: 240
; IeeeMode: 1
; LDSByteSize: 0 bytes/workgroup (compile time only)
; SGPRBlocks: 12
; VGPRBlocks: 14
; NumSGPRsForWavesPerEU: 103
; NumVGPRsForWavesPerEU: 120
; AccumOffset: 120
; Occupancy: 4
; WaveLimiterHint : 0
; COMPUTE_PGM_RSRC2:SCRATCH_EN: 0
; COMPUTE_PGM_RSRC2:USER_SGPR: 2
; COMPUTE_PGM_RSRC2:TRAP_HANDLER: 0
; COMPUTE_PGM_RSRC2:TGID_X_EN: 1
; COMPUTE_PGM_RSRC2:TGID_Y_EN: 1
; COMPUTE_PGM_RSRC2:TGID_Z_EN: 1
; COMPUTE_PGM_RSRC2:TIDIG_COMP_CNT: 1
; COMPUTE_PGM_RSRC3_GFX90A:ACCUM_OFFSET: 29
; COMPUTE_PGM_RSRC3_GFX90A:TG_SPLIT: 0
	.section	.text._ZL13mul_mat_f_idsI15__hip_bfloat162Li64ELi13ELi1EEvPKT_PKfPKiS7_S7_Pfiiiiiiiiiiiiii15HIP_vector_typeIjLj3EESA_,"axG",@progbits,_ZL13mul_mat_f_idsI15__hip_bfloat162Li64ELi13ELi1EEvPKT_PKfPKiS7_S7_Pfiiiiiiiiiiiiii15HIP_vector_typeIjLj3EESA_,comdat
	.globl	_ZL13mul_mat_f_idsI15__hip_bfloat162Li64ELi13ELi1EEvPKT_PKfPKiS7_S7_Pfiiiiiiiiiiiiii15HIP_vector_typeIjLj3EESA_ ; -- Begin function _ZL13mul_mat_f_idsI15__hip_bfloat162Li64ELi13ELi1EEvPKT_PKfPKiS7_S7_Pfiiiiiiiiiiiiii15HIP_vector_typeIjLj3EESA_
	.p2align	8
	.type	_ZL13mul_mat_f_idsI15__hip_bfloat162Li64ELi13ELi1EEvPKT_PKfPKiS7_S7_Pfiiiiiiiiiiiiii15HIP_vector_typeIjLj3EESA_,@function
_ZL13mul_mat_f_idsI15__hip_bfloat162Li64ELi13ELi1EEvPKT_PKfPKiS7_S7_Pfiiiiiiiiiiiiii15HIP_vector_typeIjLj3EESA_: ; @_ZL13mul_mat_f_idsI15__hip_bfloat162Li64ELi13ELi1EEvPKT_PKfPKiS7_S7_Pfiiiiiiiiiiiiii15HIP_vector_typeIjLj3EESA_
; %bb.0:
	s_load_dwordx2 s[6:7], s[0:1], 0x20
	s_mov_b32 s34, s3
	s_ashr_i32 s35, s3, 31
	s_lshl_b64 s[8:9], s[34:35], 2
	s_waitcnt lgkmcnt(0)
	s_add_u32 s6, s6, s8
	s_addc_u32 s7, s7, s9
	s_load_dwordx2 s[28:29], s[6:7], 0x0
	s_waitcnt lgkmcnt(0)
	s_sub_i32 s26, s29, s28
	s_add_i32 s3, s26, 12
	s_mul_hi_i32 s3, s3, 0x4ec4ec4f
	s_lshr_b32 s5, s3, 31
	s_ashr_i32 s3, s3, 2
	s_add_i32 s3, s3, s5
	s_cmp_ge_i32 s4, s3
	s_cbranch_scc1 .LBB123_85
; %bb.1:
	v_bfe_u32 v2, v0, 10, 10
	v_lshlrev_b32_e32 v70, 6, v2
	v_and_b32_e32 v3, 0x3ff, v0
	s_load_dwordx4 s[12:15], s[0:1], 0x30
	s_load_dwordx2 s[20:21], s[0:1], 0x40
	s_load_dwordx4 s[8:11], s[0:1], 0x4c
	s_load_dwordx4 s[16:19], s[0:1], 0x68
	s_load_dwordx2 s[24:25], s[0:1], 0x78
	v_or_b32_e32 v72, v70, v3
	s_ashr_i32 s29, s28, 31
	s_waitcnt lgkmcnt(0)
	v_cmp_le_i32_e32 vcc, s12, v72
	v_and_b32_e32 v0, 15, v3
                                        ; implicit-def: $vgpr71
	s_and_saveexec_b64 s[6:7], vcc
	s_xor_b64 s[6:7], exec, s[6:7]
; %bb.2:
	v_mul_u32_u24_e32 v71, 0x108, v0
                                        ; implicit-def: $vgpr72
                                        ; implicit-def: $vgpr0
; %bb.3:
	s_or_saveexec_b64 s[30:31], s[6:7]
	s_load_dwordx2 s[22:23], s[0:1], 0x18
	s_load_dwordx2 s[6:7], s[0:1], 0x28
                                        ; implicit-def: $vgpr102 : SGPR spill to VGPR lane
	s_lshl_b32 s3, s2, 6
	s_mul_i32 s2, s4, 13
	v_mov_b32_e32 v1, 0
	v_accvgpr_write_b32 a4, 0
	s_waitcnt lgkmcnt(0)
	v_writelane_b32 v102, s6, 0
	v_accvgpr_write_b32 a5, 0
	v_accvgpr_write_b32 a6, 0
	;; [unrolled: 1-line block ×15, first 2 shown]
	v_writelane_b32 v102, s7, 1
	s_xor_b64 exec, exec, s[30:31]
	s_cbranch_execz .LBB123_46
; %bb.4:
	v_writelane_b32 v102, s30, 2
	v_mul_u32_u24_e32 v71, 0x108, v0
	v_lshrrev_b32_e32 v0, 1, v3
	v_writelane_b32 v102, s31, 3
	v_writelane_b32 v102, s22, 4
	v_and_b32_e32 v0, 0x1f8, v0
	v_lshlrev_b32_e32 v4, 2, v3
	v_writelane_b32 v102, s23, 5
	s_load_dwordx4 s[4:7], s[0:1], 0x0
	s_load_dwordx2 s[22:23], s[0:1], 0x10
	s_mul_i32 s0, s8, s34
	s_ashr_i32 s1, s0, 31
	v_writelane_b32 v102, s24, 6
	s_lshl_b64 s[64:65], s[0:1], 2
	s_waitcnt lgkmcnt(0)
	s_add_u32 s0, s4, s64
	v_writelane_b32 v102, s25, 7
	s_mul_i32 s24, s15, s3
	s_addc_u32 s1, s5, s65
	s_ashr_i32 s25, s24, 31
	s_lshl_b64 s[66:67], s[24:25], 2
	v_writelane_b32 v102, s3, 8
	s_add_u32 s0, s0, s66
	s_addc_u32 s1, s1, s67
	v_writelane_b32 v102, s28, 9
	s_lshl_b64 s[24:25], s[28:29], 2
	s_add_u32 s8, s22, s24
	s_addc_u32 s11, s23, s25
	s_cmp_lt_i32 s2, s26
	v_writelane_b32 v102, s29, 10
	s_movk_i32 s3, 0x1080
	s_cselect_b64 s[22:23], -1, 0
	v_mad_u32_u24 v5, v2, s3, 0
	v_writelane_b32 v102, s22, 11
	s_ashr_i32 s3, s2, 31
	v_add3_u32 v74, v5, v71, v0
	v_writelane_b32 v102, s23, 12
	s_lshl_b64 s[22:23], s[2:3], 2
	s_add_u32 s36, s8, s22
	s_addc_u32 s37, s11, s23
	s_add_i32 s3, s2, 1
	s_cmp_lt_i32 s3, s26
	s_cselect_b64 s[22:23], -1, 0
	s_add_i32 s3, s2, 2
	v_writelane_b32 v102, s22, 13
	s_cmp_lt_i32 s3, s26
	v_lshlrev_b32_e32 v0, 8, v2
	v_writelane_b32 v102, s23, 14
	s_cselect_b64 s[22:23], -1, 0
	s_add_i32 s3, s2, 3
	v_writelane_b32 v102, s22, 15
	s_cmp_lt_i32 s3, s26
	v_add_u32_e32 v73, v5, v4
	v_writelane_b32 v102, s23, 16
	s_cselect_b64 s[22:23], -1, 0
	s_add_i32 s3, s2, 4
	v_writelane_b32 v102, s22, 17
	s_cmp_lt_i32 s3, s26
	v_mov_b32_e32 v5, v1
	v_writelane_b32 v102, s23, 18
	s_cselect_b64 s[22:23], -1, 0
	s_add_i32 s3, s2, 5
	v_writelane_b32 v102, s22, 19
	s_cmp_lt_i32 s3, s26
	s_mul_i32 s8, s15, 3
	v_writelane_b32 v102, s23, 20
	s_cselect_b64 s[22:23], -1, 0
	s_add_i32 s3, s2, 6
	v_writelane_b32 v102, s22, 21
	s_cmp_lt_i32 s3, s26
	s_mul_i32 s69, s15, 5
	v_writelane_b32 v102, s23, 22
	s_cselect_b64 s[22:23], -1, 0
	s_add_i32 s3, s2, 7
	s_cmp_lt_i32 s3, s26
	s_cselect_b64 s[50:51], -1, 0
	s_add_i32 s3, s2, 8
	s_cmp_lt_i32 s3, s26
	;; [unrolled: 3-line block ×5, first 2 shown]
	s_cselect_b64 s[58:59], -1, 0
	s_add_i32 s3, s2, 12
	v_writelane_b32 v102, s22, 23
	s_cmp_lt_i32 s3, s26
	s_cselect_b64 s[60:61], -1, 0
	v_writelane_b32 v102, s23, 24
	s_ashr_i32 s23, s15, 31
	s_mov_b32 s22, s15
	s_add_i32 s3, s15, s15
	s_lshl_b32 s68, s15, 2
	s_lshl_b32 s72, s15, 3
	;; [unrolled: 1-line block ×4, first 2 shown]
	s_lshl_b64 s[62:63], s[22:23], 2
	s_add_u32 s22, s64, s66
	s_addc_u32 s23, s65, s67
	v_lshl_add_u64 v[6:7], s[22:23], 0, v[0:1]
	v_lshl_add_u64 v[4:5], v[6:7], 0, v[4:5]
	v_writelane_b32 v102, s26, 25
	s_mul_i32 s70, s15, 6
	s_mul_i32 s71, s15, 7
	;; [unrolled: 1-line block ×21, first 2 shown]
	v_accvgpr_write_b32 a15, 0
	v_accvgpr_write_b32 a14, 0
	;; [unrolled: 1-line block ×16, first 2 shown]
	v_lshl_add_u64 v[4:5], s[4:5], 0, v[4:5]
	s_mul_i32 s90, s15, 29
	s_mul_i32 s91, s15, 30
	;; [unrolled: 1-line block ×34, first 2 shown]
	s_mov_b32 s47, 0x5040100
	s_mov_b64 s[4:5], 0
	s_branch .LBB123_6
.LBB123_5:                              ;   in Loop: Header=BB123_6 Depth=1
	v_perm_b32 v0, v0, v75, s47
	v_perm_b32 v75, v77, v78, s47
	ds_write2_b32 v73, v0, v75 offset1:66
	v_perm_b32 v0, v79, v76, s47
	v_perm_b32 v75, v81, v82, s47
	ds_write2_b32 v73, v0, v75 offset0:132 offset1:198
	v_perm_b32 v0, v83, v80, s47
	v_perm_b32 v75, v85, v86, s47
	v_add_u32_e32 v76, 0x400, v73
	ds_write2_b32 v76, v0, v75 offset0:8 offset1:74
	v_perm_b32 v0, v87, v84, s47
	v_perm_b32 v75, v89, v90, s47
	ds_write2_b32 v76, v0, v75 offset0:140 offset1:206
	v_perm_b32 v0, v91, v88, s47
	v_perm_b32 v75, v93, v94, s47
	v_add_u32_e32 v76, 0x800, v73
	ds_write2_b32 v76, v0, v75 offset0:16 offset1:82
	v_perm_b32 v0, v95, v92, s47
	v_perm_b32 v75, v97, v98, s47
	ds_write2_b32 v76, v0, v75 offset0:148 offset1:214
	v_perm_b32 v0, v99, v96, s47
	v_add_u32_e32 v75, 0xc00, v73
	ds_write2_b32 v75, v0, v1 offset0:24 offset1:90
	ds_write2_b32 v75, v1, v1 offset0:156 offset1:222
	ds_read2_b64 v[76:79], v74 offset1:4
	s_waitcnt lgkmcnt(0)
	v_mfma_f32_16x16x16_bf16 a[4:7], v[12:13], v[76:77], a[4:7]
	v_add_u32_e32 v72, 64, v72
	s_mov_b64 vcc, 0x100
	v_lshl_add_u64 v[4:5], v[4:5], 0, vcc
	v_mfma_f32_16x16x16_bf16 a[0:3], v[38:39], v[76:77], a[0:3]
	v_cmp_le_i32_e32 vcc, s12, v72
	s_or_b64 s[4:5], vcc, s[4:5]
	v_mfma_f32_16x16x16_bf16 a[8:11], v[52:53], v[76:77], a[8:11]
	v_mfma_f32_16x16x16_bf16 a[12:15], v[68:69], v[76:77], a[12:15]
	;; [unrolled: 1-line block ×3, first 2 shown]
	ds_read2_b64 v[10:13], v74 offset0:8 offset1:12
	v_mfma_f32_16x16x16_bf16 a[0:3], v[36:37], v[78:79], a[0:3]
	v_mfma_f32_16x16x16_bf16 a[8:11], v[50:51], v[78:79], a[8:11]
	;; [unrolled: 1-line block ×3, first 2 shown]
	s_waitcnt lgkmcnt(0)
	v_mfma_f32_16x16x16_bf16 a[4:7], v[8:9], v[10:11], a[4:7]
	v_mfma_f32_16x16x16_bf16 a[0:3], v[32:33], v[10:11], a[0:3]
	v_mfma_f32_16x16x16_bf16 a[8:11], v[48:49], v[10:11], a[8:11]
	v_mfma_f32_16x16x16_bf16 a[12:15], v[62:63], v[10:11], a[12:15]
	v_mfma_f32_16x16x16_bf16 a[4:7], v[6:7], v[12:13], a[4:7]
	ds_read2_b64 v[6:9], v74 offset0:16 offset1:20
	v_mfma_f32_16x16x16_bf16 a[0:3], v[30:31], v[12:13], a[0:3]
	v_mfma_f32_16x16x16_bf16 a[8:11], v[46:47], v[12:13], a[8:11]
	;; [unrolled: 1-line block ×3, first 2 shown]
	s_waitcnt lgkmcnt(0)
	v_mfma_f32_16x16x16_bf16 a[4:7], v[20:21], v[6:7], a[4:7]
	v_mfma_f32_16x16x16_bf16 a[0:3], v[28:29], v[6:7], a[0:3]
	;; [unrolled: 1-line block ×8, first 2 shown]
	ds_read2_b64 v[6:9], v74 offset0:24 offset1:28
	s_waitcnt lgkmcnt(0)
	v_mfma_f32_16x16x16_bf16 a[4:7], v[16:17], v[6:7], a[4:7]
	v_mfma_f32_16x16x16_bf16 a[0:3], v[24:25], v[6:7], a[0:3]
	;; [unrolled: 1-line block ×8, first 2 shown]
	s_andn2_b64 exec, exec, s[4:5]
	s_cbranch_execz .LBB123_45
.LBB123_6:                              ; =>This Inner Loop Header: Depth=1
	v_lshl_add_u64 v[6:7], v[4:5], 0, s[62:63]
	global_load_dword v0, v[4:5], off
	global_load_dword v22, v[6:7], off
	v_add_u32_e32 v6, s3, v72
	v_add_u32_e32 v10, s68, v72
	;; [unrolled: 1-line block ×4, first 2 shown]
	v_ashrrev_i32_e32 v7, 31, v6
	v_add_u32_e32 v8, s8, v72
	v_ashrrev_i32_e32 v11, 31, v10
	v_ashrrev_i32_e32 v13, 31, v12
	v_add_u32_e32 v14, s70, v72
	v_add_u32_e32 v16, s71, v72
	v_ashrrev_i32_e32 v19, 31, v18
	v_add_u32_e32 v20, s73, v72
	v_lshl_add_u64 v[6:7], v[6:7], 2, s[0:1]
	v_ashrrev_i32_e32 v9, 31, v8
	v_lshl_add_u64 v[10:11], v[10:11], 2, s[0:1]
	v_lshl_add_u64 v[12:13], v[12:13], 2, s[0:1]
	v_ashrrev_i32_e32 v15, 31, v14
	v_ashrrev_i32_e32 v17, 31, v16
	v_lshl_add_u64 v[18:19], v[18:19], 2, s[0:1]
	v_ashrrev_i32_e32 v21, 31, v20
	v_lshl_add_u64 v[8:9], v[8:9], 2, s[0:1]
	v_lshl_add_u64 v[14:15], v[14:15], 2, s[0:1]
	;; [unrolled: 1-line block ×4, first 2 shown]
	global_load_dword v23, v[6:7], off
	global_load_dword v24, v[8:9], off
	;; [unrolled: 1-line block ×6, first 2 shown]
	s_nop 0
	global_load_dword v18, v[18:19], off
	s_nop 0
	global_load_dword v19, v[20:21], off
	v_add_u32_e32 v6, s74, v72
	v_add_u32_e32 v10, s76, v72
	;; [unrolled: 1-line block ×3, first 2 shown]
	v_ashrrev_i32_e32 v7, 31, v6
	v_add_u32_e32 v8, s75, v72
	v_ashrrev_i32_e32 v11, 31, v10
	v_ashrrev_i32_e32 v13, 31, v12
	v_add_u32_e32 v14, s78, v72
	v_add_u32_e32 v16, s79, v72
	v_lshl_add_u64 v[6:7], v[6:7], 2, s[0:1]
	v_ashrrev_i32_e32 v9, 31, v8
	v_lshl_add_u64 v[10:11], v[10:11], 2, s[0:1]
	v_lshl_add_u64 v[12:13], v[12:13], 2, s[0:1]
	v_ashrrev_i32_e32 v15, 31, v14
	v_ashrrev_i32_e32 v17, 31, v16
	v_lshl_add_u64 v[8:9], v[8:9], 2, s[0:1]
	v_lshl_add_u64 v[14:15], v[14:15], 2, s[0:1]
	;; [unrolled: 1-line block ×3, first 2 shown]
	global_load_dword v20, v[6:7], off
	global_load_dword v21, v[8:9], off
	s_nop 0
	global_load_dword v10, v[10:11], off
	s_nop 0
	;; [unrolled: 2-line block ×3, first 2 shown]
	global_load_dword v12, v[14:15], off
	global_load_dword v13, v[16:17], off
	v_add_u32_e32 v6, s80, v72
	v_add_u32_e32 v8, s81, v72
	v_ashrrev_i32_e32 v7, 31, v6
	v_ashrrev_i32_e32 v9, 31, v8
	v_lshl_add_u64 v[6:7], v[6:7], 2, s[0:1]
	v_add_u32_e32 v14, s82, v72
	v_lshl_add_u64 v[8:9], v[8:9], 2, s[0:1]
	global_load_dword v30, v[6:7], off
	global_load_dword v31, v[8:9], off
	v_ashrrev_i32_e32 v15, 31, v14
	v_add_u32_e32 v16, s83, v72
	v_lshl_add_u64 v[14:15], v[14:15], 2, s[0:1]
	v_ashrrev_i32_e32 v17, 31, v16
	v_lshl_add_u64 v[16:17], v[16:17], 2, s[0:1]
	v_readlane_b32 s48, v102, 11
	v_readlane_b32 s49, v102, 12
	s_andn2_b64 vcc, exec, s[48:49]
	s_waitcnt vmcnt(17)
	ds_write_b32 v73, v0
	s_waitcnt vmcnt(16)
	ds_write_b32 v73, v22 offset:264
	s_waitcnt vmcnt(15)
	ds_write_b32 v73, v23 offset:528
	;; [unrolled: 2-line block ×15, first 2 shown]
	v_add_u32_e32 v18, s84, v72
	v_add_u32_e32 v20, s64, v72
	;; [unrolled: 1-line block ×6, first 2 shown]
	v_ashrrev_i32_e32 v19, 31, v18
	v_ashrrev_i32_e32 v21, 31, v20
	;; [unrolled: 1-line block ×6, first 2 shown]
	ds_read_b64 v[12:13], v74
	ds_read_b64 v[10:11], v74 offset:32
	ds_read_b64 v[8:9], v74 offset:64
	;; [unrolled: 1-line block ×3, first 2 shown]
	v_lshl_add_u64 v[18:19], v[18:19], 2, s[0:1]
	v_lshl_add_u64 v[20:21], v[20:21], 2, s[0:1]
	v_lshl_add_u64 v[22:23], v[22:23], 2, s[0:1]
	v_lshl_add_u64 v[24:25], v[24:25], 2, s[0:1]
	v_lshl_add_u64 v[26:27], v[26:27], 2, s[0:1]
	v_lshl_add_u64 v[28:29], v[28:29], 2, s[0:1]
	global_load_dword v0, v[14:15], off
	global_load_dword v32, v[16:17], off
	global_load_dword v33, v[18:19], off
	global_load_dword v34, v[20:21], off
	global_load_dword v35, v[22:23], off
	global_load_dword v36, v[24:25], off
	global_load_dword v37, v[26:27], off
	global_load_dword v38, v[28:29], off
	v_add_u32_e32 v14, s87, v72
	v_ashrrev_i32_e32 v15, 31, v14
	v_add_u32_e32 v16, s88, v72
	v_add_u32_e32 v18, s89, v72
	v_add_u32_e32 v20, s90, v72
	v_add_u32_e32 v22, s91, v72
	v_add_u32_e32 v24, s92, v72
	v_add_u32_e32 v26, s85, v72
	v_add_u32_e32 v28, s93, v72
	v_lshl_add_u64 v[14:15], v[14:15], 2, s[0:1]
	v_ashrrev_i32_e32 v17, 31, v16
	v_ashrrev_i32_e32 v19, 31, v18
	v_ashrrev_i32_e32 v21, 31, v20
	v_ashrrev_i32_e32 v23, 31, v22
	v_ashrrev_i32_e32 v25, 31, v24
	v_ashrrev_i32_e32 v27, 31, v26
	v_ashrrev_i32_e32 v29, 31, v28
	v_lshl_add_u64 v[16:17], v[16:17], 2, s[0:1]
	v_lshl_add_u64 v[18:19], v[18:19], 2, s[0:1]
	v_lshl_add_u64 v[20:21], v[20:21], 2, s[0:1]
	v_lshl_add_u64 v[22:23], v[22:23], 2, s[0:1]
	v_lshl_add_u64 v[24:25], v[24:25], 2, s[0:1]
	v_lshl_add_u64 v[26:27], v[26:27], 2, s[0:1]
	v_lshl_add_u64 v[28:29], v[28:29], 2, s[0:1]
	global_load_dword v39, v[14:15], off
	global_load_dword v40, v[16:17], off
	global_load_dword v41, v[18:19], off
	global_load_dword v42, v[20:21], off
	global_load_dword v43, v[22:23], off
	global_load_dword v44, v[24:25], off
	global_load_dword v45, v[26:27], off
	global_load_dword v46, v[28:29], off
	v_add_u32_e32 v14, s94, v72
	v_ashrrev_i32_e32 v15, 31, v14
	v_add_u32_e32 v16, s95, v72
	v_add_u32_e32 v18, s96, v72
	v_add_u32_e32 v20, s97, v72
	v_add_u32_e32 v22, s98, v72
	v_add_u32_e32 v24, s99, v72
	v_add_u32_e32 v26, s11, v72
	v_add_u32_e32 v28, s28, v72
	v_lshl_add_u64 v[14:15], v[14:15], 2, s[0:1]
	v_ashrrev_i32_e32 v17, 31, v16
	v_ashrrev_i32_e32 v19, 31, v18
	v_ashrrev_i32_e32 v21, 31, v20
	v_ashrrev_i32_e32 v23, 31, v22
	v_ashrrev_i32_e32 v25, 31, v24
	v_ashrrev_i32_e32 v27, 31, v26
	v_ashrrev_i32_e32 v29, 31, v28
	v_lshl_add_u64 v[16:17], v[16:17], 2, s[0:1]
	;; [unrolled: 32-line block ×4, first 2 shown]
	v_lshl_add_u64 v[18:19], v[18:19], 2, s[0:1]
	v_lshl_add_u64 v[20:21], v[20:21], 2, s[0:1]
	;; [unrolled: 1-line block ×6, first 2 shown]
	global_load_dword v63, v[14:15], off
	global_load_dword v64, v[16:17], off
	;; [unrolled: 1-line block ×8, first 2 shown]
	v_add_u32_e32 v14, s42, v72
	v_ashrrev_i32_e32 v15, 31, v14
	v_add_u32_e32 v16, s43, v72
	v_add_u32_e32 v18, s44, v72
	;; [unrolled: 1-line block ×5, first 2 shown]
	v_lshl_add_u64 v[14:15], v[14:15], 2, s[0:1]
	v_ashrrev_i32_e32 v17, 31, v16
	v_ashrrev_i32_e32 v19, 31, v18
	;; [unrolled: 1-line block ×5, first 2 shown]
	v_lshl_add_u64 v[16:17], v[16:17], 2, s[0:1]
	v_lshl_add_u64 v[18:19], v[18:19], 2, s[0:1]
	;; [unrolled: 1-line block ×5, first 2 shown]
	global_load_dword v76, v[14:15], off
	global_load_dword v77, v[16:17], off
	;; [unrolled: 1-line block ×6, first 2 shown]
	ds_read_b64 v[20:21], v74 offset:128
	ds_read_b64 v[18:19], v74 offset:160
	ds_read_b64 v[16:17], v74 offset:192
	ds_read_b64 v[14:15], v74 offset:224
	s_waitcnt vmcnt(47)
	ds_write_b32 v73, v30
	s_waitcnt vmcnt(46)
	ds_write_b32 v73, v31 offset:264
	s_waitcnt vmcnt(45)
	ds_write_b32 v73, v0 offset:528
	s_waitcnt vmcnt(44)
	ds_write_b32 v73, v32 offset:792
	s_waitcnt vmcnt(43)
	ds_write_b32 v73, v33 offset:1056
	s_waitcnt vmcnt(42)
	ds_write_b32 v73, v34 offset:1320
	s_waitcnt vmcnt(41)
	ds_write_b32 v73, v35 offset:1584
	s_waitcnt vmcnt(40)
	ds_write_b32 v73, v36 offset:1848
	s_waitcnt vmcnt(39)
	ds_write_b32 v73, v37 offset:2112
	s_waitcnt vmcnt(38)
	ds_write_b32 v73, v38 offset:2376
	s_waitcnt vmcnt(37)
	ds_write_b32 v73, v39 offset:2640
	s_waitcnt vmcnt(36)
	ds_write_b32 v73, v40 offset:2904
	s_waitcnt vmcnt(35)
	ds_write_b32 v73, v41 offset:3168
	s_waitcnt vmcnt(34)
	ds_write_b32 v73, v42 offset:3432
	s_waitcnt vmcnt(33)
	ds_write_b32 v73, v43 offset:3696
	s_waitcnt vmcnt(32)
	ds_write_b32 v73, v44 offset:3960
	ds_read_b64 v[38:39], v74
	ds_read_b64 v[36:37], v74 offset:32
	ds_read_b64 v[32:33], v74 offset:64
	ds_read_b64 v[30:31], v74 offset:96
	ds_read_b64 v[28:29], v74 offset:128
	ds_read_b64 v[26:27], v74 offset:160
	ds_read_b64 v[24:25], v74 offset:192
	ds_read_b64 v[22:23], v74 offset:224
	s_waitcnt vmcnt(31)
	ds_write_b32 v73, v45
	s_waitcnt vmcnt(30)
	ds_write_b32 v73, v46 offset:264
	s_waitcnt vmcnt(29)
	ds_write_b32 v73, v47 offset:528
	s_waitcnt vmcnt(28)
	ds_write_b32 v73, v48 offset:792
	s_waitcnt vmcnt(27)
	ds_write_b32 v73, v49 offset:1056
	s_waitcnt vmcnt(26)
	ds_write_b32 v73, v50 offset:1320
	s_waitcnt vmcnt(25)
	ds_write_b32 v73, v51 offset:1584
	s_waitcnt vmcnt(24)
	ds_write_b32 v73, v52 offset:1848
	s_waitcnt vmcnt(23)
	ds_write_b32 v73, v53 offset:2112
	s_waitcnt vmcnt(22)
	ds_write_b32 v73, v54 offset:2376
	s_waitcnt vmcnt(21)
	ds_write_b32 v73, v55 offset:2640
	s_waitcnt vmcnt(20)
	ds_write_b32 v73, v56 offset:2904
	s_waitcnt vmcnt(19)
	ds_write_b32 v73, v57 offset:3168
	s_waitcnt vmcnt(18)
	ds_write_b32 v73, v58 offset:3432
	s_waitcnt vmcnt(17)
	ds_write_b32 v73, v59 offset:3696
	s_waitcnt vmcnt(16)
	ds_write_b32 v73, v60 offset:3960
	ds_read_b64 v[52:53], v74
	ds_read_b64 v[50:51], v74 offset:32
	ds_read_b64 v[48:49], v74 offset:64
	ds_read_b64 v[46:47], v74 offset:96
	;; [unrolled: 40-line block ×3, first 2 shown]
	ds_read_b64 v[64:65], v74 offset:128
	ds_read_b64 v[60:61], v74 offset:160
	;; [unrolled: 1-line block ×4, first 2 shown]
	v_mov_b32_e32 v75, 0
	v_mov_b32_e32 v0, 0
	s_cbranch_vccnz .LBB123_9
; %bb.7:                                ;   in Loop: Header=BB123_6 Depth=1
	s_load_dword vcc_lo, s[36:37], 0x0
	v_mov_b32_e32 v0, 0
	v_mov_b32_e32 v75, 0
	s_waitcnt lgkmcnt(0)
	s_mul_hi_u32 vcc_hi, vcc_lo, s16
	s_add_i32 vcc_hi, vcc_lo, vcc_hi
	s_lshr_b32 s48, vcc_hi, s17
	s_cmp_ge_i32 s48, s13
	s_cbranch_scc1 .LBB123_9
; %bb.8:                                ;   in Loop: Header=BB123_6 Depth=1
	s_mul_i32 vcc_hi, s48, s18
	s_sub_i32 s49, vcc_lo, vcc_hi
	s_mul_i32 s48, s48, s20
	s_mul_i32 s49, s49, s9
	v_add_u32_e32 v0, s48, v72
	v_lshl_add_u32 v76, v0, 1, s49
	v_ashrrev_i32_e32 v77, 31, v76
	v_lshl_add_u64 v[76:77], v[76:77], 2, s[6:7]
	global_load_dwordx2 v[76:77], v[76:77], off
	s_waitcnt vmcnt(0)
	v_cvt_pk_bf16_f32 v75, v76, s0
	v_cvt_pk_bf16_f32 v0, v77, s0
.LBB123_9:                              ;   in Loop: Header=BB123_6 Depth=1
	v_readlane_b32 s48, v102, 13
	v_readlane_b32 s49, v102, 14
	v_mov_b32_e32 v76, 0
	s_andn2_b64 vcc, exec, s[48:49]
	v_mov_b32_e32 v78, 0
	v_mov_b32_e32 v77, 0
	s_cbranch_vccnz .LBB123_12
; %bb.10:                               ;   in Loop: Header=BB123_6 Depth=1
	s_load_dword vcc_lo, s[36:37], 0x4
	v_mov_b32_e32 v77, 0
	v_mov_b32_e32 v78, 0
	s_waitcnt lgkmcnt(0)
	s_mul_hi_u32 s48, vcc_lo, s16
	s_add_i32 s48, vcc_lo, s48
	s_lshr_b32 vcc_hi, s48, s17
	s_cmp_ge_i32 vcc_hi, s13
	s_cbranch_scc1 .LBB123_12
; %bb.11:                               ;   in Loop: Header=BB123_6 Depth=1
	s_mul_i32 s48, vcc_hi, s18
	s_sub_i32 s48, vcc_lo, s48
	s_mul_i32 vcc_hi, vcc_hi, s20
	s_mul_i32 s48, s48, s9
	v_add_u32_e32 v77, vcc_hi, v72
	v_lshl_add_u32 v78, v77, 1, s48
	v_ashrrev_i32_e32 v79, 31, v78
	v_lshl_add_u64 v[78:79], v[78:79], 2, s[6:7]
	global_load_dwordx2 v[78:79], v[78:79], off
	s_waitcnt vmcnt(0)
	v_cvt_pk_bf16_f32 v78, v78, s0
	v_cvt_pk_bf16_f32 v77, v79, s0
.LBB123_12:                             ;   in Loop: Header=BB123_6 Depth=1
	v_readlane_b32 s48, v102, 15
	v_readlane_b32 s49, v102, 16
	s_andn2_b64 vcc, exec, s[48:49]
	v_mov_b32_e32 v79, 0
	s_cbranch_vccnz .LBB123_15
; %bb.13:                               ;   in Loop: Header=BB123_6 Depth=1
	s_load_dword vcc_lo, s[36:37], 0x8
	v_mov_b32_e32 v79, 0
	v_mov_b32_e32 v76, 0
	s_waitcnt lgkmcnt(0)
	s_mul_hi_u32 s48, vcc_lo, s16
	s_add_i32 s48, vcc_lo, s48
	s_lshr_b32 vcc_hi, s48, s17
	s_cmp_ge_i32 vcc_hi, s13
	s_cbranch_scc1 .LBB123_15
; %bb.14:                               ;   in Loop: Header=BB123_6 Depth=1
	s_mul_i32 s48, vcc_hi, s18
	s_sub_i32 s48, vcc_lo, s48
	s_mul_i32 vcc_hi, vcc_hi, s20
	s_mul_i32 s48, s48, s9
	v_add_u32_e32 v76, vcc_hi, v72
	v_lshl_add_u32 v80, v76, 1, s48
	v_ashrrev_i32_e32 v81, 31, v80
	v_lshl_add_u64 v[80:81], v[80:81], 2, s[6:7]
	global_load_dwordx2 v[80:81], v[80:81], off
	s_waitcnt vmcnt(0)
	v_cvt_pk_bf16_f32 v76, v80, s0
	v_cvt_pk_bf16_f32 v79, v81, s0
.LBB123_15:                             ;   in Loop: Header=BB123_6 Depth=1
	v_readlane_b32 s48, v102, 17
	v_readlane_b32 s49, v102, 18
	v_mov_b32_e32 v80, 0
	s_andn2_b64 vcc, exec, s[48:49]
	v_mov_b32_e32 v82, 0
	v_mov_b32_e32 v81, 0
	s_cbranch_vccnz .LBB123_18
; %bb.16:                               ;   in Loop: Header=BB123_6 Depth=1
	s_load_dword vcc_lo, s[36:37], 0xc
	v_mov_b32_e32 v81, 0
	v_mov_b32_e32 v82, 0
	s_waitcnt lgkmcnt(0)
	s_mul_hi_u32 s48, vcc_lo, s16
	s_add_i32 s48, vcc_lo, s48
	s_lshr_b32 vcc_hi, s48, s17
	s_cmp_ge_i32 vcc_hi, s13
	s_cbranch_scc1 .LBB123_18
; %bb.17:                               ;   in Loop: Header=BB123_6 Depth=1
	s_mul_i32 s48, vcc_hi, s18
	s_sub_i32 s48, vcc_lo, s48
	s_mul_i32 vcc_hi, vcc_hi, s20
	s_mul_i32 s48, s48, s9
	v_add_u32_e32 v81, vcc_hi, v72
	v_lshl_add_u32 v82, v81, 1, s48
	v_ashrrev_i32_e32 v83, 31, v82
	v_lshl_add_u64 v[82:83], v[82:83], 2, s[6:7]
	global_load_dwordx2 v[82:83], v[82:83], off
	s_waitcnt vmcnt(0)
	v_cvt_pk_bf16_f32 v82, v82, s0
	v_cvt_pk_bf16_f32 v81, v83, s0
.LBB123_18:                             ;   in Loop: Header=BB123_6 Depth=1
	v_readlane_b32 s48, v102, 19
	v_readlane_b32 s49, v102, 20
	s_andn2_b64 vcc, exec, s[48:49]
	v_mov_b32_e32 v83, 0
	s_cbranch_vccnz .LBB123_21
; %bb.19:                               ;   in Loop: Header=BB123_6 Depth=1
	s_load_dword vcc_lo, s[36:37], 0x10
	v_mov_b32_e32 v83, 0
	v_mov_b32_e32 v80, 0
	s_waitcnt lgkmcnt(0)
	s_mul_hi_u32 s48, vcc_lo, s16
	s_add_i32 s48, vcc_lo, s48
	s_lshr_b32 vcc_hi, s48, s17
	s_cmp_ge_i32 vcc_hi, s13
	s_cbranch_scc1 .LBB123_21
; %bb.20:                               ;   in Loop: Header=BB123_6 Depth=1
	s_mul_i32 s48, vcc_hi, s18
	s_sub_i32 s48, vcc_lo, s48
	s_mul_i32 vcc_hi, vcc_hi, s20
	s_mul_i32 s48, s48, s9
	v_add_u32_e32 v80, vcc_hi, v72
	v_lshl_add_u32 v84, v80, 1, s48
	v_ashrrev_i32_e32 v85, 31, v84
	v_lshl_add_u64 v[84:85], v[84:85], 2, s[6:7]
	global_load_dwordx2 v[84:85], v[84:85], off
	s_waitcnt vmcnt(0)
	v_cvt_pk_bf16_f32 v80, v84, s0
	v_cvt_pk_bf16_f32 v83, v85, s0
.LBB123_21:                             ;   in Loop: Header=BB123_6 Depth=1
	;; [unrolled: 60-line block ×3, first 2 shown]
	v_mov_b32_e32 v88, 0
	s_andn2_b64 vcc, exec, s[50:51]
	v_mov_b32_e32 v90, 0
	v_mov_b32_e32 v89, 0
	s_cbranch_vccnz .LBB123_30
; %bb.28:                               ;   in Loop: Header=BB123_6 Depth=1
	s_load_dword vcc_lo, s[36:37], 0x1c
	v_mov_b32_e32 v89, 0
	v_mov_b32_e32 v90, 0
	s_waitcnt lgkmcnt(0)
	s_mul_hi_u32 s48, vcc_lo, s16
	s_add_i32 s48, vcc_lo, s48
	s_lshr_b32 vcc_hi, s48, s17
	s_cmp_ge_i32 vcc_hi, s13
	s_cbranch_scc1 .LBB123_30
; %bb.29:                               ;   in Loop: Header=BB123_6 Depth=1
	s_mul_i32 s48, vcc_hi, s18
	s_sub_i32 s48, vcc_lo, s48
	s_mul_i32 vcc_hi, vcc_hi, s20
	s_mul_i32 s48, s48, s9
	v_add_u32_e32 v89, vcc_hi, v72
	v_lshl_add_u32 v90, v89, 1, s48
	v_ashrrev_i32_e32 v91, 31, v90
	v_lshl_add_u64 v[90:91], v[90:91], 2, s[6:7]
	global_load_dwordx2 v[90:91], v[90:91], off
	s_waitcnt vmcnt(0)
	v_cvt_pk_bf16_f32 v90, v90, s0
	v_cvt_pk_bf16_f32 v89, v91, s0
.LBB123_30:                             ;   in Loop: Header=BB123_6 Depth=1
	s_andn2_b64 vcc, exec, s[52:53]
	v_mov_b32_e32 v91, 0
	s_cbranch_vccnz .LBB123_33
; %bb.31:                               ;   in Loop: Header=BB123_6 Depth=1
	s_load_dword vcc_lo, s[36:37], 0x20
	v_mov_b32_e32 v91, 0
	v_mov_b32_e32 v88, 0
	s_waitcnt lgkmcnt(0)
	s_mul_hi_u32 s48, vcc_lo, s16
	s_add_i32 s48, vcc_lo, s48
	s_lshr_b32 vcc_hi, s48, s17
	s_cmp_ge_i32 vcc_hi, s13
	s_cbranch_scc1 .LBB123_33
; %bb.32:                               ;   in Loop: Header=BB123_6 Depth=1
	s_mul_i32 s48, vcc_hi, s18
	s_sub_i32 s48, vcc_lo, s48
	s_mul_i32 vcc_hi, vcc_hi, s20
	s_mul_i32 s48, s48, s9
	v_add_u32_e32 v88, vcc_hi, v72
	v_lshl_add_u32 v92, v88, 1, s48
	v_ashrrev_i32_e32 v93, 31, v92
	v_lshl_add_u64 v[92:93], v[92:93], 2, s[6:7]
	global_load_dwordx2 v[92:93], v[92:93], off
	s_waitcnt vmcnt(0)
	v_cvt_pk_bf16_f32 v88, v92, s0
	v_cvt_pk_bf16_f32 v91, v93, s0
.LBB123_33:                             ;   in Loop: Header=BB123_6 Depth=1
	v_mov_b32_e32 v92, 0
	s_andn2_b64 vcc, exec, s[54:55]
	v_mov_b32_e32 v94, 0
	v_mov_b32_e32 v93, 0
	s_cbranch_vccnz .LBB123_36
; %bb.34:                               ;   in Loop: Header=BB123_6 Depth=1
	s_load_dword vcc_lo, s[36:37], 0x24
	v_mov_b32_e32 v93, 0
	v_mov_b32_e32 v94, 0
	s_waitcnt lgkmcnt(0)
	s_mul_hi_u32 s48, vcc_lo, s16
	s_add_i32 s48, vcc_lo, s48
	s_lshr_b32 vcc_hi, s48, s17
	s_cmp_ge_i32 vcc_hi, s13
	s_cbranch_scc1 .LBB123_36
; %bb.35:                               ;   in Loop: Header=BB123_6 Depth=1
	s_mul_i32 s48, vcc_hi, s18
	s_sub_i32 s48, vcc_lo, s48
	s_mul_i32 vcc_hi, vcc_hi, s20
	s_mul_i32 s48, s48, s9
	v_add_u32_e32 v93, vcc_hi, v72
	v_lshl_add_u32 v94, v93, 1, s48
	v_ashrrev_i32_e32 v95, 31, v94
	v_lshl_add_u64 v[94:95], v[94:95], 2, s[6:7]
	global_load_dwordx2 v[94:95], v[94:95], off
	s_waitcnt vmcnt(0)
	v_cvt_pk_bf16_f32 v94, v94, s0
	v_cvt_pk_bf16_f32 v93, v95, s0
.LBB123_36:                             ;   in Loop: Header=BB123_6 Depth=1
	s_andn2_b64 vcc, exec, s[56:57]
	v_mov_b32_e32 v95, 0
	s_cbranch_vccnz .LBB123_39
; %bb.37:                               ;   in Loop: Header=BB123_6 Depth=1
	s_load_dword vcc_lo, s[36:37], 0x28
	v_mov_b32_e32 v95, 0
	v_mov_b32_e32 v92, 0
	s_waitcnt lgkmcnt(0)
	s_mul_hi_u32 s48, vcc_lo, s16
	s_add_i32 s48, vcc_lo, s48
	s_lshr_b32 vcc_hi, s48, s17
	s_cmp_ge_i32 vcc_hi, s13
	s_cbranch_scc1 .LBB123_39
; %bb.38:                               ;   in Loop: Header=BB123_6 Depth=1
	s_mul_i32 s48, vcc_hi, s18
	s_sub_i32 s48, vcc_lo, s48
	s_mul_i32 vcc_hi, vcc_hi, s20
	s_mul_i32 s48, s48, s9
	v_add_u32_e32 v92, vcc_hi, v72
	v_lshl_add_u32 v96, v92, 1, s48
	v_ashrrev_i32_e32 v97, 31, v96
	v_lshl_add_u64 v[96:97], v[96:97], 2, s[6:7]
	global_load_dwordx2 v[96:97], v[96:97], off
	s_waitcnt vmcnt(0)
	v_cvt_pk_bf16_f32 v92, v96, s0
	v_cvt_pk_bf16_f32 v95, v97, s0
.LBB123_39:                             ;   in Loop: Header=BB123_6 Depth=1
	v_mov_b32_e32 v96, 0
	s_andn2_b64 vcc, exec, s[58:59]
	v_mov_b32_e32 v98, 0
	v_mov_b32_e32 v97, 0
	s_cbranch_vccnz .LBB123_42
; %bb.40:                               ;   in Loop: Header=BB123_6 Depth=1
	s_load_dword vcc_lo, s[36:37], 0x2c
	v_mov_b32_e32 v97, 0
	v_mov_b32_e32 v98, 0
	s_waitcnt lgkmcnt(0)
	s_mul_hi_u32 s48, vcc_lo, s16
	s_add_i32 s48, vcc_lo, s48
	s_lshr_b32 vcc_hi, s48, s17
	s_cmp_ge_i32 vcc_hi, s13
	s_cbranch_scc1 .LBB123_42
; %bb.41:                               ;   in Loop: Header=BB123_6 Depth=1
	s_mul_i32 s48, vcc_hi, s18
	s_sub_i32 s48, vcc_lo, s48
	s_mul_i32 vcc_hi, vcc_hi, s20
	s_mul_i32 s48, s48, s9
	v_add_u32_e32 v97, vcc_hi, v72
	v_lshl_add_u32 v98, v97, 1, s48
	v_ashrrev_i32_e32 v99, 31, v98
	v_lshl_add_u64 v[98:99], v[98:99], 2, s[6:7]
	global_load_dwordx2 v[98:99], v[98:99], off
	s_waitcnt vmcnt(0)
	v_cvt_pk_bf16_f32 v98, v98, s0
	v_cvt_pk_bf16_f32 v97, v99, s0
.LBB123_42:                             ;   in Loop: Header=BB123_6 Depth=1
	s_andn2_b64 vcc, exec, s[60:61]
	v_mov_b32_e32 v99, 0
	s_cbranch_vccnz .LBB123_5
; %bb.43:                               ;   in Loop: Header=BB123_6 Depth=1
	s_load_dword vcc_lo, s[36:37], 0x30
	v_mov_b32_e32 v99, 0
	v_mov_b32_e32 v96, 0
	s_waitcnt lgkmcnt(0)
	s_mul_hi_u32 s48, vcc_lo, s16
	s_add_i32 s48, vcc_lo, s48
	s_lshr_b32 vcc_hi, s48, s17
	s_cmp_ge_i32 vcc_hi, s13
	s_cbranch_scc1 .LBB123_5
; %bb.44:                               ;   in Loop: Header=BB123_6 Depth=1
	s_mul_i32 s48, vcc_hi, s18
	s_sub_i32 s48, vcc_lo, s48
	s_mul_i32 vcc_hi, vcc_hi, s20
	s_mul_i32 s48, s48, s9
	v_add_u32_e32 v96, vcc_hi, v72
	v_lshl_add_u32 v100, v96, 1, s48
	v_ashrrev_i32_e32 v101, 31, v100
	v_lshl_add_u64 v[100:101], v[100:101], 2, s[6:7]
	global_load_dwordx2 v[100:101], v[100:101], off
	s_waitcnt vmcnt(0)
	v_cvt_pk_bf16_f32 v96, v100, s0
	v_cvt_pk_bf16_f32 v99, v101, s0
	s_branch .LBB123_5
.LBB123_45:
	s_or_b64 exec, exec, s[4:5]
	v_readlane_b32 s24, v102, 6
	v_readlane_b32 s28, v102, 9
	;; [unrolled: 1-line block ×10, first 2 shown]
.LBB123_46:
	s_or_b64 exec, exec, s[30:31]
	v_lshl_add_u32 v0, v70, 2, 0
	v_and_b32_e32 v1, 0x3f0, v3
	v_add3_u32 v0, v0, v71, v1
	v_accvgpr_read_b32 v1, a5
	v_accvgpr_read_b32 v4, a4
	ds_write2_b32 v0, v4, v1 offset1:1
	v_accvgpr_read_b32 v1, a7
	v_accvgpr_read_b32 v4, a6
	ds_write2_b32 v0, v4, v1 offset0:2 offset1:3
	v_accvgpr_read_b32 v1, a1
	v_accvgpr_read_b32 v4, a0
	ds_write2_b32 v0, v4, v1 offset0:16 offset1:17
	v_accvgpr_read_b32 v1, a3
	v_accvgpr_read_b32 v4, a2
	ds_write2_b32 v0, v4, v1 offset0:18 offset1:19
	v_accvgpr_read_b32 v1, a9
	v_accvgpr_read_b32 v4, a8
	s_lshl_b64 s[0:1], s[28:29], 2
	ds_write2_b32 v0, v4, v1 offset0:32 offset1:33
	v_accvgpr_read_b32 v1, a11
	v_accvgpr_read_b32 v4, a10
	s_add_u32 s4, s22, s0
	ds_write2_b32 v0, v4, v1 offset0:34 offset1:35
	v_accvgpr_read_b32 v1, a13
	v_accvgpr_read_b32 v4, a12
	s_addc_u32 s5, s23, s1
	ds_write2_b32 v0, v4, v1 offset0:48 offset1:49
	v_accvgpr_read_b32 v1, a15
	v_accvgpr_read_b32 v4, a14
	ds_write2_b32 v0, v4, v1 offset0:50 offset1:51
	s_cmp_gt_i32 s14, 0
	v_add_u32_e32 v0, s2, v2
	s_cselect_b64 s[6:7], -1, 0
	v_cmp_gt_i32_e64 s[0:1], s26, v0
	v_cmp_gt_u32_e32 vcc, 13, v2
	s_and_b64 s[0:1], s[6:7], s[0:1]
	v_lshl_add_u32 v5, v3, 2, 0
	v_add_u32_e32 v4, s3, v3
	v_mul_u32_u24_e32 v6, 0x108, v2
	s_and_b64 s[8:9], vcc, s[0:1]
	s_and_saveexec_b64 s[0:1], s[8:9]
	v_readlane_b32 s14, v102, 0
	v_readlane_b32 s15, v102, 1
	s_cbranch_execz .LBB123_49
; %bb.47:
	v_ashrrev_i32_e32 v1, 31, v0
	v_lshl_add_u64 v[8:9], v[0:1], 2, s[4:5]
	global_load_dword v1, v[8:9], off
	s_waitcnt vmcnt(0)
	v_mul_hi_u32 v3, v1, s19
	v_add_u32_e32 v3, v1, v3
	v_lshrrev_b32_e32 v3, s24, v3
	v_cmp_gt_i32_e32 vcc, s13, v3
	s_and_b64 exec, exec, vcc
	s_cbranch_execz .LBB123_49
; %bb.48:
	v_add_u32_e32 v7, v5, v6
	ds_read_b32 v7, v7
	v_mul_lo_u32 v8, v3, s25
	v_sub_u32_e32 v1, v1, v8
	v_mul_lo_u32 v3, v3, s21
	v_mul_lo_u32 v1, v1, s10
	v_add3_u32 v8, v4, v3, v1
	v_mov_b32_e32 v9, 0
	s_waitcnt lgkmcnt(0)
	v_add_f32_e32 v7, 0, v7
	v_lshl_add_u64 v[8:9], v[8:9], 2, s[14:15]
	global_store_dword v[8:9], v7, off
.LBB123_49:
	s_or_b64 exec, exec, s[0:1]
	v_add_u32_e32 v1, 1, v0
	v_cmp_gt_i32_e64 s[0:1], s26, v1
	v_cmp_gt_u32_e32 vcc, 12, v2
	s_and_b64 s[0:1], s[6:7], s[0:1]
	s_and_b64 s[8:9], vcc, s[0:1]
	s_and_saveexec_b64 s[0:1], s[8:9]
	s_cbranch_execz .LBB123_52
; %bb.50:
	s_ashr_i32 s3, s2, 31
	v_mov_b32_e32 v3, 0
	v_lshl_add_u64 v[8:9], v[2:3], 0, s[2:3]
	v_lshl_add_u64 v[8:9], v[8:9], 2, s[4:5]
	global_load_dword v1, v[8:9], off offset:4
	s_waitcnt vmcnt(0)
	v_mul_hi_u32 v7, v1, s19
	v_add_u32_e32 v7, v1, v7
	v_lshrrev_b32_e32 v7, s24, v7
	v_cmp_gt_i32_e32 vcc, s13, v7
	s_and_b64 exec, exec, vcc
	s_cbranch_execz .LBB123_52
; %bb.51:
	v_add_u32_e32 v8, v6, v5
	ds_read_b32 v8, v8 offset:264
	v_mul_lo_u32 v9, v7, s25
	v_sub_u32_e32 v1, v1, v9
	v_mul_lo_u32 v7, v7, s21
	v_mul_lo_u32 v1, v1, s10
	s_waitcnt lgkmcnt(0)
	v_add_f32_e32 v10, 0, v8
	v_add3_u32 v8, v4, v7, v1
	v_mov_b32_e32 v9, v3
	v_lshl_add_u64 v[8:9], v[8:9], 2, s[14:15]
	global_store_dword v[8:9], v10, off
.LBB123_52:
	s_or_b64 exec, exec, s[0:1]
	v_add_u32_e32 v1, 2, v0
	v_cmp_gt_i32_e64 s[0:1], s26, v1
	v_cmp_gt_u32_e32 vcc, 11, v2
	s_and_b64 s[0:1], s[6:7], s[0:1]
	s_and_b64 s[8:9], vcc, s[0:1]
	s_and_saveexec_b64 s[0:1], s[8:9]
	s_cbranch_execz .LBB123_55
; %bb.53:
	s_ashr_i32 s3, s2, 31
	v_mov_b32_e32 v3, 0
	v_lshl_add_u64 v[8:9], v[2:3], 0, s[2:3]
	v_lshl_add_u64 v[8:9], v[8:9], 2, s[4:5]
	global_load_dword v1, v[8:9], off offset:8
	s_waitcnt vmcnt(0)
	v_mul_hi_u32 v7, v1, s19
	v_add_u32_e32 v7, v1, v7
	v_lshrrev_b32_e32 v7, s24, v7
	v_cmp_gt_i32_e32 vcc, s13, v7
	s_and_b64 exec, exec, vcc
	s_cbranch_execz .LBB123_55
; %bb.54:
	v_add_u32_e32 v8, v5, v6
	ds_read_b32 v8, v8 offset:528
	v_mul_lo_u32 v9, v7, s25
	v_sub_u32_e32 v1, v1, v9
	v_mul_lo_u32 v7, v7, s21
	v_mul_lo_u32 v1, v1, s10
	s_waitcnt lgkmcnt(0)
	v_add_f32_e32 v10, 0, v8
	v_add3_u32 v8, v4, v7, v1
	v_mov_b32_e32 v9, v3
	v_lshl_add_u64 v[8:9], v[8:9], 2, s[14:15]
	global_store_dword v[8:9], v10, off
.LBB123_55:
	;; [unrolled: 35-line block ×11, first 2 shown]
	s_or_b64 exec, exec, s[0:1]
	v_add_u32_e32 v0, 12, v0
	v_cmp_gt_i32_e64 s[0:1], s26, v0
	v_cmp_eq_u32_e32 vcc, 0, v2
	s_and_b64 s[0:1], s[6:7], s[0:1]
	s_and_b64 s[0:1], vcc, s[0:1]
	s_and_saveexec_b64 s[6:7], s[0:1]
	s_cbranch_execz .LBB123_85
; %bb.83:
	s_ashr_i32 s3, s2, 31
	s_lshl_b64 s[0:1], s[2:3], 2
	s_add_u32 s0, s4, s0
	s_addc_u32 s1, s5, s1
	s_load_dword s0, s[0:1], 0x30
	s_waitcnt lgkmcnt(0)
	s_mul_hi_u32 s1, s0, s19
	s_add_i32 s1, s0, s1
	s_lshr_b32 s1, s1, s24
	s_cmp_ge_i32 s1, s13
	s_cbranch_scc1 .LBB123_85
; %bb.84:
	v_add_u32_e32 v0, v5, v6
	ds_read_b32 v0, v0 offset:3168
	s_mul_i32 s2, s1, s25
	s_sub_i32 s0, s0, s2
	s_mul_i32 s1, s1, s21
	s_mul_i32 s0, s0, s10
	s_add_i32 s0, s0, s1
	s_waitcnt lgkmcnt(0)
	v_add_f32_e32 v2, 0, v0
	v_add_u32_e32 v0, s0, v4
	v_mov_b32_e32 v1, 0
	v_lshl_add_u64 v[0:1], v[0:1], 2, s[14:15]
	global_store_dword v[0:1], v2, off
.LBB123_85:
	s_endpgm
	.section	.rodata,"a",@progbits
	.p2align	6, 0x0
	.amdhsa_kernel _ZL13mul_mat_f_idsI15__hip_bfloat162Li64ELi13ELi1EEvPKT_PKfPKiS7_S7_Pfiiiiiiiiiiiiii15HIP_vector_typeIjLj3EESA_
		.amdhsa_group_segment_fixed_size 0
		.amdhsa_private_segment_fixed_size 0
		.amdhsa_kernarg_size 128
		.amdhsa_user_sgpr_count 2
		.amdhsa_user_sgpr_dispatch_ptr 0
		.amdhsa_user_sgpr_queue_ptr 0
		.amdhsa_user_sgpr_kernarg_segment_ptr 1
		.amdhsa_user_sgpr_dispatch_id 0
		.amdhsa_user_sgpr_kernarg_preload_length 0
		.amdhsa_user_sgpr_kernarg_preload_offset 0
		.amdhsa_user_sgpr_private_segment_size 0
		.amdhsa_uses_dynamic_stack 0
		.amdhsa_enable_private_segment 0
		.amdhsa_system_sgpr_workgroup_id_x 1
		.amdhsa_system_sgpr_workgroup_id_y 1
		.amdhsa_system_sgpr_workgroup_id_z 1
		.amdhsa_system_sgpr_workgroup_info 0
		.amdhsa_system_vgpr_workitem_id 1
		.amdhsa_next_free_vgpr 120
		.amdhsa_next_free_sgpr 100
		.amdhsa_accum_offset 104
		.amdhsa_reserve_vcc 1
		.amdhsa_float_round_mode_32 0
		.amdhsa_float_round_mode_16_64 0
		.amdhsa_float_denorm_mode_32 3
		.amdhsa_float_denorm_mode_16_64 3
		.amdhsa_dx10_clamp 1
		.amdhsa_ieee_mode 1
		.amdhsa_fp16_overflow 0
		.amdhsa_tg_split 0
		.amdhsa_exception_fp_ieee_invalid_op 0
		.amdhsa_exception_fp_denorm_src 0
		.amdhsa_exception_fp_ieee_div_zero 0
		.amdhsa_exception_fp_ieee_overflow 0
		.amdhsa_exception_fp_ieee_underflow 0
		.amdhsa_exception_fp_ieee_inexact 0
		.amdhsa_exception_int_div_zero 0
	.end_amdhsa_kernel
	.section	.text._ZL13mul_mat_f_idsI15__hip_bfloat162Li64ELi13ELi1EEvPKT_PKfPKiS7_S7_Pfiiiiiiiiiiiiii15HIP_vector_typeIjLj3EESA_,"axG",@progbits,_ZL13mul_mat_f_idsI15__hip_bfloat162Li64ELi13ELi1EEvPKT_PKfPKiS7_S7_Pfiiiiiiiiiiiiii15HIP_vector_typeIjLj3EESA_,comdat
.Lfunc_end123:
	.size	_ZL13mul_mat_f_idsI15__hip_bfloat162Li64ELi13ELi1EEvPKT_PKfPKiS7_S7_Pfiiiiiiiiiiiiii15HIP_vector_typeIjLj3EESA_, .Lfunc_end123-_ZL13mul_mat_f_idsI15__hip_bfloat162Li64ELi13ELi1EEvPKT_PKfPKiS7_S7_Pfiiiiiiiiiiiiii15HIP_vector_typeIjLj3EESA_
                                        ; -- End function
	.set _ZL13mul_mat_f_idsI15__hip_bfloat162Li64ELi13ELi1EEvPKT_PKfPKiS7_S7_Pfiiiiiiiiiiiiii15HIP_vector_typeIjLj3EESA_.num_vgpr, 103
	.set _ZL13mul_mat_f_idsI15__hip_bfloat162Li64ELi13ELi1EEvPKT_PKfPKiS7_S7_Pfiiiiiiiiiiiiii15HIP_vector_typeIjLj3EESA_.num_agpr, 16
	.set _ZL13mul_mat_f_idsI15__hip_bfloat162Li64ELi13ELi1EEvPKT_PKfPKiS7_S7_Pfiiiiiiiiiiiiii15HIP_vector_typeIjLj3EESA_.numbered_sgpr, 100
	.set _ZL13mul_mat_f_idsI15__hip_bfloat162Li64ELi13ELi1EEvPKT_PKfPKiS7_S7_Pfiiiiiiiiiiiiii15HIP_vector_typeIjLj3EESA_.num_named_barrier, 0
	.set _ZL13mul_mat_f_idsI15__hip_bfloat162Li64ELi13ELi1EEvPKT_PKfPKiS7_S7_Pfiiiiiiiiiiiiii15HIP_vector_typeIjLj3EESA_.private_seg_size, 0
	.set _ZL13mul_mat_f_idsI15__hip_bfloat162Li64ELi13ELi1EEvPKT_PKfPKiS7_S7_Pfiiiiiiiiiiiiii15HIP_vector_typeIjLj3EESA_.uses_vcc, 1
	.set _ZL13mul_mat_f_idsI15__hip_bfloat162Li64ELi13ELi1EEvPKT_PKfPKiS7_S7_Pfiiiiiiiiiiiiii15HIP_vector_typeIjLj3EESA_.uses_flat_scratch, 0
	.set _ZL13mul_mat_f_idsI15__hip_bfloat162Li64ELi13ELi1EEvPKT_PKfPKiS7_S7_Pfiiiiiiiiiiiiii15HIP_vector_typeIjLj3EESA_.has_dyn_sized_stack, 0
	.set _ZL13mul_mat_f_idsI15__hip_bfloat162Li64ELi13ELi1EEvPKT_PKfPKiS7_S7_Pfiiiiiiiiiiiiii15HIP_vector_typeIjLj3EESA_.has_recursion, 0
	.set _ZL13mul_mat_f_idsI15__hip_bfloat162Li64ELi13ELi1EEvPKT_PKfPKiS7_S7_Pfiiiiiiiiiiiiii15HIP_vector_typeIjLj3EESA_.has_indirect_call, 0
	.section	.AMDGPU.csdata,"",@progbits
; Kernel info:
; codeLenInByte = 8712
; TotalNumSgprs: 106
; NumVgprs: 103
; NumAgprs: 16
; TotalNumVgprs: 120
; ScratchSize: 0
; MemoryBound: 0
; FloatMode: 240
; IeeeMode: 1
; LDSByteSize: 0 bytes/workgroup (compile time only)
; SGPRBlocks: 13
; VGPRBlocks: 14
; NumSGPRsForWavesPerEU: 106
; NumVGPRsForWavesPerEU: 120
; AccumOffset: 104
; Occupancy: 4
; WaveLimiterHint : 1
; COMPUTE_PGM_RSRC2:SCRATCH_EN: 0
; COMPUTE_PGM_RSRC2:USER_SGPR: 2
; COMPUTE_PGM_RSRC2:TRAP_HANDLER: 0
; COMPUTE_PGM_RSRC2:TGID_X_EN: 1
; COMPUTE_PGM_RSRC2:TGID_Y_EN: 1
; COMPUTE_PGM_RSRC2:TGID_Z_EN: 1
; COMPUTE_PGM_RSRC2:TIDIG_COMP_CNT: 1
; COMPUTE_PGM_RSRC3_GFX90A:ACCUM_OFFSET: 25
; COMPUTE_PGM_RSRC3_GFX90A:TG_SPLIT: 0
	.section	.text._ZL9mul_mat_fI15__hip_bfloat162Li64ELi13ELi1ELb1EEvPKT_PKfPKiPfiiiiiiiiiiiiiiii,"axG",@progbits,_ZL9mul_mat_fI15__hip_bfloat162Li64ELi13ELi1ELb1EEvPKT_PKfPKiPfiiiiiiiiiiiiiiii,comdat
	.globl	_ZL9mul_mat_fI15__hip_bfloat162Li64ELi13ELi1ELb1EEvPKT_PKfPKiPfiiiiiiiiiiiiiiii ; -- Begin function _ZL9mul_mat_fI15__hip_bfloat162Li64ELi13ELi1ELb1EEvPKT_PKfPKiPfiiiiiiiiiiiiiiii
	.p2align	8
	.type	_ZL9mul_mat_fI15__hip_bfloat162Li64ELi13ELi1ELb1EEvPKT_PKfPKiPfiiiiiiiiiiiiiiii,@function
_ZL9mul_mat_fI15__hip_bfloat162Li64ELi13ELi1ELb1EEvPKT_PKfPKiPfiiiiiiiiiiiiiiii: ; @_ZL9mul_mat_fI15__hip_bfloat162Li64ELi13ELi1ELb1EEvPKT_PKfPKiPfiiiiiiiiiiiiiiii
; %bb.0:
	s_load_dwordx8 s[60:67], s[0:1], 0x20
	s_mov_b32 s26, s4
	s_load_dwordx2 s[8:9], s[0:1], 0x10
	s_waitcnt lgkmcnt(0)
	s_add_i32 s4, s61, 12
	s_mul_hi_i32 s4, s4, 0x4ec4ec4f
	s_lshr_b32 s5, s4, 31
	s_ashr_i32 s4, s4, 2
	s_add_i32 s4, s4, s5
	v_cvt_f32_u32_e32 v1, s4
	s_load_dword s5, s[0:1], 0x64
	s_add_u32 s34, s0, 0x60
	s_addc_u32 s35, s1, 0
	v_rcp_iflag_f32_e32 v1, v1
	s_sub_i32 s6, 0, s4
	v_mul_f32_e32 v1, 0x4f7ffffe, v1
	v_cvt_u32_f32_e32 v1, v1
	v_mul_lo_u32 v2, s6, v1
	v_mul_hi_u32 v2, v1, v2
	v_add_u32_e32 v1, v1, v2
	s_waitcnt lgkmcnt(0)
	v_mul_hi_u32 v1, s5, v1
	v_mul_lo_u32 v2, v1, s4
	v_sub_u32_e32 v2, s5, v2
	v_add_u32_e32 v3, 1, v1
	v_subrev_u32_e32 v4, s4, v2
	v_cmp_le_u32_e32 vcc, s4, v2
	s_nop 1
	v_cndmask_b32_e32 v1, v1, v3, vcc
	v_cndmask_b32_e32 v2, v2, v4, vcc
	v_add_u32_e32 v3, 1, v1
	v_cmp_le_u32_e32 vcc, s4, v2
	s_nop 1
	v_cndmask_b32_e32 v1, v1, v3, vcc
	v_cvt_f32_u32_e32 v2, v1
	v_sub_u32_e32 v5, 0, v1
	v_bfe_u32 v3, v0, 10, 10
	v_rcp_iflag_f32_e32 v2, v2
	s_nop 0
	v_mul_f32_e32 v2, 0x4f7ffffe, v2
	v_cvt_u32_f32_e32 v4, v2
	v_and_b32_e32 v2, 0x3ff, v0
	v_cmp_eq_u32_e32 vcc, 0, v2
	v_mul_lo_u32 v5, v5, v4
	v_mul_hi_u32 v5, v4, v5
	v_add_u32_e32 v4, v4, v5
	v_mul_hi_u32 v4, s3, v4
	s_and_saveexec_b64 s[6:7], vcc
; %bb.1:
	v_mov_b32_e32 v5, 0x100
	v_lshl_add_u32 v5, v3, 2, v5
	v_mov_b32_e32 v6, -1
	ds_write_b32 v5, v6
; %bb.2:
	s_or_b64 exec, exec, s[6:7]
	v_mul_lo_u32 v5, v4, v1
	v_sub_u32_e32 v5, s3, v5
	v_add_u32_e32 v6, 1, v4
	v_sub_u32_e32 v7, v5, v1
	v_cmp_ge_u32_e64 s[6:7], v5, v1
	v_cmp_gt_i32_e64 s[28:29], s62, v2
	s_nop 0
	v_cndmask_b32_e64 v4, v4, v6, s[6:7]
	v_cndmask_b32_e64 v5, v5, v7, s[6:7]
	v_add_u32_e32 v6, 1, v4
	v_cmp_ge_u32_e64 s[6:7], v5, v1
	s_nop 1
	v_cndmask_b32_e64 v4, v4, v6, s[6:7]
	v_mul_lo_u32 v80, v4, 13
	v_mul_lo_u32 v1, v4, v1
	v_mul_hi_i32 v5, v80, s67
	v_mul_lo_u32 v4, v80, s67
	v_sub_u32_e32 v10, s3, v1
	v_lshlrev_b64 v[4:5], 2, v[4:5]
	v_add_u32_e32 v1, v3, v80
	v_lshl_add_u64 v[4:5], s[8:9], 0, v[4:5]
	v_cmp_gt_i32_e64 s[44:45], s61, v1
	v_mov_b32_e32 v1, 0
	s_and_saveexec_b64 s[10:11], s[44:45]
	s_cbranch_execz .LBB124_10
; %bb.3:
	v_mov_b32_e32 v1, 0
	s_and_saveexec_b64 s[12:13], s[28:29]
	s_cbranch_execz .LBB124_9
; %bb.4:
	v_mul_lo_u32 v6, v3, s67
	v_ashrrev_i32_e32 v7, 31, v6
	v_mov_b32_e32 v1, 0x100
	v_lshl_add_u64 v[6:7], v[6:7], 2, v[4:5]
	v_lshl_add_u32 v11, v3, 2, v1
	v_mul_lo_u32 v8, v2, s66
	s_lshl_b32 s3, s66, 6
	v_mov_b32_e32 v1, 0
	s_mov_b64 s[14:15], 0
	v_mov_b32_e32 v12, v2
	s_branch .LBB124_6
.LBB124_5:                              ;   in Loop: Header=BB124_6 Depth=1
	s_or_b64 exec, exec, s[16:17]
	v_add_u32_e32 v12, 64, v12
	v_cmp_le_i32_e64 s[8:9], s62, v12
	s_xor_b64 s[4:5], s[6:7], -1
	s_or_b64 s[4:5], s[4:5], s[8:9]
	s_and_b64 s[4:5], exec, s[4:5]
	s_or_b64 s[14:15], s[4:5], s[14:15]
	v_add_u32_e32 v8, s3, v8
	s_andn2_b64 exec, exec, s[14:15]
	s_cbranch_execz .LBB124_8
.LBB124_6:                              ; =>This Inner Loop Header: Depth=1
	v_ashrrev_i32_e32 v9, 31, v8
	v_lshl_add_u64 v[14:15], v[8:9], 2, v[6:7]
	global_load_dword v9, v[14:15], off
	s_waitcnt vmcnt(0)
	v_cmp_ne_u32_e64 s[6:7], v9, v10
	v_cmp_eq_u32_e64 s[8:9], v9, v10
	s_and_saveexec_b64 s[16:17], s[8:9]
	s_cbranch_execz .LBB124_5
; %bb.7:                                ;   in Loop: Header=BB124_6 Depth=1
	v_mov_b32_e32 v1, 1
	ds_write_b32 v11, v12
	s_branch .LBB124_5
.LBB124_8:
	s_or_b64 exec, exec, s[14:15]
.LBB124_9:
	s_or_b64 exec, exec, s[12:13]
.LBB124_10:
	s_or_b64 exec, exec, s[10:11]
	s_and_saveexec_b64 s[6:7], vcc
; %bb.11:
	v_mov_b32_e32 v6, 0x100
	v_lshl_add_u32 v6, v3, 2, v6
	v_mov_b32_e32 v7, -1
	ds_write_b32 v6, v7 offset:4
; %bb.12:
	s_or_b64 exec, exec, s[6:7]
	v_add_u32_e32 v81, 1, v3
	v_add_u32_e32 v6, v81, v80
	v_cmp_gt_i32_e64 s[4:5], s61, v6
	s_mov_b64 s[10:11], exec
                                        ; implicit-def: $vgpr101 : SGPR spill to VGPR lane
	s_nop 0
	v_writelane_b32 v101, s4, 0
	s_nop 1
	v_writelane_b32 v101, s5, 1
	s_and_b64 s[4:5], s[10:11], s[4:5]
	s_mov_b64 exec, s[4:5]
	s_cbranch_execz .LBB124_20
; %bb.13:
	s_and_saveexec_b64 s[12:13], s[28:29]
	s_cbranch_execz .LBB124_19
; %bb.14:
	v_mul_lo_u32 v6, v81, s67
	v_ashrrev_i32_e32 v7, 31, v6
	v_mov_b32_e32 v8, 0x100
	v_lshl_add_u64 v[6:7], v[6:7], 2, v[4:5]
	v_lshl_add_u32 v11, v3, 2, v8
	v_mul_lo_u32 v8, v2, s66
	s_lshl_b32 s3, s66, 6
	s_mov_b64 s[14:15], 0
	v_mov_b32_e32 v12, v2
	s_branch .LBB124_16
.LBB124_15:                             ;   in Loop: Header=BB124_16 Depth=1
	s_or_b64 exec, exec, s[16:17]
	v_add_u32_e32 v12, 64, v12
	v_cmp_le_i32_e64 s[8:9], s62, v12
	s_xor_b64 s[4:5], s[6:7], -1
	s_or_b64 s[4:5], s[4:5], s[8:9]
	s_and_b64 s[4:5], exec, s[4:5]
	s_or_b64 s[14:15], s[4:5], s[14:15]
	v_add_u32_e32 v8, s3, v8
	s_andn2_b64 exec, exec, s[14:15]
	s_cbranch_execz .LBB124_18
.LBB124_16:                             ; =>This Inner Loop Header: Depth=1
	v_ashrrev_i32_e32 v9, 31, v8
	v_lshl_add_u64 v[14:15], v[8:9], 2, v[6:7]
	global_load_dword v9, v[14:15], off
	s_waitcnt vmcnt(0)
	v_cmp_ne_u32_e64 s[6:7], v9, v10
	v_cmp_eq_u32_e64 s[8:9], v9, v10
	s_and_saveexec_b64 s[16:17], s[8:9]
	s_cbranch_execz .LBB124_15
; %bb.17:                               ;   in Loop: Header=BB124_16 Depth=1
	v_mov_b32_e32 v1, 1
	ds_write_b32 v11, v12 offset:4
	s_branch .LBB124_15
.LBB124_18:
	s_or_b64 exec, exec, s[14:15]
.LBB124_19:
	s_or_b64 exec, exec, s[12:13]
.LBB124_20:
	s_or_b64 exec, exec, s[10:11]
	s_and_saveexec_b64 s[6:7], vcc
; %bb.21:
	v_mov_b32_e32 v6, 0x100
	v_lshl_add_u32 v6, v3, 2, v6
	v_mov_b32_e32 v7, -1
	ds_write_b32 v6, v7 offset:8
; %bb.22:
	s_or_b64 exec, exec, s[6:7]
	v_add_u32_e32 v82, 2, v3
	v_add_u32_e32 v6, v82, v80
	v_cmp_gt_i32_e64 s[4:5], s61, v6
	s_mov_b64 s[10:11], exec
	s_nop 0
	v_writelane_b32 v101, s4, 2
	s_nop 1
	v_writelane_b32 v101, s5, 3
	s_and_b64 s[4:5], s[10:11], s[4:5]
	s_mov_b64 exec, s[4:5]
	s_cbranch_execz .LBB124_30
; %bb.23:
	s_and_saveexec_b64 s[12:13], s[28:29]
	s_cbranch_execz .LBB124_29
; %bb.24:
	v_mul_lo_u32 v6, v82, s67
	v_ashrrev_i32_e32 v7, 31, v6
	v_mov_b32_e32 v8, 0x100
	v_lshl_add_u64 v[6:7], v[6:7], 2, v[4:5]
	v_lshl_add_u32 v11, v3, 2, v8
	v_mul_lo_u32 v8, v2, s66
	s_lshl_b32 s3, s66, 6
	s_mov_b64 s[14:15], 0
	v_mov_b32_e32 v12, v2
	s_branch .LBB124_26
.LBB124_25:                             ;   in Loop: Header=BB124_26 Depth=1
	s_or_b64 exec, exec, s[16:17]
	v_add_u32_e32 v12, 64, v12
	v_cmp_le_i32_e64 s[8:9], s62, v12
	s_xor_b64 s[4:5], s[6:7], -1
	s_or_b64 s[4:5], s[4:5], s[8:9]
	s_and_b64 s[4:5], exec, s[4:5]
	s_or_b64 s[14:15], s[4:5], s[14:15]
	v_add_u32_e32 v8, s3, v8
	s_andn2_b64 exec, exec, s[14:15]
	s_cbranch_execz .LBB124_28
.LBB124_26:                             ; =>This Inner Loop Header: Depth=1
	v_ashrrev_i32_e32 v9, 31, v8
	v_lshl_add_u64 v[14:15], v[8:9], 2, v[6:7]
	global_load_dword v9, v[14:15], off
	s_waitcnt vmcnt(0)
	v_cmp_ne_u32_e64 s[6:7], v9, v10
	v_cmp_eq_u32_e64 s[8:9], v9, v10
	s_and_saveexec_b64 s[16:17], s[8:9]
	s_cbranch_execz .LBB124_25
; %bb.27:                               ;   in Loop: Header=BB124_26 Depth=1
	v_mov_b32_e32 v1, 1
	ds_write_b32 v11, v12 offset:8
	s_branch .LBB124_25
.LBB124_28:
	s_or_b64 exec, exec, s[14:15]
.LBB124_29:
	s_or_b64 exec, exec, s[12:13]
.LBB124_30:
	s_or_b64 exec, exec, s[10:11]
	s_and_saveexec_b64 s[6:7], vcc
; %bb.31:
	v_mov_b32_e32 v6, 0x100
	v_lshl_add_u32 v6, v3, 2, v6
	v_mov_b32_e32 v7, -1
	ds_write_b32 v6, v7 offset:12
; %bb.32:
	s_or_b64 exec, exec, s[6:7]
	v_add_u32_e32 v83, 3, v3
	v_add_u32_e32 v6, v83, v80
	v_cmp_gt_i32_e64 s[4:5], s61, v6
	s_mov_b64 s[12:13], exec
	;; [unrolled: 63-line block ×6, first 2 shown]
	s_nop 0
	v_writelane_b32 v101, s4, 12
	s_nop 1
	v_writelane_b32 v101, s5, 13
	s_and_b64 s[4:5], s[20:21], s[4:5]
	s_mov_b64 exec, s[4:5]
	s_cbranch_execz .LBB124_80
; %bb.73:
	s_and_saveexec_b64 s[22:23], s[28:29]
	s_cbranch_execz .LBB124_79
; %bb.74:
	v_mul_lo_u32 v6, v87, s67
	v_ashrrev_i32_e32 v7, 31, v6
	v_mov_b32_e32 v8, 0x100
	v_lshl_add_u64 v[6:7], v[6:7], 2, v[4:5]
	v_lshl_add_u32 v11, v3, 2, v8
	v_mul_lo_u32 v8, v2, s66
	s_lshl_b32 s3, s66, 6
	s_mov_b64 s[24:25], 0
	v_mov_b32_e32 v12, v2
	s_branch .LBB124_76
.LBB124_75:                             ;   in Loop: Header=BB124_76 Depth=1
	s_or_b64 exec, exec, s[30:31]
	v_add_u32_e32 v12, 64, v12
	v_cmp_le_i32_e64 s[18:19], s62, v12
	s_xor_b64 s[4:5], s[16:17], -1
	s_or_b64 s[4:5], s[4:5], s[18:19]
	s_and_b64 s[4:5], exec, s[4:5]
	s_or_b64 s[24:25], s[4:5], s[24:25]
	v_add_u32_e32 v8, s3, v8
	s_andn2_b64 exec, exec, s[24:25]
	s_cbranch_execz .LBB124_78
.LBB124_76:                             ; =>This Inner Loop Header: Depth=1
	v_ashrrev_i32_e32 v9, 31, v8
	v_lshl_add_u64 v[14:15], v[8:9], 2, v[6:7]
	global_load_dword v9, v[14:15], off
	s_waitcnt vmcnt(0)
	v_cmp_ne_u32_e64 s[16:17], v9, v10
	v_cmp_eq_u32_e64 s[18:19], v9, v10
	s_and_saveexec_b64 s[30:31], s[18:19]
	s_cbranch_execz .LBB124_75
; %bb.77:                               ;   in Loop: Header=BB124_76 Depth=1
	v_mov_b32_e32 v1, 1
	ds_write_b32 v11, v12 offset:28
	s_branch .LBB124_75
.LBB124_78:
	s_or_b64 exec, exec, s[24:25]
.LBB124_79:
	s_or_b64 exec, exec, s[22:23]
.LBB124_80:
	s_or_b64 exec, exec, s[20:21]
	s_load_dwordx4 s[68:71], s[0:1], 0x44
	s_and_saveexec_b64 s[16:17], vcc
; %bb.81:
	v_mov_b32_e32 v6, 0x100
	v_lshl_add_u32 v6, v3, 2, v6
	v_mov_b32_e32 v7, -1
	ds_write_b32 v6, v7 offset:32
; %bb.82:
	s_or_b64 exec, exec, s[16:17]
	v_add_u32_e32 v88, 8, v3
	v_add_u32_e32 v6, v88, v80
	v_cmp_gt_i32_e64 s[4:5], s61, v6
	s_mov_b64 s[22:23], exec
	s_nop 0
	v_writelane_b32 v101, s4, 14
	s_nop 1
	v_writelane_b32 v101, s5, 15
	s_and_b64 s[4:5], s[22:23], s[4:5]
	s_mov_b64 exec, s[4:5]
	s_cbranch_execz .LBB124_90
; %bb.83:
	s_and_saveexec_b64 s[24:25], s[28:29]
	s_cbranch_execz .LBB124_89
; %bb.84:
	v_mul_lo_u32 v6, v88, s67
	v_ashrrev_i32_e32 v7, 31, v6
	v_mov_b32_e32 v8, 0x100
	v_lshl_add_u64 v[6:7], v[6:7], 2, v[4:5]
	v_lshl_add_u32 v11, v3, 2, v8
	v_mul_lo_u32 v8, v2, s66
	s_lshl_b32 s3, s66, 6
	s_mov_b64 s[30:31], 0
	v_mov_b32_e32 v12, v2
	s_branch .LBB124_86
.LBB124_85:                             ;   in Loop: Header=BB124_86 Depth=1
	s_or_b64 exec, exec, s[36:37]
	v_add_u32_e32 v12, 64, v12
	v_cmp_le_i32_e64 s[20:21], s62, v12
	s_xor_b64 s[4:5], s[18:19], -1
	s_or_b64 s[4:5], s[4:5], s[20:21]
	s_and_b64 s[4:5], exec, s[4:5]
	s_or_b64 s[30:31], s[4:5], s[30:31]
	v_add_u32_e32 v8, s3, v8
	s_andn2_b64 exec, exec, s[30:31]
	s_cbranch_execz .LBB124_88
.LBB124_86:                             ; =>This Inner Loop Header: Depth=1
	v_ashrrev_i32_e32 v9, 31, v8
	v_lshl_add_u64 v[14:15], v[8:9], 2, v[6:7]
	global_load_dword v9, v[14:15], off
	s_waitcnt vmcnt(0)
	v_cmp_ne_u32_e64 s[18:19], v9, v10
	v_cmp_eq_u32_e64 s[20:21], v9, v10
	s_and_saveexec_b64 s[36:37], s[20:21]
	s_cbranch_execz .LBB124_85
; %bb.87:                               ;   in Loop: Header=BB124_86 Depth=1
	v_mov_b32_e32 v1, 1
	ds_write_b32 v11, v12 offset:32
	s_branch .LBB124_85
.LBB124_88:
	s_or_b64 exec, exec, s[30:31]
.LBB124_89:
	s_or_b64 exec, exec, s[24:25]
.LBB124_90:
	s_or_b64 exec, exec, s[22:23]
	s_waitcnt lgkmcnt(0)
	s_abs_i32 s3, s71
	s_and_saveexec_b64 s[18:19], vcc
; %bb.91:
	v_mov_b32_e32 v6, 0x100
	v_lshl_add_u32 v6, v3, 2, v6
	v_mov_b32_e32 v7, -1
	ds_write_b32 v6, v7 offset:36
; %bb.92:
	s_or_b64 exec, exec, s[18:19]
	v_cvt_f32_u32_e32 v11, s3
	v_add_u32_e32 v89, 9, v3
	v_add_u32_e32 v6, v89, v80
	v_cmp_gt_i32_e64 s[4:5], s61, v6
	s_mov_b64 s[24:25], exec
	s_nop 0
	v_writelane_b32 v101, s4, 16
	s_nop 1
	v_writelane_b32 v101, s5, 17
	s_and_b64 s[4:5], s[24:25], s[4:5]
	s_mov_b64 exec, s[4:5]
	s_cbranch_execz .LBB124_100
; %bb.93:
	s_and_saveexec_b64 s[30:31], s[28:29]
	s_cbranch_execz .LBB124_99
; %bb.94:
	v_mul_lo_u32 v6, v89, s67
	v_ashrrev_i32_e32 v7, 31, v6
	v_mov_b32_e32 v8, 0x100
	v_lshl_add_u64 v[6:7], v[6:7], 2, v[4:5]
	v_lshl_add_u32 v12, v3, 2, v8
	v_mul_lo_u32 v8, v2, s66
	s_lshl_b32 s4, s66, 6
	s_mov_b64 s[36:37], 0
	v_mov_b32_e32 v13, v2
	s_branch .LBB124_96
.LBB124_95:                             ;   in Loop: Header=BB124_96 Depth=1
	s_or_b64 exec, exec, s[38:39]
	v_add_u32_e32 v13, 64, v13
	v_cmp_le_i32_e64 s[22:23], s62, v13
	s_xor_b64 s[6:7], s[20:21], -1
	s_or_b64 s[6:7], s[6:7], s[22:23]
	s_and_b64 s[6:7], exec, s[6:7]
	s_or_b64 s[36:37], s[6:7], s[36:37]
	v_add_u32_e32 v8, s4, v8
	s_andn2_b64 exec, exec, s[36:37]
	s_cbranch_execz .LBB124_98
.LBB124_96:                             ; =>This Inner Loop Header: Depth=1
	v_ashrrev_i32_e32 v9, 31, v8
	v_lshl_add_u64 v[14:15], v[8:9], 2, v[6:7]
	global_load_dword v9, v[14:15], off
	s_waitcnt vmcnt(0)
	v_cmp_ne_u32_e64 s[20:21], v9, v10
	v_cmp_eq_u32_e64 s[22:23], v9, v10
	s_and_saveexec_b64 s[38:39], s[22:23]
	s_cbranch_execz .LBB124_95
; %bb.97:                               ;   in Loop: Header=BB124_96 Depth=1
	v_mov_b32_e32 v1, 1
	ds_write_b32 v12, v13 offset:36
	s_branch .LBB124_95
.LBB124_98:
	s_or_b64 exec, exec, s[36:37]
.LBB124_99:
	s_or_b64 exec, exec, s[30:31]
.LBB124_100:
	s_or_b64 exec, exec, s[24:25]
	v_rcp_iflag_f32_e32 v6, v11
	s_and_saveexec_b64 s[20:21], vcc
; %bb.101:
	v_mov_b32_e32 v7, 0x100
	v_lshl_add_u32 v7, v3, 2, v7
	v_mov_b32_e32 v8, -1
	ds_write_b32 v7, v8 offset:40
; %bb.102:
	s_or_b64 exec, exec, s[20:21]
	v_add_u32_e32 v90, 10, v3
	v_mul_f32_e32 v11, 0x4f7ffffe, v6
	v_add_u32_e32 v6, v90, v80
	v_cmp_gt_i32_e64 s[4:5], s61, v6
	s_mov_b64 s[30:31], exec
	s_nop 0
	v_writelane_b32 v101, s4, 18
	s_nop 1
	v_writelane_b32 v101, s5, 19
	s_and_b64 s[4:5], s[30:31], s[4:5]
	s_mov_b64 exec, s[4:5]
	s_cbranch_execz .LBB124_110
; %bb.103:
	s_and_saveexec_b64 s[36:37], s[28:29]
	s_cbranch_execz .LBB124_109
; %bb.104:
	v_mul_lo_u32 v6, v90, s67
	v_ashrrev_i32_e32 v7, 31, v6
	v_mov_b32_e32 v8, 0x100
	v_lshl_add_u64 v[6:7], v[6:7], 2, v[4:5]
	v_lshl_add_u32 v12, v3, 2, v8
	v_mul_lo_u32 v8, v2, s66
	s_lshl_b32 s4, s66, 6
	s_mov_b64 s[38:39], 0
	v_mov_b32_e32 v13, v2
	s_branch .LBB124_106
.LBB124_105:                            ;   in Loop: Header=BB124_106 Depth=1
	s_or_b64 exec, exec, s[40:41]
	v_add_u32_e32 v13, 64, v13
	v_cmp_le_i32_e64 s[24:25], s62, v13
	s_xor_b64 s[6:7], s[22:23], -1
	s_or_b64 s[6:7], s[6:7], s[24:25]
	s_and_b64 s[6:7], exec, s[6:7]
	s_or_b64 s[38:39], s[6:7], s[38:39]
	v_add_u32_e32 v8, s4, v8
	s_andn2_b64 exec, exec, s[38:39]
	s_cbranch_execz .LBB124_108
.LBB124_106:                            ; =>This Inner Loop Header: Depth=1
	v_ashrrev_i32_e32 v9, 31, v8
	v_lshl_add_u64 v[14:15], v[8:9], 2, v[6:7]
	global_load_dword v9, v[14:15], off
	s_waitcnt vmcnt(0)
	v_cmp_ne_u32_e64 s[22:23], v9, v10
	v_cmp_eq_u32_e64 s[24:25], v9, v10
	s_and_saveexec_b64 s[40:41], s[24:25]
	s_cbranch_execz .LBB124_105
; %bb.107:                              ;   in Loop: Header=BB124_106 Depth=1
	v_mov_b32_e32 v1, 1
	ds_write_b32 v12, v13 offset:40
	s_branch .LBB124_105
.LBB124_108:
	s_or_b64 exec, exec, s[38:39]
.LBB124_109:
	s_or_b64 exec, exec, s[36:37]
.LBB124_110:
	s_or_b64 exec, exec, s[30:31]
	v_cvt_u32_f32_e32 v11, v11
	s_sub_i32 s4, 0, s3
	s_and_saveexec_b64 s[22:23], vcc
; %bb.111:
	v_mov_b32_e32 v6, 0x100
	v_lshl_add_u32 v6, v3, 2, v6
	v_mov_b32_e32 v7, -1
	ds_write_b32 v6, v7 offset:44
; %bb.112:
	s_or_b64 exec, exec, s[22:23]
	v_add_u32_e32 v91, 11, v3
	v_mul_lo_u32 v12, s4, v11
	v_add_u32_e32 v6, v91, v80
	v_cmp_gt_i32_e64 s[4:5], s61, v6
	s_mov_b64 s[36:37], exec
	s_nop 0
	v_writelane_b32 v101, s4, 20
	s_nop 1
	v_writelane_b32 v101, s5, 21
	s_and_b64 s[4:5], s[36:37], s[4:5]
	s_mov_b64 exec, s[4:5]
	s_cbranch_execz .LBB124_120
; %bb.113:
	s_and_saveexec_b64 s[38:39], s[28:29]
	s_cbranch_execz .LBB124_119
; %bb.114:
	v_mul_lo_u32 v6, v91, s67
	v_ashrrev_i32_e32 v7, 31, v6
	v_mov_b32_e32 v8, 0x100
	v_lshl_add_u64 v[6:7], v[6:7], 2, v[4:5]
	v_lshl_add_u32 v13, v3, 2, v8
	v_mul_lo_u32 v8, v2, s66
	s_lshl_b32 s4, s66, 6
	s_mov_b64 s[40:41], 0
	v_mov_b32_e32 v14, v2
	s_branch .LBB124_116
.LBB124_115:                            ;   in Loop: Header=BB124_116 Depth=1
	s_or_b64 exec, exec, s[42:43]
	v_add_u32_e32 v14, 64, v14
	v_cmp_le_i32_e64 s[30:31], s62, v14
	s_xor_b64 s[6:7], s[24:25], -1
	s_or_b64 s[6:7], s[6:7], s[30:31]
	s_and_b64 s[6:7], exec, s[6:7]
	s_or_b64 s[40:41], s[6:7], s[40:41]
	v_add_u32_e32 v8, s4, v8
	s_andn2_b64 exec, exec, s[40:41]
	s_cbranch_execz .LBB124_118
.LBB124_116:                            ; =>This Inner Loop Header: Depth=1
	v_ashrrev_i32_e32 v9, 31, v8
	v_lshl_add_u64 v[16:17], v[8:9], 2, v[6:7]
	global_load_dword v9, v[16:17], off
	s_waitcnt vmcnt(0)
	v_cmp_ne_u32_e64 s[24:25], v9, v10
	v_cmp_eq_u32_e64 s[30:31], v9, v10
	s_and_saveexec_b64 s[42:43], s[30:31]
	s_cbranch_execz .LBB124_115
; %bb.117:                              ;   in Loop: Header=BB124_116 Depth=1
	v_mov_b32_e32 v1, 1
	ds_write_b32 v13, v14 offset:44
	s_branch .LBB124_115
.LBB124_118:
	s_or_b64 exec, exec, s[40:41]
.LBB124_119:
	s_or_b64 exec, exec, s[38:39]
.LBB124_120:
	s_or_b64 exec, exec, s[36:37]
	v_mul_hi_u32 v6, v11, v12
	s_and_saveexec_b64 s[24:25], vcc
; %bb.121:
	v_mov_b32_e32 v7, 0x100
	v_lshl_add_u32 v7, v3, 2, v7
	v_mov_b32_e32 v8, -1
	ds_write_b32 v7, v8 offset:48
; %bb.122:
	s_or_b64 exec, exec, s[24:25]
	s_load_dwordx4 s[12:15], s[0:1], 0x54
	v_add_u32_e32 v92, 12, v3
	s_abs_i32 s4, s26
	v_add_u32_e32 v8, v11, v6
	v_add_u32_e32 v6, v92, v80
	v_cmp_gt_i32_e64 s[6:7], s61, v6
	s_mov_b64 s[30:31], exec
	s_nop 0
	v_writelane_b32 v101, s6, 22
	s_nop 1
	v_writelane_b32 v101, s7, 23
	s_and_b64 s[6:7], s[30:31], s[6:7]
	s_mov_b64 exec, s[6:7]
	s_cbranch_execz .LBB124_130
; %bb.123:
	s_and_saveexec_b64 s[36:37], s[28:29]
	s_cbranch_execz .LBB124_129
; %bb.124:
	v_mul_lo_u32 v6, v92, s67
	v_ashrrev_i32_e32 v7, 31, v6
	v_lshl_add_u64 v[4:5], v[6:7], 2, v[4:5]
	v_mov_b32_e32 v6, 0x100
	v_lshl_add_u32 v9, v3, 2, v6
	v_mul_lo_u32 v6, v2, s66
	s_lshl_b32 s5, s66, 6
	s_mov_b64 s[38:39], 0
	v_mov_b32_e32 v11, v2
	s_branch .LBB124_126
.LBB124_125:                            ;   in Loop: Header=BB124_126 Depth=1
	s_or_b64 exec, exec, s[40:41]
	v_add_u32_e32 v11, 64, v11
	v_cmp_le_i32_e64 s[28:29], s62, v11
	s_xor_b64 s[6:7], vcc, -1
	s_or_b64 s[6:7], s[6:7], s[28:29]
	s_and_b64 s[6:7], exec, s[6:7]
	s_or_b64 s[38:39], s[6:7], s[38:39]
	v_add_u32_e32 v6, s5, v6
	s_andn2_b64 exec, exec, s[38:39]
	s_cbranch_execz .LBB124_128
.LBB124_126:                            ; =>This Inner Loop Header: Depth=1
	v_ashrrev_i32_e32 v7, 31, v6
	v_lshl_add_u64 v[12:13], v[6:7], 2, v[4:5]
	global_load_dword v7, v[12:13], off
	s_waitcnt vmcnt(0)
	v_cmp_ne_u32_e32 vcc, v7, v10
	v_cmp_eq_u32_e64 s[28:29], v7, v10
	s_and_saveexec_b64 s[40:41], s[28:29]
	s_cbranch_execz .LBB124_125
; %bb.127:                              ;   in Loop: Header=BB124_126 Depth=1
	v_mov_b32_e32 v1, 1
	ds_write_b32 v9, v11 offset:48
	s_branch .LBB124_125
.LBB124_128:
	s_or_b64 exec, exec, s[38:39]
.LBB124_129:
	s_or_b64 exec, exec, s[36:37]
.LBB124_130:
	s_or_b64 exec, exec, s[30:31]
	s_load_dwordx2 s[6:7], s[34:35], 0xc
	s_load_dwordx2 s[30:31], s[0:1], 0x8
	;; [unrolled: 1-line block ×3, first 2 shown]
	v_or_b32_dpp v1, v1, v1 row_shl:1 row_mask:0xf bank_mask:0xf bound_ctrl:1
	v_mul_hi_u32 v4, s4, v8
	s_waitcnt lgkmcnt(0)
	s_and_b32 s5, s7, 0xffff
	s_lshr_b32 s7, s6, 16
	v_writelane_b32 v101, s8, 24
	s_and_b32 s6, s6, 0xffff
	v_or_b32_dpp v1, v1, v1 row_shl:2 row_mask:0xf bank_mask:0xf bound_ctrl:1
	v_writelane_b32 v101, s9, 25
	s_mul_i32 s8, s7, s6
	v_or_b32_dpp v1, v1, v1 row_shl:4 row_mask:0xf bank_mask:0xf bound_ctrl:1
	s_bfe_i32 s8, s8, 0x180000
	s_mul_i32 s5, s8, s5
	v_or_b32_dpp v1, v1, v1 row_shl:8 row_mask:0xf bank_mask:0xf bound_ctrl:1
	s_add_i32 s8, s5, 63
	s_bitcmp1_b32 exec_hi, 0
	v_mov_b32_dpp v5, v1 wave_shl:1 row_mask:0xf bank_mask:0xf bound_ctrl:1
	s_nop 1
	v_or_b32_dpp v1, v5, v1 row_mirror row_mask:0xf bank_mask:0xf bound_ctrl:1
	s_nop 0
	v_readlane_b32 s5, v1, 32
	s_cselect_b32 s5, s5, 0
	v_readlane_b32 s9, v1, 0
	s_or_b32 s5, s5, s9
	s_andn2_b32 s8, s8, 63
	s_cmp_lg_u32 s8, 64
	v_mov_b32_e32 v1, s5
	s_cbranch_scc0 .LBB124_137
; %bb.131:
	v_bfe_u32 v0, v0, 20, 10
	v_mbcnt_lo_u32_b32 v1, -1, 0
	v_mad_u32_u24 v0, v0, s7, v3
	v_mbcnt_hi_u32_b32 v5, -1, v1
	v_mad_u64_u32 v[0:1], s[6:7], v0, s6, v[2:3]
	v_lshrrev_b32_e32 v1, 6, v0
	v_or_b32_e32 v1, v5, v1
	v_cmp_eq_u32_e32 vcc, 0, v1
	s_and_saveexec_b64 s[28:29], vcc
; %bb.132:
	v_mov_b32_e32 v1, 0
	v_mov_b32_e32 v6, s5
	ds_write_b32 v1, v6
; %bb.133:
	s_or_b64 exec, exec, s[28:29]
	v_cmp_eq_u32_e32 vcc, 0, v5
	v_cmp_lt_u32_e64 s[28:29], 63, v0
	s_and_b64 s[6:7], s[28:29], vcc
	s_waitcnt lgkmcnt(0)
	; wave barrier
	s_and_saveexec_b64 s[28:29], s[6:7]
	s_cbranch_execz .LBB124_136
; %bb.134:
	v_mbcnt_lo_u32_b32 v0, exec_lo, 0
	v_mbcnt_hi_u32_b32 v0, exec_hi, v0
	v_cmp_eq_u32_e32 vcc, 0, v0
	s_and_b64 exec, exec, vcc
; %bb.135:
	v_mov_b32_e32 v0, 0
	v_mov_b32_e32 v1, s5
	ds_or_b32 v0, v1
.LBB124_136:
	s_or_b64 exec, exec, s[28:29]
	v_mov_b32_e32 v0, 0
	s_waitcnt lgkmcnt(0)
	; wave barrier
	ds_read_b32 v1, v0
	s_waitcnt lgkmcnt(0)
	; wave barrier
.LBB124_137:
	s_load_dwordx2 s[0:1], s[0:1], 0x0
	v_cmp_ne_u32_e32 vcc, 0, v1
	s_ashr_i32 s5, s26, 31
	s_ashr_i32 s6, s71, 31
	s_cbranch_vccz .LBB124_248
; %bb.138:
	v_lshlrev_b32_e32 v93, 6, v3
	v_add_u32_e32 v94, v93, v2
	v_cmp_le_i32_e32 vcc, s60, v94
	v_and_b32_e32 v0, 15, v2
                                        ; implicit-def: $vgpr95
	s_and_saveexec_b64 s[8:9], vcc
	s_xor_b64 s[28:29], exec, s[8:9]
; %bb.139:
	v_mul_u32_u24_e32 v95, 0x108, v0
                                        ; implicit-def: $vgpr94
                                        ; implicit-def: $vgpr4
                                        ; implicit-def: $vgpr10
                                        ; implicit-def: $vgpr0
; %bb.140:
	s_or_saveexec_b64 s[8:9], s[28:29]
	s_lshl_b32 s7, s2, 6
	v_mov_b32_e32 v1, 0
	v_accvgpr_write_b32 a0, 0
	v_accvgpr_write_b32 a1, 0
	v_accvgpr_write_b32 a2, 0
	v_accvgpr_write_b32 a3, 0
	v_accvgpr_write_b32 a4, 0
	v_accvgpr_write_b32 a5, 0
	v_accvgpr_write_b32 a6, 0
	v_accvgpr_write_b32 a7, 0
	v_accvgpr_write_b32 a8, 0
	v_accvgpr_write_b32 a9, 0
	v_accvgpr_write_b32 a10, 0
	v_accvgpr_write_b32 a11, 0
	v_accvgpr_write_b32 a12, 0
	v_accvgpr_write_b32 a13, 0
	v_accvgpr_write_b32 a14, 0
	v_accvgpr_write_b32 a15, 0
	v_writelane_b32 v101, s8, 26
	s_nop 1
	v_writelane_b32 v101, s9, 27
	s_xor_b64 exec, exec, s[8:9]
	s_cbranch_execz .LBB124_196
; %bb.141:
	v_mul_lo_u32 v5, v4, s3
	v_sub_u32_e32 v5, s4, v5
	v_add_u32_e32 v6, 1, v4
	v_subrev_u32_e32 v7, s3, v5
	v_cmp_le_u32_e32 vcc, s3, v5
	v_writelane_b32 v101, s44, 28
	s_xor_b32 s2, s5, s6
	v_cndmask_b32_e32 v4, v4, v6, vcc
	v_cndmask_b32_e32 v5, v5, v7, vcc
	v_add_u32_e32 v6, 1, v4
	v_cmp_le_u32_e32 vcc, s3, v5
	v_writelane_b32 v101, s45, 29
	v_writelane_b32 v101, s7, 30
	v_cndmask_b32_e32 v4, v4, v6, vcc
	v_xor_b32_e32 v4, s2, v4
	v_subrev_u32_e32 v4, s2, v4
	s_mul_i32 s2, s63, s7
	s_movk_i32 s4, 0x1080
	v_mov_b32_e32 v96, 0x100
	v_writelane_b32 v101, s26, 31
	v_mul_hi_i32 v5, v4, s12
	v_mul_lo_u32 v4, v4, s12
	v_mul_lo_u32 v6, v10, s68
	s_ashr_i32 s3, s2, 31
	v_mad_u32_u24 v12, v3, s4, v96
	s_mul_hi_i32 s5, s13, s26
	v_writelane_b32 v101, s12, 32
	s_mul_i32 s4, s13, s26
	v_ashrrev_i32_e32 v7, 31, v6
	s_lshl_b64 s[2:3], s[2:3], 2
	s_lshl_b64 s[4:5], s[4:5], 2
	v_lshlrev_b64 v[10:11], 2, v[6:7]
	v_writelane_b32 v101, s13, 33
	v_mul_hi_i32 v7, s64, v80
	v_mul_lo_u32 v6, s64, v80
	s_add_u32 s4, s30, s4
	v_writelane_b32 v101, s14, 34
	v_lshlrev_b64 v[6:7], 3, v[6:7]
	s_addc_u32 s5, s31, s5
	v_writelane_b32 v101, s15, 35
	v_lshl_add_u64 v[6:7], s[4:5], 0, v[6:7]
	s_lshl_b32 s4, s64, 3
	v_writelane_b32 v101, s4, 36
	s_mul_i32 s4, s64, 6
	v_lshlrev_b64 v[8:9], 2, v[4:5]
	v_writelane_b32 v101, s4, 37
	s_lshl_b32 s4, s64, 4
	s_waitcnt lgkmcnt(0)
	v_lshl_add_u64 v[4:5], s[0:1], 0, v[8:9]
	v_writelane_b32 v101, s4, 38
	s_mul_i32 s4, s64, 10
	v_lshl_add_u64 v[4:5], v[4:5], 0, v[10:11]
	v_writelane_b32 v101, s4, 39
	s_mul_i32 s4, s64, 12
	s_ashr_i32 s29, s63, 31
	s_mov_b32 s28, s63
	v_lshl_add_u64 v[4:5], v[4:5], 0, s[2:3]
	v_mul_u32_u24_e32 v95, 0x108, v0
	v_lshrrev_b32_e32 v0, 1, v2
	v_writelane_b32 v101, s4, 40
	v_lshl_add_u64 v[8:9], v[8:9], 0, s[2:3]
	s_lshl_b64 s[2:3], s[28:29], 2
	s_mul_i32 s28, s64, 24
	v_and_b32_e32 v0, 0x1f8, v0
	v_writelane_b32 v101, s28, 41
	s_mul_i32 s28, s64, 22
	v_add3_u32 v98, v12, v95, v0
	v_lshl_add_u64 v[8:9], v[8:9], 0, v[10:11]
	v_lshlrev_b32_e32 v0, 1, v2
	v_writelane_b32 v101, s28, 42
	s_mul_i32 s28, s64, 20
	v_lshl_add_u32 v97, v2, 2, v12
	v_add_u32_e32 v12, 1, v80
	v_add_u32_e32 v13, 2, v80
	s_lshl_b32 s62, s64, 2
	v_add_u32_e32 v14, 3, v80
	v_add_u32_e32 v15, 4, v80
	;; [unrolled: 1-line block ×10, first 2 shown]
	v_lshl_add_u64 v[8:9], s[0:1], 0, v[8:9]
	v_lshl_add_u32 v99, v3, 7, v0
	v_lshlrev_b32_e32 v0, 2, v94
	v_writelane_b32 v101, s28, 43
	s_mul_i32 s28, s64, 18
	s_add_i32 s76, s63, s63
	s_mul_i32 s77, s63, 3
	s_lshl_b32 s78, s63, 2
	s_mul_i32 s79, s63, 5
	s_mul_i32 s80, s63, 6
	;; [unrolled: 1-line block ×3, first 2 shown]
	s_lshl_b32 s82, s63, 3
	s_mul_i32 s83, s63, 9
	s_mul_i32 s84, s63, 10
	;; [unrolled: 1-line block ×7, first 2 shown]
	s_lshl_b32 s90, s63, 4
	s_mul_i32 s91, s63, 17
	s_mul_i32 s92, s63, 18
	;; [unrolled: 1-line block ×15, first 2 shown]
	s_lshl_b32 s6, s63, 5
	s_mul_i32 s7, s63, 33
	s_mul_i32 s5, s63, 34
	;; [unrolled: 1-line block ×17, first 2 shown]
	v_cmp_gt_i32_e64 s[0:1], s61, v80
	s_mul_i32 s23, s63, 50
	s_mul_i32 s24, s63, 51
	v_accvgpr_write_b32 a15, 0
	v_accvgpr_write_b32 a14, 0
	;; [unrolled: 1-line block ×16, first 2 shown]
	v_lshl_add_u64 v[8:9], v[8:9], 0, v[0:1]
	s_mul_i32 s25, s63, 52
	s_mul_i32 s66, s63, 53
	;; [unrolled: 1-line block ×12, first 2 shown]
	v_writelane_b32 v101, s28, 44
	s_mul_i32 s75, s64, 14
	s_lshl_b32 s64, s64, 1
	v_cmp_gt_i32_e64 s[28:29], s61, v12
	v_cmp_gt_i32_e64 s[30:31], s61, v13
	;; [unrolled: 1-line block ×12, first 2 shown]
	s_mov_b32 s61, s62
	s_mov_b64 s[62:63], 0
	s_branch .LBB124_144
.LBB124_142:                            ;   in Loop: Header=BB124_144 Depth=1
	v_mul_lo_u32 v0, v0, s69
	v_readlane_b32 vcc_lo, v101, 41
	s_nop 1
	v_add_u32_e32 v0, vcc_lo, v0
	v_add_u32_e32 v74, v0, v99
	v_ashrrev_i32_e32 v75, 31, v74
	v_lshl_add_u64 v[74:75], v[74:75], 2, v[6:7]
	global_load_dwordx2 v[74:75], v[74:75], off
.LBB124_143:                            ;   in Loop: Header=BB124_144 Depth=1
	s_waitcnt vmcnt(0)
	v_cvt_pk_bf16_f32 v0, v74, v75
	v_add_u32_e32 v74, 0xc00, v97
	ds_write2_b32 v74, v0, v1 offset0:40 offset1:106
	ds_write2_b32 v74, v1, v1 offset0:172 offset1:238
	ds_read2_b64 v[74:77], v98 offset0:8 offset1:12
	v_add_u32_e32 v94, 64, v94
	s_mov_b64 vcc, 0x100
	v_lshl_add_u64 v[8:9], v[8:9], 0, vcc
	s_waitcnt lgkmcnt(0)
	v_mfma_f32_16x16x16_bf16 a[12:15], v[16:17], v[74:75], a[12:15]
	v_cmp_le_i32_e32 vcc, s60, v94
	v_add_u32_e32 v99, 0x80, v99
	s_or_b64 s[62:63], vcc, s[62:63]
	v_mfma_f32_16x16x16_bf16 a[8:11], v[42:43], v[74:75], a[8:11]
	v_mfma_f32_16x16x16_bf16 a[4:7], v[56:57], v[74:75], a[4:7]
	;; [unrolled: 1-line block ×4, first 2 shown]
	ds_read2_b64 v[14:17], v98 offset0:16 offset1:20
	v_mfma_f32_16x16x16_bf16 a[8:11], v[40:41], v[76:77], a[8:11]
	v_mfma_f32_16x16x16_bf16 a[4:7], v[54:55], v[76:77], a[4:7]
	;; [unrolled: 1-line block ×3, first 2 shown]
	s_waitcnt lgkmcnt(0)
	v_mfma_f32_16x16x16_bf16 a[12:15], v[12:13], v[14:15], a[12:15]
	v_mfma_f32_16x16x16_bf16 a[8:11], v[36:37], v[14:15], a[8:11]
	;; [unrolled: 1-line block ×5, first 2 shown]
	ds_read2_b64 v[10:13], v98 offset0:24 offset1:28
	v_mfma_f32_16x16x16_bf16 a[8:11], v[34:35], v[16:17], a[8:11]
	v_mfma_f32_16x16x16_bf16 a[4:7], v[50:51], v[16:17], a[4:7]
	;; [unrolled: 1-line block ×3, first 2 shown]
	s_waitcnt lgkmcnt(0)
	v_mfma_f32_16x16x16_bf16 a[12:15], v[24:25], v[10:11], a[12:15]
	v_mfma_f32_16x16x16_bf16 a[8:11], v[32:33], v[10:11], a[8:11]
	;; [unrolled: 1-line block ×8, first 2 shown]
	ds_read2_b64 v[10:13], v98 offset0:32 offset1:36
	s_waitcnt lgkmcnt(0)
	v_mfma_f32_16x16x16_bf16 a[12:15], v[20:21], v[10:11], a[12:15]
	v_mfma_f32_16x16x16_bf16 a[8:11], v[28:29], v[10:11], a[8:11]
	;; [unrolled: 1-line block ×8, first 2 shown]
	s_andn2_b64 exec, exec, s[62:63]
	s_cbranch_execz .LBB124_195
.LBB124_144:                            ; =>This Inner Loop Header: Depth=1
	v_lshl_add_u64 v[10:11], v[8:9], 0, s[2:3]
	global_load_dword v0, v[8:9], off
	global_load_dword v26, v[10:11], off
	v_add_u32_e32 v10, s76, v94
	v_add_u32_e32 v14, s78, v94
	;; [unrolled: 1-line block ×4, first 2 shown]
	v_ashrrev_i32_e32 v11, 31, v10
	v_add_u32_e32 v12, s77, v94
	v_ashrrev_i32_e32 v15, 31, v14
	v_ashrrev_i32_e32 v17, 31, v16
	v_add_u32_e32 v18, s80, v94
	v_add_u32_e32 v20, s81, v94
	v_ashrrev_i32_e32 v23, 31, v22
	v_add_u32_e32 v24, s83, v94
	v_lshl_add_u64 v[10:11], v[10:11], 2, v[4:5]
	v_ashrrev_i32_e32 v13, 31, v12
	v_lshl_add_u64 v[14:15], v[14:15], 2, v[4:5]
	v_lshl_add_u64 v[16:17], v[16:17], 2, v[4:5]
	v_ashrrev_i32_e32 v19, 31, v18
	v_ashrrev_i32_e32 v21, 31, v20
	v_lshl_add_u64 v[22:23], v[22:23], 2, v[4:5]
	v_ashrrev_i32_e32 v25, 31, v24
	v_lshl_add_u64 v[12:13], v[12:13], 2, v[4:5]
	v_lshl_add_u64 v[18:19], v[18:19], 2, v[4:5]
	;; [unrolled: 1-line block ×4, first 2 shown]
	global_load_dword v27, v[10:11], off
	global_load_dword v28, v[12:13], off
	;; [unrolled: 1-line block ×6, first 2 shown]
	s_nop 0
	global_load_dword v22, v[22:23], off
	s_nop 0
	global_load_dword v23, v[24:25], off
	v_add_u32_e32 v10, s84, v94
	v_add_u32_e32 v14, s86, v94
	;; [unrolled: 1-line block ×3, first 2 shown]
	v_ashrrev_i32_e32 v11, 31, v10
	v_add_u32_e32 v12, s85, v94
	v_ashrrev_i32_e32 v15, 31, v14
	v_ashrrev_i32_e32 v17, 31, v16
	v_add_u32_e32 v18, s88, v94
	v_add_u32_e32 v20, s89, v94
	v_lshl_add_u64 v[10:11], v[10:11], 2, v[4:5]
	v_ashrrev_i32_e32 v13, 31, v12
	v_lshl_add_u64 v[14:15], v[14:15], 2, v[4:5]
	v_lshl_add_u64 v[16:17], v[16:17], 2, v[4:5]
	v_ashrrev_i32_e32 v19, 31, v18
	v_ashrrev_i32_e32 v21, 31, v20
	v_lshl_add_u64 v[12:13], v[12:13], 2, v[4:5]
	v_lshl_add_u64 v[18:19], v[18:19], 2, v[4:5]
	;; [unrolled: 1-line block ×3, first 2 shown]
	global_load_dword v24, v[10:11], off
	global_load_dword v25, v[12:13], off
	s_nop 0
	global_load_dword v14, v[14:15], off
	s_nop 0
	;; [unrolled: 2-line block ×3, first 2 shown]
	global_load_dword v16, v[18:19], off
	global_load_dword v17, v[20:21], off
	v_add_u32_e32 v10, s90, v94
	v_add_u32_e32 v12, s91, v94
	v_ashrrev_i32_e32 v11, 31, v10
	v_ashrrev_i32_e32 v13, 31, v12
	v_lshl_add_u64 v[10:11], v[10:11], 2, v[4:5]
	v_add_u32_e32 v18, s92, v94
	v_lshl_add_u64 v[12:13], v[12:13], 2, v[4:5]
	global_load_dword v34, v[10:11], off
	global_load_dword v35, v[12:13], off
	v_ashrrev_i32_e32 v19, 31, v18
	v_add_u32_e32 v20, s93, v94
	v_lshl_add_u64 v[18:19], v[18:19], 2, v[4:5]
	v_ashrrev_i32_e32 v21, 31, v20
	v_lshl_add_u64 v[20:21], v[20:21], 2, v[4:5]
	s_andn2_b64 vcc, exec, s[0:1]
	s_waitcnt vmcnt(17)
	ds_write_b32 v97, v0 offset:64
	s_waitcnt vmcnt(16)
	ds_write_b32 v97, v26 offset:328
	;; [unrolled: 2-line block ×16, first 2 shown]
	v_add_u32_e32 v22, s94, v94
	v_add_u32_e32 v24, s95, v94
	;; [unrolled: 1-line block ×6, first 2 shown]
	v_ashrrev_i32_e32 v23, 31, v22
	v_ashrrev_i32_e32 v25, 31, v24
	;; [unrolled: 1-line block ×6, first 2 shown]
	ds_read_b64 v[16:17], v98 offset:64
	ds_read_b64 v[14:15], v98 offset:96
	;; [unrolled: 1-line block ×4, first 2 shown]
	v_lshl_add_u64 v[22:23], v[22:23], 2, v[4:5]
	v_lshl_add_u64 v[24:25], v[24:25], 2, v[4:5]
	v_lshl_add_u64 v[26:27], v[26:27], 2, v[4:5]
	v_lshl_add_u64 v[28:29], v[28:29], 2, v[4:5]
	v_lshl_add_u64 v[30:31], v[30:31], 2, v[4:5]
	v_lshl_add_u64 v[32:33], v[32:33], 2, v[4:5]
	global_load_dword v0, v[18:19], off
	global_load_dword v36, v[20:21], off
	global_load_dword v37, v[22:23], off
	global_load_dword v38, v[24:25], off
	global_load_dword v39, v[26:27], off
	global_load_dword v40, v[28:29], off
	global_load_dword v41, v[30:31], off
	global_load_dword v42, v[32:33], off
	v_add_u32_e32 v18, s26, v94
	v_ashrrev_i32_e32 v19, 31, v18
	v_add_u32_e32 v20, s27, v94
	v_add_u32_e32 v22, s56, v94
	v_add_u32_e32 v24, s57, v94
	v_add_u32_e32 v26, s54, v94
	v_add_u32_e32 v28, s55, v94
	v_add_u32_e32 v30, s6, v94
	v_add_u32_e32 v32, s7, v94
	v_lshl_add_u64 v[18:19], v[18:19], 2, v[4:5]
	v_ashrrev_i32_e32 v21, 31, v20
	v_ashrrev_i32_e32 v23, 31, v22
	v_ashrrev_i32_e32 v25, 31, v24
	v_ashrrev_i32_e32 v27, 31, v26
	v_ashrrev_i32_e32 v29, 31, v28
	v_ashrrev_i32_e32 v31, 31, v30
	v_ashrrev_i32_e32 v33, 31, v32
	v_lshl_add_u64 v[20:21], v[20:21], 2, v[4:5]
	v_lshl_add_u64 v[22:23], v[22:23], 2, v[4:5]
	v_lshl_add_u64 v[24:25], v[24:25], 2, v[4:5]
	v_lshl_add_u64 v[26:27], v[26:27], 2, v[4:5]
	v_lshl_add_u64 v[28:29], v[28:29], 2, v[4:5]
	v_lshl_add_u64 v[30:31], v[30:31], 2, v[4:5]
	v_lshl_add_u64 v[32:33], v[32:33], 2, v[4:5]
	global_load_dword v43, v[18:19], off
	global_load_dword v44, v[20:21], off
	global_load_dword v45, v[22:23], off
	global_load_dword v46, v[24:25], off
	global_load_dword v47, v[26:27], off
	global_load_dword v48, v[28:29], off
	global_load_dword v49, v[30:31], off
	global_load_dword v50, v[32:33], off
	v_add_u32_e32 v18, s5, v94
	v_ashrrev_i32_e32 v19, 31, v18
	v_add_u32_e32 v20, s8, v94
	v_add_u32_e32 v22, s9, v94
	v_add_u32_e32 v24, s10, v94
	v_add_u32_e32 v26, s11, v94
	v_add_u32_e32 v28, s12, v94
	v_add_u32_e32 v30, s13, v94
	v_add_u32_e32 v32, s14, v94
	v_lshl_add_u64 v[18:19], v[18:19], 2, v[4:5]
	v_ashrrev_i32_e32 v21, 31, v20
	v_ashrrev_i32_e32 v23, 31, v22
	v_ashrrev_i32_e32 v25, 31, v24
	v_ashrrev_i32_e32 v27, 31, v26
	v_ashrrev_i32_e32 v29, 31, v28
	v_ashrrev_i32_e32 v31, 31, v30
	v_ashrrev_i32_e32 v33, 31, v32
	v_lshl_add_u64 v[20:21], v[20:21], 2, v[4:5]
	;; [unrolled: 32-line block ×4, first 2 shown]
	v_lshl_add_u64 v[22:23], v[22:23], 2, v[4:5]
	v_lshl_add_u64 v[24:25], v[24:25], 2, v[4:5]
	;; [unrolled: 1-line block ×6, first 2 shown]
	global_load_dword v67, v[18:19], off
	global_load_dword v68, v[20:21], off
	;; [unrolled: 1-line block ×8, first 2 shown]
	v_add_u32_e32 v18, s33, v94
	v_ashrrev_i32_e32 v19, 31, v18
	v_add_u32_e32 v20, s4, v94
	v_add_u32_e32 v22, s68, v94
	;; [unrolled: 1-line block ×5, first 2 shown]
	v_lshl_add_u64 v[18:19], v[18:19], 2, v[4:5]
	v_ashrrev_i32_e32 v21, 31, v20
	v_ashrrev_i32_e32 v23, 31, v22
	;; [unrolled: 1-line block ×5, first 2 shown]
	v_lshl_add_u64 v[20:21], v[20:21], 2, v[4:5]
	v_lshl_add_u64 v[22:23], v[22:23], 2, v[4:5]
	;; [unrolled: 1-line block ×5, first 2 shown]
	global_load_dword v75, v[18:19], off
	global_load_dword v76, v[20:21], off
	;; [unrolled: 1-line block ×6, first 2 shown]
	ds_read_b64 v[24:25], v98 offset:192
	ds_read_b64 v[22:23], v98 offset:224
	ds_read_b64 v[20:21], v98 offset:256
	ds_read_b64 v[18:19], v98 offset:288
	s_waitcnt vmcnt(47)
	ds_write_b32 v97, v34 offset:64
	s_waitcnt vmcnt(46)
	ds_write_b32 v97, v35 offset:328
	s_waitcnt vmcnt(45)
	ds_write_b32 v97, v0 offset:592
	s_waitcnt vmcnt(44)
	ds_write_b32 v97, v36 offset:856
	s_waitcnt vmcnt(43)
	ds_write_b32 v97, v37 offset:1120
	s_waitcnt vmcnt(42)
	ds_write_b32 v97, v38 offset:1384
	s_waitcnt vmcnt(41)
	ds_write_b32 v97, v39 offset:1648
	s_waitcnt vmcnt(40)
	ds_write_b32 v97, v40 offset:1912
	s_waitcnt vmcnt(39)
	ds_write_b32 v97, v41 offset:2176
	s_waitcnt vmcnt(38)
	ds_write_b32 v97, v42 offset:2440
	s_waitcnt vmcnt(37)
	ds_write_b32 v97, v43 offset:2704
	s_waitcnt vmcnt(36)
	ds_write_b32 v97, v44 offset:2968
	s_waitcnt vmcnt(35)
	ds_write_b32 v97, v45 offset:3232
	s_waitcnt vmcnt(34)
	ds_write_b32 v97, v46 offset:3496
	s_waitcnt vmcnt(33)
	ds_write_b32 v97, v47 offset:3760
	s_waitcnt vmcnt(32)
	ds_write_b32 v97, v48 offset:4024
	ds_read_b64 v[42:43], v98 offset:64
	ds_read_b64 v[40:41], v98 offset:96
	ds_read_b64 v[36:37], v98 offset:128
	ds_read_b64 v[34:35], v98 offset:160
	ds_read_b64 v[32:33], v98 offset:192
	ds_read_b64 v[30:31], v98 offset:224
	ds_read_b64 v[28:29], v98 offset:256
	ds_read_b64 v[26:27], v98 offset:288
	s_waitcnt vmcnt(31)
	ds_write_b32 v97, v49 offset:64
	s_waitcnt vmcnt(30)
	ds_write_b32 v97, v50 offset:328
	s_waitcnt vmcnt(29)
	ds_write_b32 v97, v51 offset:592
	s_waitcnt vmcnt(28)
	ds_write_b32 v97, v52 offset:856
	s_waitcnt vmcnt(27)
	ds_write_b32 v97, v53 offset:1120
	s_waitcnt vmcnt(26)
	ds_write_b32 v97, v54 offset:1384
	s_waitcnt vmcnt(25)
	ds_write_b32 v97, v55 offset:1648
	s_waitcnt vmcnt(24)
	ds_write_b32 v97, v56 offset:1912
	s_waitcnt vmcnt(23)
	ds_write_b32 v97, v57 offset:2176
	s_waitcnt vmcnt(22)
	ds_write_b32 v97, v58 offset:2440
	s_waitcnt vmcnt(21)
	ds_write_b32 v97, v59 offset:2704
	s_waitcnt vmcnt(20)
	ds_write_b32 v97, v60 offset:2968
	s_waitcnt vmcnt(19)
	ds_write_b32 v97, v61 offset:3232
	s_waitcnt vmcnt(18)
	ds_write_b32 v97, v62 offset:3496
	s_waitcnt vmcnt(17)
	ds_write_b32 v97, v63 offset:3760
	s_waitcnt vmcnt(16)
	ds_write_b32 v97, v64 offset:4024
	ds_read_b64 v[56:57], v98 offset:64
	ds_read_b64 v[54:55], v98 offset:96
	ds_read_b64 v[52:53], v98 offset:128
	ds_read_b64 v[50:51], v98 offset:160
	;; [unrolled: 40-line block ×3, first 2 shown]
	ds_read_b64 v[68:69], v98 offset:192
	ds_read_b64 v[64:65], v98 offset:224
	;; [unrolled: 1-line block ×4, first 2 shown]
	v_mov_b32_e32 v76, 0
	v_mov_b32_e32 v77, 0
	;; [unrolled: 1-line block ×3, first 2 shown]
	s_cbranch_vccnz .LBB124_148
; %bb.145:                              ;   in Loop: Header=BB124_144 Depth=1
	ds_read_b32 v0, v96
	s_waitcnt lgkmcnt(0)
	v_cmp_gt_i32_e32 vcc, 0, v0
	s_cbranch_vccnz .LBB124_147
; %bb.146:                              ;   in Loop: Header=BB124_144 Depth=1
	v_mul_lo_u32 v0, v0, s69
	v_add_u32_e32 v76, v99, v0
	v_ashrrev_i32_e32 v77, 31, v76
	v_lshl_add_u64 v[76:77], v[76:77], 2, v[6:7]
	global_load_dwordx2 v[76:77], v[76:77], off
	s_branch .LBB124_148
.LBB124_147:                            ;   in Loop: Header=BB124_144 Depth=1
	v_mov_b32_e32 v76, 0
	v_mov_b32_e32 v77, 0
.LBB124_148:                            ;   in Loop: Header=BB124_144 Depth=1
	s_waitcnt vmcnt(0)
	v_cvt_pk_bf16_f32 v0, v76, v77
	s_andn2_b64 vcc, exec, s[28:29]
	v_mov_b32_e32 v76, 0
	v_mov_b32_e32 v77, 0
	ds_write_b32 v97, v0 offset:64
	s_cbranch_vccnz .LBB124_152
; %bb.149:                              ;   in Loop: Header=BB124_144 Depth=1
	ds_read_b32 v0, v96 offset:4
	s_waitcnt lgkmcnt(0)
	v_cmp_gt_i32_e32 vcc, 0, v0
	s_cbranch_vccnz .LBB124_151
; %bb.150:                              ;   in Loop: Header=BB124_144 Depth=1
	v_mul_lo_u32 v0, v0, s69
	v_add_u32_e32 v0, s64, v0
	v_add_u32_e32 v76, v0, v99
	v_ashrrev_i32_e32 v77, 31, v76
	v_lshl_add_u64 v[76:77], v[76:77], 2, v[6:7]
	global_load_dwordx2 v[76:77], v[76:77], off
	s_branch .LBB124_152
.LBB124_151:                            ;   in Loop: Header=BB124_144 Depth=1
	v_mov_b32_e32 v76, 0
	v_mov_b32_e32 v77, 0
.LBB124_152:                            ;   in Loop: Header=BB124_144 Depth=1
	s_waitcnt vmcnt(0)
	v_cvt_pk_bf16_f32 v0, v76, v77
	v_mov_b32_e32 v76, 0
	s_andn2_b64 vcc, exec, s[30:31]
	v_mov_b32_e32 v75, 0
	ds_write_b32 v97, v0 offset:328
	s_cbranch_vccnz .LBB124_156
; %bb.153:                              ;   in Loop: Header=BB124_144 Depth=1
	ds_read_b32 v0, v96 offset:8
	s_waitcnt lgkmcnt(0)
	v_cmp_gt_i32_e32 vcc, 0, v0
	s_cbranch_vccnz .LBB124_155
; %bb.154:                              ;   in Loop: Header=BB124_144 Depth=1
	v_mul_lo_u32 v0, v0, s69
	v_add_u32_e32 v0, s61, v0
	v_add_u32_e32 v74, v0, v99
	v_ashrrev_i32_e32 v75, 31, v74
	v_lshl_add_u64 v[74:75], v[74:75], 2, v[6:7]
	global_load_dwordx2 v[74:75], v[74:75], off
	s_branch .LBB124_156
.LBB124_155:                            ;   in Loop: Header=BB124_144 Depth=1
	v_mov_b32_e32 v74, 0
	v_mov_b32_e32 v75, 0
.LBB124_156:                            ;   in Loop: Header=BB124_144 Depth=1
	s_waitcnt vmcnt(0)
	v_cvt_pk_bf16_f32 v0, v74, v75
	s_andn2_b64 vcc, exec, s[34:35]
	v_mov_b32_e32 v74, 0
	v_mov_b32_e32 v75, 0
	ds_write_b32 v97, v0 offset:592
	s_cbranch_vccnz .LBB124_160
; %bb.157:                              ;   in Loop: Header=BB124_144 Depth=1
	ds_read_b32 v0, v96 offset:12
	s_waitcnt lgkmcnt(0)
	v_cmp_gt_i32_e32 vcc, 0, v0
	s_cbranch_vccnz .LBB124_159
; %bb.158:                              ;   in Loop: Header=BB124_144 Depth=1
	v_mul_lo_u32 v0, v0, s69
	v_readlane_b32 vcc_lo, v101, 37
	s_nop 1
	v_add_u32_e32 v0, vcc_lo, v0
	v_add_u32_e32 v74, v0, v99
	v_ashrrev_i32_e32 v75, 31, v74
	v_lshl_add_u64 v[74:75], v[74:75], 2, v[6:7]
	global_load_dwordx2 v[74:75], v[74:75], off
	s_branch .LBB124_160
.LBB124_159:                            ;   in Loop: Header=BB124_144 Depth=1
	v_mov_b32_e32 v74, 0
	v_mov_b32_e32 v75, 0
.LBB124_160:                            ;   in Loop: Header=BB124_144 Depth=1
	s_waitcnt vmcnt(0)
	v_cvt_pk_bf16_f32 v0, v74, v75
	v_mov_b32_e32 v74, 0
	s_andn2_b64 vcc, exec, s[36:37]
	v_mov_b32_e32 v77, 0
	ds_write_b32 v97, v0 offset:856
	s_cbranch_vccnz .LBB124_164
; %bb.161:                              ;   in Loop: Header=BB124_144 Depth=1
	ds_read_b32 v0, v96 offset:16
	s_waitcnt lgkmcnt(0)
	v_cmp_gt_i32_e32 vcc, 0, v0
	s_cbranch_vccnz .LBB124_163
; %bb.162:                              ;   in Loop: Header=BB124_144 Depth=1
	v_mul_lo_u32 v0, v0, s69
	v_readlane_b32 vcc_lo, v101, 36
	s_nop 1
	v_add_u32_e32 v0, vcc_lo, v0
	v_add_u32_e32 v76, v0, v99
	v_ashrrev_i32_e32 v77, 31, v76
	v_lshl_add_u64 v[76:77], v[76:77], 2, v[6:7]
	global_load_dwordx2 v[76:77], v[76:77], off
	s_branch .LBB124_164
.LBB124_163:                            ;   in Loop: Header=BB124_144 Depth=1
	v_mov_b32_e32 v76, 0
	v_mov_b32_e32 v77, 0
.LBB124_164:                            ;   in Loop: Header=BB124_144 Depth=1
	s_waitcnt vmcnt(0)
	v_cvt_pk_bf16_f32 v0, v76, v77
	s_andn2_b64 vcc, exec, s[38:39]
	v_mov_b32_e32 v76, 0
	v_mov_b32_e32 v77, 0
	ds_write_b32 v97, v0 offset:1120
	s_cbranch_vccnz .LBB124_168
; %bb.165:                              ;   in Loop: Header=BB124_144 Depth=1
	ds_read_b32 v0, v96 offset:20
	s_waitcnt lgkmcnt(0)
	v_cmp_gt_i32_e32 vcc, 0, v0
	s_cbranch_vccnz .LBB124_167
; %bb.166:                              ;   in Loop: Header=BB124_144 Depth=1
	v_mul_lo_u32 v0, v0, s69
	v_readlane_b32 vcc_lo, v101, 39
	s_nop 1
	v_add_u32_e32 v0, vcc_lo, v0
	v_add_u32_e32 v76, v0, v99
	v_ashrrev_i32_e32 v77, 31, v76
	v_lshl_add_u64 v[76:77], v[76:77], 2, v[6:7]
	global_load_dwordx2 v[76:77], v[76:77], off
	s_branch .LBB124_168
.LBB124_167:                            ;   in Loop: Header=BB124_144 Depth=1
	v_mov_b32_e32 v76, 0
	v_mov_b32_e32 v77, 0
.LBB124_168:                            ;   in Loop: Header=BB124_144 Depth=1
	s_waitcnt vmcnt(0)
	v_cvt_pk_bf16_f32 v0, v76, v77
	v_mov_b32_e32 v78, 0
	s_andn2_b64 vcc, exec, s[40:41]
	v_mov_b32_e32 v75, 0
	ds_write_b32 v97, v0 offset:1384
	s_cbranch_vccnz .LBB124_172
; %bb.169:                              ;   in Loop: Header=BB124_144 Depth=1
	ds_read_b32 v0, v96 offset:24
	s_waitcnt lgkmcnt(0)
	v_cmp_gt_i32_e32 vcc, 0, v0
	s_cbranch_vccnz .LBB124_171
; %bb.170:                              ;   in Loop: Header=BB124_144 Depth=1
	v_mul_lo_u32 v0, v0, s69
	v_readlane_b32 vcc_lo, v101, 40
	s_nop 1
	v_add_u32_e32 v0, vcc_lo, v0
	v_add_u32_e32 v74, v0, v99
	v_ashrrev_i32_e32 v75, 31, v74
	v_lshl_add_u64 v[74:75], v[74:75], 2, v[6:7]
	global_load_dwordx2 v[74:75], v[74:75], off
	s_branch .LBB124_172
.LBB124_171:                            ;   in Loop: Header=BB124_144 Depth=1
	v_mov_b32_e32 v74, 0
	v_mov_b32_e32 v75, 0
.LBB124_172:                            ;   in Loop: Header=BB124_144 Depth=1
	s_waitcnt vmcnt(0)
	v_cvt_pk_bf16_f32 v0, v74, v75
	s_andn2_b64 vcc, exec, s[42:43]
	v_mov_b32_e32 v74, 0
	v_mov_b32_e32 v75, 0
	ds_write_b32 v97, v0 offset:1648
	s_cbranch_vccnz .LBB124_176
; %bb.173:                              ;   in Loop: Header=BB124_144 Depth=1
	ds_read_b32 v0, v96 offset:28
	s_waitcnt lgkmcnt(0)
	v_cmp_gt_i32_e32 vcc, 0, v0
	s_cbranch_vccnz .LBB124_175
; %bb.174:                              ;   in Loop: Header=BB124_144 Depth=1
	v_mul_lo_u32 v0, v0, s69
	v_add_u32_e32 v0, s75, v0
	v_add_u32_e32 v74, v0, v99
	v_ashrrev_i32_e32 v75, 31, v74
	v_lshl_add_u64 v[74:75], v[74:75], 2, v[6:7]
	global_load_dwordx2 v[74:75], v[74:75], off
	s_branch .LBB124_176
.LBB124_175:                            ;   in Loop: Header=BB124_144 Depth=1
	v_mov_b32_e32 v74, 0
	v_mov_b32_e32 v75, 0
.LBB124_176:                            ;   in Loop: Header=BB124_144 Depth=1
	s_waitcnt vmcnt(0)
	v_cvt_pk_bf16_f32 v0, v74, v75
	v_mov_b32_e32 v76, 0
	s_andn2_b64 vcc, exec, s[44:45]
	v_mov_b32_e32 v79, 0
	ds_write_b32 v97, v0 offset:1912
	s_cbranch_vccnz .LBB124_180
; %bb.177:                              ;   in Loop: Header=BB124_144 Depth=1
	ds_read_b32 v0, v96 offset:32
	s_waitcnt lgkmcnt(0)
	v_cmp_gt_i32_e32 vcc, 0, v0
	s_cbranch_vccnz .LBB124_179
; %bb.178:                              ;   in Loop: Header=BB124_144 Depth=1
	v_mul_lo_u32 v0, v0, s69
	v_readlane_b32 vcc_lo, v101, 38
	s_nop 1
	v_add_u32_e32 v0, vcc_lo, v0
	v_add_u32_e32 v74, v0, v99
	v_ashrrev_i32_e32 v75, 31, v74
	v_lshl_add_u64 v[74:75], v[74:75], 2, v[6:7]
	global_load_dwordx2 v[78:79], v[74:75], off
	s_branch .LBB124_180
.LBB124_179:                            ;   in Loop: Header=BB124_144 Depth=1
	v_mov_b32_e32 v78, 0
	v_mov_b32_e32 v79, 0
.LBB124_180:                            ;   in Loop: Header=BB124_144 Depth=1
	s_waitcnt vmcnt(0)
	v_cvt_pk_bf16_f32 v0, v78, v79
	s_andn2_b64 vcc, exec, s[46:47]
	v_mov_b32_e32 v74, 0
	v_mov_b32_e32 v75, 0
	ds_write_b32 v97, v0 offset:2176
	s_cbranch_vccnz .LBB124_184
; %bb.181:                              ;   in Loop: Header=BB124_144 Depth=1
	ds_read_b32 v0, v96 offset:36
	s_waitcnt lgkmcnt(0)
	v_cmp_gt_i32_e32 vcc, 0, v0
	s_cbranch_vccnz .LBB124_183
; %bb.182:                              ;   in Loop: Header=BB124_144 Depth=1
	v_mul_lo_u32 v0, v0, s69
	v_readlane_b32 vcc_lo, v101, 44
	s_nop 1
	v_add_u32_e32 v0, vcc_lo, v0
	v_add_u32_e32 v74, v0, v99
	v_ashrrev_i32_e32 v75, 31, v74
	v_lshl_add_u64 v[74:75], v[74:75], 2, v[6:7]
	global_load_dwordx2 v[74:75], v[74:75], off
	s_branch .LBB124_184
.LBB124_183:                            ;   in Loop: Header=BB124_144 Depth=1
	v_mov_b32_e32 v74, 0
	v_mov_b32_e32 v75, 0
.LBB124_184:                            ;   in Loop: Header=BB124_144 Depth=1
	s_waitcnt vmcnt(0)
	v_cvt_pk_bf16_f32 v0, v74, v75
	v_mov_b32_e32 v74, 0
	s_andn2_b64 vcc, exec, s[48:49]
	v_mov_b32_e32 v77, 0
	ds_write_b32 v97, v0 offset:2440
	s_cbranch_vccnz .LBB124_188
; %bb.185:                              ;   in Loop: Header=BB124_144 Depth=1
	ds_read_b32 v0, v96 offset:40
	s_waitcnt lgkmcnt(0)
	v_cmp_gt_i32_e32 vcc, 0, v0
	s_cbranch_vccnz .LBB124_187
; %bb.186:                              ;   in Loop: Header=BB124_144 Depth=1
	v_mul_lo_u32 v0, v0, s69
	v_readlane_b32 vcc_lo, v101, 43
	s_nop 1
	v_add_u32_e32 v0, vcc_lo, v0
	v_add_u32_e32 v76, v0, v99
	v_ashrrev_i32_e32 v77, 31, v76
	v_lshl_add_u64 v[76:77], v[76:77], 2, v[6:7]
	global_load_dwordx2 v[76:77], v[76:77], off
	s_branch .LBB124_188
.LBB124_187:                            ;   in Loop: Header=BB124_144 Depth=1
	v_mov_b32_e32 v76, 0
	v_mov_b32_e32 v77, 0
.LBB124_188:                            ;   in Loop: Header=BB124_144 Depth=1
	s_waitcnt vmcnt(0)
	v_cvt_pk_bf16_f32 v0, v76, v77
	s_andn2_b64 vcc, exec, s[50:51]
	v_mov_b32_e32 v76, 0
	v_mov_b32_e32 v77, 0
	ds_write_b32 v97, v0 offset:2704
	s_cbranch_vccnz .LBB124_192
; %bb.189:                              ;   in Loop: Header=BB124_144 Depth=1
	ds_read_b32 v0, v96 offset:44
	s_waitcnt lgkmcnt(0)
	v_cmp_gt_i32_e32 vcc, 0, v0
	s_cbranch_vccnz .LBB124_191
; %bb.190:                              ;   in Loop: Header=BB124_144 Depth=1
	v_mul_lo_u32 v0, v0, s69
	v_readlane_b32 vcc_lo, v101, 42
	s_nop 1
	v_add_u32_e32 v0, vcc_lo, v0
	v_add_u32_e32 v76, v0, v99
	v_ashrrev_i32_e32 v77, 31, v76
	v_lshl_add_u64 v[76:77], v[76:77], 2, v[6:7]
	global_load_dwordx2 v[76:77], v[76:77], off
	s_branch .LBB124_192
.LBB124_191:                            ;   in Loop: Header=BB124_144 Depth=1
	v_mov_b32_e32 v76, 0
	v_mov_b32_e32 v77, 0
.LBB124_192:                            ;   in Loop: Header=BB124_144 Depth=1
	s_waitcnt vmcnt(0)
	v_cvt_pk_bf16_f32 v0, v76, v77
	s_andn2_b64 vcc, exec, s[52:53]
	v_mov_b32_e32 v75, 0
	ds_write_b32 v97, v0 offset:2968
	s_cbranch_vccnz .LBB124_143
; %bb.193:                              ;   in Loop: Header=BB124_144 Depth=1
	ds_read_b32 v0, v96 offset:48
	s_waitcnt lgkmcnt(0)
	v_cmp_gt_i32_e32 vcc, 0, v0
	s_cbranch_vccz .LBB124_142
; %bb.194:                              ;   in Loop: Header=BB124_144 Depth=1
	v_mov_b32_e32 v74, 0
	v_mov_b32_e32 v75, 0
	s_branch .LBB124_143
.LBB124_195:
	s_or_b64 exec, exec, s[62:63]
	v_readlane_b32 s44, v101, 28
	v_readlane_b32 s12, v101, 32
	;; [unrolled: 1-line block ×8, first 2 shown]
.LBB124_196:
	s_waitcnt lgkmcnt(0)
	v_readlane_b32 s0, v101, 26
	v_readlane_b32 s1, v101, 27
	s_or_b64 exec, exec, s[0:1]
	v_mov_b32_e32 v0, 0x100
	v_lshl_add_u32 v5, v93, 2, v0
	v_and_b32_e32 v1, 0x3f0, v2
	v_add3_u32 v1, v5, v95, v1
	v_accvgpr_read_b32 v4, a13
	v_accvgpr_read_b32 v6, a12
	ds_write2_b32 v1, v6, v4 offset0:16 offset1:17
	v_accvgpr_read_b32 v4, a15
	v_accvgpr_read_b32 v6, a14
	ds_write2_b32 v1, v6, v4 offset0:18 offset1:19
	;; [unrolled: 3-line block ×8, first 2 shown]
	v_lshl_add_u32 v4, v2, 2, v0
	s_movk_i32 s0, 0x108
	v_mad_u32_u24 v0, v3, s0, v4
	ds_read_b32 v6, v0 offset:64
	v_cmp_gt_u32_e32 vcc, 13, v3
	v_mov_b32_e32 v7, -1
	s_and_saveexec_b64 s[0:1], vcc
; %bb.197:
	s_movk_i32 s2, 0xff04
	v_mad_i32_i24 v0, v3, s2, v5
	ds_read_b32 v7, v0
; %bb.198:
	s_or_b64 exec, exec, s[0:1]
	s_mul_hi_i32 s1, s14, s26
	s_mul_i32 s0, s14, s26
	s_lshl_b64 s[0:1], s[0:1], 2
	v_readlane_b32 s2, v101, 24
	v_mul_hi_i32 v1, v80, s65
	v_mul_lo_u32 v0, v80, s65
	v_readlane_b32 s3, v101, 25
	s_add_u32 s0, s2, s0
	s_addc_u32 s1, s3, s1
	v_lshlrev_b64 v[0:1], 2, v[0:1]
	s_waitcnt lgkmcnt(0)
	v_cmp_lt_i32_e32 vcc, -1, v7
	v_mul_u32_u24_e32 v8, 0x108, v3
	v_add_u32_e32 v2, s7, v2
	v_lshl_add_u64 v[0:1], s[0:1], 0, v[0:1]
	s_and_b64 s[2:3], vcc, s[44:45]
	s_and_saveexec_b64 s[0:1], s[2:3]
	s_cbranch_execz .LBB124_200
; %bb.199:
	v_add_f32_e32 v9, 0, v6
	v_mul_lo_u32 v6, v7, s70
	v_mul_lo_u32 v7, v3, s65
	v_add3_u32 v6, v2, v7, v6
	v_mov_b32_e32 v7, 0
	v_lshl_add_u64 v[6:7], v[6:7], 2, v[0:1]
	global_store_dword v[6:7], v9, off
.LBB124_200:
	s_or_b64 exec, exec, s[0:1]
	v_add_u32_e32 v4, v8, v4
	ds_read_b32 v6, v4 offset:328
	v_cmp_gt_u32_e32 vcc, 12, v3
	v_mov_b32_e32 v7, -1
	s_and_saveexec_b64 s[0:1], vcc
; %bb.201:
	s_movk_i32 s2, 0xff04
	v_mad_i32_i24 v5, v3, s2, v5
	ds_read_b32 v7, v5 offset:4
; %bb.202:
	s_or_b64 exec, exec, s[0:1]
	v_readlane_b32 s0, v101, 0
	s_waitcnt lgkmcnt(0)
	v_cmp_lt_i32_e32 vcc, -1, v7
	v_readlane_b32 s1, v101, 1
	s_and_b64 s[2:3], vcc, s[0:1]
	s_and_saveexec_b64 s[0:1], s[2:3]
	s_cbranch_execz .LBB124_204
; %bb.203:
	v_add_f32_e32 v5, 0, v6
	v_mul_lo_u32 v6, v7, s70
	v_mul_lo_u32 v7, v81, s65
	v_add3_u32 v6, v2, v7, v6
	v_mov_b32_e32 v7, 0
	v_lshl_add_u64 v[6:7], v[6:7], 2, v[0:1]
	global_store_dword v[6:7], v5, off
.LBB124_204:
	s_or_b64 exec, exec, s[0:1]
	ds_read_b32 v5, v4 offset:592
	v_cmp_gt_u32_e32 vcc, 11, v3
	v_mov_b32_e32 v6, -1
	s_and_saveexec_b64 s[0:1], vcc
; %bb.205:
	v_mov_b32_e32 v6, 0x100
	v_lshl_add_u32 v6, v3, 2, v6
	ds_read_b32 v6, v6 offset:8
; %bb.206:
	s_or_b64 exec, exec, s[0:1]
	v_readlane_b32 s0, v101, 2
	s_waitcnt lgkmcnt(0)
	v_cmp_lt_i32_e32 vcc, -1, v6
	v_readlane_b32 s1, v101, 3
	s_and_b64 s[2:3], vcc, s[0:1]
	s_and_saveexec_b64 s[0:1], s[2:3]
	s_cbranch_execz .LBB124_208
; %bb.207:
	v_mul_lo_u32 v6, v6, s70
	v_mul_lo_u32 v7, v82, s65
	v_add3_u32 v6, v2, v7, v6
	v_mov_b32_e32 v7, 0
	v_add_f32_e32 v5, 0, v5
	v_lshl_add_u64 v[6:7], v[6:7], 2, v[0:1]
	global_store_dword v[6:7], v5, off
.LBB124_208:
	s_or_b64 exec, exec, s[0:1]
	ds_read_b32 v5, v4 offset:856
	v_cmp_gt_u32_e32 vcc, 10, v3
	v_mov_b32_e32 v6, -1
	s_and_saveexec_b64 s[0:1], vcc
; %bb.209:
	v_mov_b32_e32 v6, 0x100
	v_lshl_add_u32 v6, v3, 2, v6
	ds_read_b32 v6, v6 offset:12
; %bb.210:
	s_or_b64 exec, exec, s[0:1]
	v_readlane_b32 s0, v101, 4
	s_waitcnt lgkmcnt(0)
	v_cmp_lt_i32_e32 vcc, -1, v6
	v_readlane_b32 s1, v101, 5
	s_and_b64 s[2:3], vcc, s[0:1]
	s_and_saveexec_b64 s[0:1], s[2:3]
	s_cbranch_execz .LBB124_212
; %bb.211:
	v_mul_lo_u32 v6, v6, s70
	v_mul_lo_u32 v7, v83, s65
	v_add3_u32 v6, v2, v7, v6
	v_mov_b32_e32 v7, 0
	v_add_f32_e32 v5, 0, v5
	v_lshl_add_u64 v[6:7], v[6:7], 2, v[0:1]
	global_store_dword v[6:7], v5, off
.LBB124_212:
	;; [unrolled: 27-line block ×10, first 2 shown]
	s_or_b64 exec, exec, s[0:1]
	ds_read_b32 v4, v4 offset:3232
	v_cmp_eq_u32_e32 vcc, 0, v3
	v_mov_b32_e32 v3, -1
	s_and_saveexec_b64 s[0:1], vcc
; %bb.245:
	v_mov_b32_e32 v3, 0x100
	ds_read_b32 v3, v3 offset:48
; %bb.246:
	s_or_b64 exec, exec, s[0:1]
	v_readlane_b32 s0, v101, 22
	s_waitcnt lgkmcnt(0)
	v_cmp_lt_i32_e32 vcc, -1, v3
	v_readlane_b32 s1, v101, 23
	s_and_b64 s[0:1], vcc, s[0:1]
	s_and_saveexec_b64 s[2:3], s[0:1]
	s_cbranch_execz .LBB124_248
; %bb.247:
	v_mul_lo_u32 v3, v3, s70
	v_mul_lo_u32 v5, v92, s65
	v_add3_u32 v2, v2, v5, v3
	v_mov_b32_e32 v3, 0
	v_add_f32_e32 v4, 0, v4
	v_lshl_add_u64 v[0:1], v[2:3], 2, v[0:1]
	global_store_dword v[0:1], v4, off
.LBB124_248:
	s_endpgm
	.section	.rodata,"a",@progbits
	.p2align	6, 0x0
	.amdhsa_kernel _ZL9mul_mat_fI15__hip_bfloat162Li64ELi13ELi1ELb1EEvPKT_PKfPKiPfiiiiiiiiiiiiiiii
		.amdhsa_group_segment_fixed_size 256
		.amdhsa_private_segment_fixed_size 0
		.amdhsa_kernarg_size 352
		.amdhsa_user_sgpr_count 2
		.amdhsa_user_sgpr_dispatch_ptr 0
		.amdhsa_user_sgpr_queue_ptr 0
		.amdhsa_user_sgpr_kernarg_segment_ptr 1
		.amdhsa_user_sgpr_dispatch_id 0
		.amdhsa_user_sgpr_kernarg_preload_length 0
		.amdhsa_user_sgpr_kernarg_preload_offset 0
		.amdhsa_user_sgpr_private_segment_size 0
		.amdhsa_uses_dynamic_stack 0
		.amdhsa_enable_private_segment 0
		.amdhsa_system_sgpr_workgroup_id_x 1
		.amdhsa_system_sgpr_workgroup_id_y 1
		.amdhsa_system_sgpr_workgroup_id_z 1
		.amdhsa_system_sgpr_workgroup_info 0
		.amdhsa_system_vgpr_workitem_id 2
		.amdhsa_next_free_vgpr 120
		.amdhsa_next_free_sgpr 100
		.amdhsa_accum_offset 104
		.amdhsa_reserve_vcc 1
		.amdhsa_float_round_mode_32 0
		.amdhsa_float_round_mode_16_64 0
		.amdhsa_float_denorm_mode_32 3
		.amdhsa_float_denorm_mode_16_64 3
		.amdhsa_dx10_clamp 1
		.amdhsa_ieee_mode 1
		.amdhsa_fp16_overflow 0
		.amdhsa_tg_split 0
		.amdhsa_exception_fp_ieee_invalid_op 0
		.amdhsa_exception_fp_denorm_src 0
		.amdhsa_exception_fp_ieee_div_zero 0
		.amdhsa_exception_fp_ieee_overflow 0
		.amdhsa_exception_fp_ieee_underflow 0
		.amdhsa_exception_fp_ieee_inexact 0
		.amdhsa_exception_int_div_zero 0
	.end_amdhsa_kernel
	.section	.text._ZL9mul_mat_fI15__hip_bfloat162Li64ELi13ELi1ELb1EEvPKT_PKfPKiPfiiiiiiiiiiiiiiii,"axG",@progbits,_ZL9mul_mat_fI15__hip_bfloat162Li64ELi13ELi1ELb1EEvPKT_PKfPKiPfiiiiiiiiiiiiiiii,comdat
.Lfunc_end124:
	.size	_ZL9mul_mat_fI15__hip_bfloat162Li64ELi13ELi1ELb1EEvPKT_PKfPKiPfiiiiiiiiiiiiiiii, .Lfunc_end124-_ZL9mul_mat_fI15__hip_bfloat162Li64ELi13ELi1ELb1EEvPKT_PKfPKiPfiiiiiiiiiiiiiiii
                                        ; -- End function
	.set _ZL9mul_mat_fI15__hip_bfloat162Li64ELi13ELi1ELb1EEvPKT_PKfPKiPfiiiiiiiiiiiiiiii.num_vgpr, 102
	.set _ZL9mul_mat_fI15__hip_bfloat162Li64ELi13ELi1ELb1EEvPKT_PKfPKiPfiiiiiiiiiiiiiiii.num_agpr, 16
	.set _ZL9mul_mat_fI15__hip_bfloat162Li64ELi13ELi1ELb1EEvPKT_PKfPKiPfiiiiiiiiiiiiiiii.numbered_sgpr, 100
	.set _ZL9mul_mat_fI15__hip_bfloat162Li64ELi13ELi1ELb1EEvPKT_PKfPKiPfiiiiiiiiiiiiiiii.num_named_barrier, 0
	.set _ZL9mul_mat_fI15__hip_bfloat162Li64ELi13ELi1ELb1EEvPKT_PKfPKiPfiiiiiiiiiiiiiiii.private_seg_size, 0
	.set _ZL9mul_mat_fI15__hip_bfloat162Li64ELi13ELi1ELb1EEvPKT_PKfPKiPfiiiiiiiiiiiiiiii.uses_vcc, 1
	.set _ZL9mul_mat_fI15__hip_bfloat162Li64ELi13ELi1ELb1EEvPKT_PKfPKiPfiiiiiiiiiiiiiiii.uses_flat_scratch, 0
	.set _ZL9mul_mat_fI15__hip_bfloat162Li64ELi13ELi1ELb1EEvPKT_PKfPKiPfiiiiiiiiiiiiiiii.has_dyn_sized_stack, 0
	.set _ZL9mul_mat_fI15__hip_bfloat162Li64ELi13ELi1ELb1EEvPKT_PKfPKiPfiiiiiiiiiiiiiiii.has_recursion, 0
	.set _ZL9mul_mat_fI15__hip_bfloat162Li64ELi13ELi1ELb1EEvPKT_PKfPKiPfiiiiiiiiiiiiiiii.has_indirect_call, 0
	.section	.AMDGPU.csdata,"",@progbits
; Kernel info:
; codeLenInByte = 12216
; TotalNumSgprs: 106
; NumVgprs: 102
; NumAgprs: 16
; TotalNumVgprs: 120
; ScratchSize: 0
; MemoryBound: 0
; FloatMode: 240
; IeeeMode: 1
; LDSByteSize: 256 bytes/workgroup (compile time only)
; SGPRBlocks: 13
; VGPRBlocks: 14
; NumSGPRsForWavesPerEU: 106
; NumVGPRsForWavesPerEU: 120
; AccumOffset: 104
; Occupancy: 4
; WaveLimiterHint : 0
; COMPUTE_PGM_RSRC2:SCRATCH_EN: 0
; COMPUTE_PGM_RSRC2:USER_SGPR: 2
; COMPUTE_PGM_RSRC2:TRAP_HANDLER: 0
; COMPUTE_PGM_RSRC2:TGID_X_EN: 1
; COMPUTE_PGM_RSRC2:TGID_Y_EN: 1
; COMPUTE_PGM_RSRC2:TGID_Z_EN: 1
; COMPUTE_PGM_RSRC2:TIDIG_COMP_CNT: 2
; COMPUTE_PGM_RSRC3_GFX90A:ACCUM_OFFSET: 25
; COMPUTE_PGM_RSRC3_GFX90A:TG_SPLIT: 0
	.section	.text._ZL9mul_mat_fI15__hip_bfloat162Li64ELi13ELi1ELb0EEvPKT_PKfPKiPfiiiiiiiiiiiiiiii,"axG",@progbits,_ZL9mul_mat_fI15__hip_bfloat162Li64ELi13ELi1ELb0EEvPKT_PKfPKiPfiiiiiiiiiiiiiiii,comdat
	.globl	_ZL9mul_mat_fI15__hip_bfloat162Li64ELi13ELi1ELb0EEvPKT_PKfPKiPfiiiiiiiiiiiiiiii ; -- Begin function _ZL9mul_mat_fI15__hip_bfloat162Li64ELi13ELi1ELb0EEvPKT_PKfPKiPfiiiiiiiiiiiiiiii
	.p2align	8
	.type	_ZL9mul_mat_fI15__hip_bfloat162Li64ELi13ELi1ELb0EEvPKT_PKfPKiPfiiiiiiiiiiiiiiii,@function
_ZL9mul_mat_fI15__hip_bfloat162Li64ELi13ELi1ELb0EEvPKT_PKfPKiPfiiiiiiiiiiiiiiii: ; @_ZL9mul_mat_fI15__hip_bfloat162Li64ELi13ELi1ELb0EEvPKT_PKfPKiPfiiiiiiiiiiiiiiii
; %bb.0:
	s_load_dword s5, s[0:1], 0x20
	s_load_dwordx4 s[16:19], s[0:1], 0x2c
	v_bfe_u32 v84, v0, 10, 10
	v_lshlrev_b32_e32 v86, 6, v84
	v_and_b32_e32 v85, 0x3ff, v0
	v_or_b32_e32 v87, v86, v85
	s_waitcnt lgkmcnt(0)
	s_ashr_i32 s19, s4, 31
	v_cmp_le_i32_e32 vcc, s5, v87
	v_and_b32_e32 v1, 15, v85
                                        ; implicit-def: $vgpr88
	s_and_saveexec_b64 s[6:7], vcc
	s_xor_b64 s[6:7], exec, s[6:7]
; %bb.1:
	v_mul_u32_u24_e32 v88, 0x108, v1
                                        ; implicit-def: $vgpr87
                                        ; implicit-def: $vgpr1
; %bb.2:
	s_or_saveexec_b64 s[24:25], s[6:7]
	s_load_dwordx8 s[8:15], s[0:1], 0x40
	s_load_dwordx2 s[6:7], s[0:1], 0x18
	s_lshl_b32 s2, s2, 6
	v_mov_b32_e32 v3, 0
	v_accvgpr_write_b32 a0, 0
	v_accvgpr_write_b32 a1, 0
	;; [unrolled: 1-line block ×16, first 2 shown]
	v_lshlrev_b32_e32 v0, 2, v85
	s_xor_b64 exec, exec, s[24:25]
	s_cbranch_execz .LBB125_6
; %bb.3:
	s_waitcnt lgkmcnt(0)
	s_abs_i32 s26, s8
	v_cvt_f32_u32_e32 v2, s26
	s_abs_i32 s27, s12
	v_cvt_f32_u32_e32 v4, s27
	s_sub_i32 s20, 0, s26
	v_rcp_iflag_f32_e32 v2, v2
	s_abs_i32 s28, s3
	v_rcp_iflag_f32_e32 v4, v4
	s_sub_i32 s21, 0, s27
	v_mul_f32_e32 v2, 0x4f7ffffe, v2
	v_cvt_u32_f32_e32 v2, v2
	v_mul_f32_e32 v4, 0x4f7ffffe, v4
	v_cvt_u32_f32_e32 v4, v4
	s_abs_i32 s29, s4
	v_mul_lo_u32 v5, s20, v2
	v_mul_hi_u32 v5, v2, v5
	v_add_u32_e32 v2, v2, v5
	v_mul_hi_u32 v2, s28, v2
	v_mul_lo_u32 v6, s21, v4
	v_mul_lo_u32 v5, v2, s26
	v_mul_hi_u32 v6, v4, v6
	v_sub_u32_e32 v5, s28, v5
	v_add_u32_e32 v4, v4, v6
	v_subrev_u32_e32 v7, s26, v5
	v_cmp_le_u32_e32 vcc, s26, v5
	v_mul_hi_u32 v4, s29, v4
	v_add_u32_e32 v6, 1, v2
	v_cndmask_b32_e32 v5, v5, v7, vcc
	v_cndmask_b32_e32 v2, v2, v6, vcc
	v_cmp_le_u32_e32 vcc, s26, v5
	v_mul_lo_u32 v5, v4, s27
	s_load_dwordx4 s[20:23], s[0:1], 0x0
	s_ashr_i32 s0, s3, 31
	s_ashr_i32 s1, s8, 31
	v_add_u32_e32 v6, 1, v2
	v_sub_u32_e32 v5, s29, v5
	s_xor_b32 s0, s0, s1
	v_cndmask_b32_e32 v2, v2, v6, vcc
	v_add_u32_e32 v6, 1, v4
	v_subrev_u32_e32 v7, s27, v5
	v_cmp_le_u32_e32 vcc, s27, v5
	v_xor_b32_e32 v2, s0, v2
	s_ashr_i32 s8, s12, 31
	v_cndmask_b32_e32 v4, v4, v6, vcc
	v_cndmask_b32_e32 v5, v5, v7, vcc
	v_subrev_u32_e32 v2, s0, v2
	v_add_u32_e32 v6, 1, v4
	v_cmp_le_u32_e32 vcc, s27, v5
	s_xor_b32 s0, s19, s8
	s_mul_i32 s8, s14, s4
	v_cndmask_b32_e32 v4, v4, v6, vcc
	v_mul_lo_u32 v6, v2, s9
	s_mul_hi_i32 s9, s14, s4
	v_xor_b32_e32 v4, s0, v4
	s_lshl_b64 s[26:27], s[8:9], 2
	v_subrev_u32_e32 v4, s0, v4
	s_mul_i32 s0, s16, s2
	s_mul_i32 s28, s10, s3
	s_waitcnt lgkmcnt(0)
	s_add_u32 s8, s22, s26
	v_mul_hi_i32 v5, v4, s13
	v_mul_lo_u32 v4, v4, s13
	s_addc_u32 s9, s23, s27
	s_ashr_i32 s1, s0, 31
	s_ashr_i32 s29, s28, 31
	v_ashrrev_i32_e32 v7, 31, v6
	v_lshlrev_b64 v[8:9], 2, v[4:5]
	s_lshl_b64 s[12:13], s[0:1], 2
	s_lshl_b64 s[28:29], s[28:29], 2
	v_lshl_add_u64 v[4:5], s[20:21], 0, v[8:9]
	v_lshlrev_b64 v[6:7], 2, v[6:7]
	s_add_u32 s0, s8, s28
	s_movk_i32 s8, 0x1080
	v_mul_u32_u24_e32 v88, 0x108, v1
	v_lshrrev_b32_e32 v1, 1, v85
	v_lshl_add_u64 v[4:5], v[4:5], 0, v[6:7]
	v_mad_u32_u24 v2, v84, s8, 0
	v_and_b32_e32 v1, 0x1f8, v1
	v_lshl_add_u64 v[6:7], v[6:7], 0, s[12:13]
	s_addc_u32 s1, s9, s29
	v_add_u32_e32 v89, v2, v0
	v_add3_u32 v90, v2, v88, v1
	s_ashr_i32 s9, s16, 31
	s_mov_b32 s8, s16
	s_ashr_i32 s31, s17, 31
	s_mov_b32 s30, s17
	v_lshlrev_b32_e32 v2, 8, v84
	v_lshl_add_u64 v[6:7], v[6:7], 0, v[8:9]
	v_lshl_add_u64 v[4:5], v[4:5], 0, s[12:13]
	s_add_i32 s10, s16, s16
	s_add_i32 s14, s17, s17
	s_lshl_b32 s33, s17, 2
	s_lshl_b32 s37, s17, 3
	;; [unrolled: 1-line block ×6, first 2 shown]
	s_lshl_b64 s[8:9], s[8:9], 2
	s_lshl_b64 s[12:13], s[30:31], 3
	v_lshl_add_u64 v[6:7], v[6:7], 0, v[2:3]
	v_lshlrev_b32_e32 v2, 9, v84
	s_add_u32 s22, s22, s28
	v_mov_b32_e32 v1, v3
	v_lshl_add_u64 v[8:9], s[26:27], 0, v[2:3]
	v_lshlrev_b32_e32 v2, 3, v85
	s_addc_u32 s23, s23, s29
	v_lshl_add_u64 v[6:7], v[6:7], 0, v[0:1]
	v_lshl_add_u64 v[8:9], v[8:9], 0, v[2:3]
	s_mul_i32 s19, s17, 3
	s_mul_i32 s34, s17, 5
	s_mul_i32 s35, s17, 6
	s_mul_i32 s36, s17, 7
	s_mul_i32 s38, s17, 9
	s_mul_i32 s39, s17, 10
	s_mul_i32 s40, s17, 11
	s_mul_i32 s41, s17, 12
	s_mul_i32 s42, s16, 3
	s_mul_i32 s44, s16, 5
	s_mul_i32 s45, s16, 6
	s_mul_i32 s46, s16, 7
	s_mul_i32 s48, s16, 9
	s_mul_i32 s49, s16, 10
	s_mul_i32 s50, s16, 11
	s_mul_i32 s51, s16, 12
	s_mul_i32 s52, s16, 13
	s_mul_i32 s53, s16, 14
	s_mul_i32 s54, s16, 15
	s_mul_i32 s56, s16, 17
	s_mul_i32 s57, s16, 18
	s_mul_i32 s58, s16, 19
	s_mul_i32 s59, s16, 20
	s_mul_i32 s60, s16, 21
	s_mul_i32 s61, s16, 22
	s_mul_i32 s62, s16, 23
	s_mul_i32 s63, s16, 24
	s_mul_i32 s64, s16, 25
	s_mul_i32 s65, s16, 26
	s_mul_i32 s66, s16, 27
	s_mul_i32 s67, s16, 28
	s_mul_i32 s68, s16, 29
	s_mul_i32 s69, s16, 30
	s_mul_i32 s70, s16, 31
	s_mul_i32 s72, s16, 33
	s_mul_i32 s73, s16, 34
	s_mul_i32 s74, s16, 35
	s_mul_i32 s28, s16, 36
	s_mul_i32 s29, s16, 37
	v_lshl_add_u64 v[6:7], s[20:21], 0, v[6:7]
	s_mul_i32 s30, s16, 38
	s_mul_i32 s31, s16, 39
	;; [unrolled: 1-line block ×6, first 2 shown]
	v_lshl_add_u64 v[8:9], s[22:23], 0, v[8:9]
	s_mul_i32 s77, s16, 44
	s_mul_i32 s78, s16, 45
	v_accvgpr_write_b32 a15, 0
	v_accvgpr_write_b32 a14, 0
	;; [unrolled: 1-line block ×16, first 2 shown]
	s_mul_i32 s79, s16, 46
	s_mul_i32 s80, s16, 47
	;; [unrolled: 1-line block ×18, first 2 shown]
	s_mov_b64 s[16:17], 0
	s_mov_b64 s[20:21], 0x100
	;; [unrolled: 1-line block ×3, first 2 shown]
.LBB125_4:                              ; =>This Inner Loop Header: Depth=1
	v_add_u32_e32 v82, s10, v87
	v_add_u32_e32 v12, s42, v87
	;; [unrolled: 1-line block ×3, first 2 shown]
	v_lshl_add_u64 v[10:11], v[6:7], 0, s[8:9]
	v_add_u32_e32 v14, s44, v87
	v_add_u32_e32 v78, s45, v87
	v_ashrrev_i32_e32 v83, 31, v82
	v_ashrrev_i32_e32 v13, 31, v12
	;; [unrolled: 1-line block ×3, first 2 shown]
	v_add_u32_e32 v16, s46, v87
	v_add_u32_e32 v76, s47, v87
	global_load_dword v91, v[10:11], off
	v_lshl_add_u64 v[10:11], v[82:83], 2, v[4:5]
	v_lshl_add_u64 v[12:13], v[12:13], 2, v[4:5]
	;; [unrolled: 1-line block ×3, first 2 shown]
	v_ashrrev_i32_e32 v15, 31, v14
	v_ashrrev_i32_e32 v79, 31, v78
	v_add_u32_e32 v20, s48, v87
	v_add_u32_e32 v74, s49, v87
	global_load_dword v82, v[10:11], off
	global_load_dword v81, v[12:13], off
	;; [unrolled: 1-line block ×3, first 2 shown]
	v_lshl_add_u64 v[14:15], v[14:15], 2, v[4:5]
	v_lshl_add_u64 v[92:93], v[78:79], 2, v[4:5]
	v_ashrrev_i32_e32 v17, 31, v16
	v_ashrrev_i32_e32 v77, 31, v76
	v_add_u32_e32 v42, s50, v87
	v_add_u32_e32 v72, s51, v87
	global_load_dword v79, v[14:15], off
	global_load_dword v78, v[92:93], off
	v_lshl_add_u64 v[16:17], v[16:17], 2, v[4:5]
	v_lshl_add_u64 v[92:93], v[76:77], 2, v[4:5]
	v_ashrrev_i32_e32 v21, 31, v20
	v_ashrrev_i32_e32 v75, 31, v74
	v_add_u32_e32 v46, s52, v87
	v_add_u32_e32 v70, s53, v87
	global_load_dword v77, v[16:17], off
	global_load_dword v76, v[92:93], off
	;; [unrolled: 8-line block ×10, first 2 shown]
	v_lshl_add_u64 v[44:45], v[44:45], 2, v[4:5]
	v_lshl_add_u64 v[92:93], v[48:49], 2, v[4:5]
	v_ashrrev_i32_e32 v33, 31, v32
	v_ashrrev_i32_e32 v41, 31, v40
	v_add_u32_e32 v18, s70, v87
	v_add_u32_e32 v34, s71, v87
	;; [unrolled: 1-line block ×8, first 2 shown]
	global_load_dword v48, v[44:45], off
	global_load_dword v49, v[92:93], off
	v_lshl_add_u64 v[32:33], v[32:33], 2, v[4:5]
	v_lshl_add_u64 v[92:93], v[40:41], 2, v[4:5]
	v_ashrrev_i32_e32 v23, 31, v22
	v_ashrrev_i32_e32 v31, 31, v30
	v_add_u32_e32 v38, s28, v87
	v_add_u32_e32 v14, s75, v87
	;; [unrolled: 1-line block ×3, first 2 shown]
	global_load_dword v40, v[32:33], off
	global_load_dword v41, v[92:93], off
	v_lshl_add_u64 v[22:23], v[22:23], 2, v[4:5]
	v_lshl_add_u64 v[92:93], v[30:31], 2, v[4:5]
	v_ashrrev_i32_e32 v19, 31, v18
	v_ashrrev_i32_e32 v35, 31, v34
	;; [unrolled: 1-line block ×8, first 2 shown]
	v_add_u32_e32 v20, s26, v87
	v_add_u32_e32 v42, s27, v87
	global_load_dword v30, v[22:23], off
	global_load_dword v31, v[92:93], off
	v_lshl_add_u64 v[18:19], v[18:19], 2, v[4:5]
	v_lshl_add_u64 v[92:93], v[34:35], 2, v[4:5]
	;; [unrolled: 1-line block ×4, first 2 shown]
	v_ashrrev_i32_e32 v39, 31, v38
	v_lshl_add_u64 v[26:27], v[26:27], 2, v[4:5]
	v_lshl_add_u64 v[28:29], v[28:29], 2, v[4:5]
	;; [unrolled: 1-line block ×4, first 2 shown]
	v_ashrrev_i32_e32 v15, 31, v14
	v_ashrrev_i32_e32 v17, 31, v16
	v_add_u32_e32 v46, s77, v87
	v_add_u32_e32 v54, s78, v87
	global_load_dword v34, v[18:19], off
	global_load_dword v69, v[92:93], off
	;; [unrolled: 1-line block ×4, first 2 shown]
	v_lshl_add_u64 v[36:37], v[38:39], 2, v[4:5]
	global_load_dword v92, v[26:27], off
	global_load_dword v93, v[36:37], off
	s_nop 0
	global_load_dword v28, v[28:29], off
	s_nop 0
	global_load_dword v35, v[6:7], off
	global_load_dword v29, v[10:11], off
	;; [unrolled: 1-line block ×3, first 2 shown]
	s_nop 0
	global_load_dwordx2 v[10:11], v[8:9], off
	v_lshl_add_u64 v[12:13], v[14:15], 2, v[4:5]
	v_lshl_add_u64 v[14:15], v[16:17], 2, v[4:5]
	v_ashrrev_i32_e32 v21, 31, v20
	v_ashrrev_i32_e32 v43, 31, v42
	v_add_u32_e32 v58, s79, v87
	v_add_u32_e32 v62, s80, v87
	global_load_dword v95, v[12:13], off
	global_load_dword v96, v[14:15], off
	v_lshl_add_u64 v[14:15], v[20:21], 2, v[4:5]
	v_lshl_add_u64 v[16:17], v[42:43], 2, v[4:5]
	v_ashrrev_i32_e32 v47, 31, v46
	v_ashrrev_i32_e32 v55, 31, v54
	v_add_u32_e32 v56, s81, v87
	v_add_u32_e32 v50, s82, v87
	global_load_dword v97, v[14:15], off
	global_load_dword v98, v[16:17], off
	v_lshl_add_u64 v[16:17], v[46:47], 2, v[4:5]
	v_lshl_add_u64 v[20:21], v[54:55], 2, v[4:5]
	v_ashrrev_i32_e32 v59, 31, v58
	v_ashrrev_i32_e32 v63, 31, v62
	v_add_u32_e32 v44, s83, v87
	v_add_u32_e32 v32, s84, v87
	;; [unrolled: 1-line block ×4, first 2 shown]
	global_load_dword v46, v[16:17], off
	global_load_dword v47, v[20:21], off
	v_lshl_add_u64 v[20:21], v[58:59], 2, v[4:5]
	v_lshl_add_u64 v[36:37], v[62:63], 2, v[4:5]
	v_ashrrev_i32_e32 v57, 31, v56
	v_ashrrev_i32_e32 v51, 31, v50
	v_add_u32_e32 v24, s87, v87
	v_add_u32_e32 v12, s89, v87
	;; [unrolled: 1-line block ×3, first 2 shown]
	global_load_dword v54, v[20:21], off
	global_load_dword v55, v[36:37], off
	v_lshl_add_u64 v[36:37], v[56:57], 2, v[4:5]
	v_lshl_add_u64 v[38:39], v[50:51], 2, v[4:5]
	v_ashrrev_i32_e32 v45, 31, v44
	v_ashrrev_i32_e32 v33, 31, v32
	v_ashrrev_i32_e32 v23, 31, v22
	v_ashrrev_i32_e32 v19, 31, v18
	v_add_u32_e32 v26, s88, v87
	v_add_u32_e32 v16, s91, v87
	;; [unrolled: 1-line block ×3, first 2 shown]
	global_load_dword v58, v[36:37], off
	global_load_dword v59, v[38:39], off
	v_lshl_add_u64 v[38:39], v[44:45], 2, v[4:5]
	v_lshl_add_u64 v[32:33], v[32:33], 2, v[4:5]
	;; [unrolled: 1-line block ×4, first 2 shown]
	v_ashrrev_i32_e32 v25, 31, v24
	v_ashrrev_i32_e32 v13, 31, v12
	;; [unrolled: 1-line block ×3, first 2 shown]
	v_add_u32_e32 v36, s93, v87
	global_load_dword v44, v[38:39], off
	global_load_dword v45, v[32:33], off
	v_add_u32_e32 v32, s94, v87
	global_load_dword v99, v[22:23], off
	global_load_dword v100, v[18:19], off
	v_add_u32_e32 v18, s95, v87
	v_ashrrev_i32_e32 v27, 31, v26
	v_lshl_add_u64 v[22:23], v[24:25], 2, v[4:5]
	v_lshl_add_u64 v[12:13], v[12:13], 2, v[4:5]
	;; [unrolled: 1-line block ×3, first 2 shown]
	v_ashrrev_i32_e32 v17, 31, v16
	v_ashrrev_i32_e32 v21, 31, v20
	v_lshl_add_u64 v[24:25], v[26:27], 2, v[4:5]
	global_load_dword v101, v[22:23], off
	global_load_dword v102, v[24:25], off
	v_add_u32_e32 v22, s96, v87
	global_load_dword v103, v[12:13], off
	global_load_dword v104, v[14:15], off
	v_lshl_add_u64 v[14:15], v[16:17], 2, v[4:5]
	v_lshl_add_u64 v[16:17], v[20:21], 2, v[4:5]
	v_ashrrev_i32_e32 v37, 31, v36
	v_ashrrev_i32_e32 v33, 31, v32
	;; [unrolled: 1-line block ×3, first 2 shown]
	v_lshl_add_u64 v[12:13], v[8:9], 0, s[12:13]
	global_load_dword v105, v[14:15], off
	global_load_dword v106, v[16:17], off
	v_lshl_add_u64 v[16:17], v[36:37], 2, v[4:5]
	v_lshl_add_u64 v[20:21], v[32:33], 2, v[4:5]
	v_ashrrev_i32_e32 v23, 31, v22
	v_lshl_add_u64 v[18:19], v[18:19], 2, v[4:5]
	global_load_dword v107, v[16:17], off
	global_load_dword v108, v[20:21], off
	v_lshl_add_u64 v[20:21], v[22:23], 2, v[4:5]
	global_load_dword v109, v[18:19], off
	global_load_dword v110, v[20:21], off
	v_add_u32_e32 v14, s14, v87
	global_load_dwordx2 v[12:13], v[12:13], off
	v_add_u32_e32 v16, s19, v87
	v_add_u32_e32 v18, s33, v87
	s_waitcnt vmcnt(25)
	v_cvt_pk_bf16_f32 v111, v10, v11
	v_add_u32_e32 v10, s34, v87
	ds_write_b32 v89, v91 offset:264
	v_add_u32_e32 v20, s36, v87
	v_add_u32_e32 v22, s37, v87
	;; [unrolled: 1-line block ×6, first 2 shown]
	v_ashrrev_i32_e32 v15, 31, v14
	v_ashrrev_i32_e32 v17, 31, v16
	v_ashrrev_i32_e32 v19, 31, v18
	v_ashrrev_i32_e32 v11, 31, v10
	v_ashrrev_i32_e32 v21, 31, v20
	v_ashrrev_i32_e32 v23, 31, v22
	v_ashrrev_i32_e32 v25, 31, v24
	v_ashrrev_i32_e32 v27, 31, v26
	v_ashrrev_i32_e32 v33, 31, v32
	v_ashrrev_i32_e32 v37, 31, v36
	ds_write_b32 v89, v35
	ds_write_b32 v89, v82 offset:528
	ds_write_b32 v89, v81 offset:792
	;; [unrolled: 1-line block ×12, first 2 shown]
	v_lshl_add_u64 v[14:15], v[14:15], 3, s[0:1]
	v_lshl_add_u64 v[16:17], v[16:17], 3, s[0:1]
	;; [unrolled: 1-line block ×10, first 2 shown]
	v_accvgpr_mov_b32 a17, a3
	v_accvgpr_mov_b32 a16, a2
	v_lshl_add_u64 v[6:7], v[6:7], 0, s[20:21]
	v_lshl_add_u64 v[8:9], v[8:9], 0, s[22:23]
	s_waitcnt vmcnt(0)
	v_cvt_pk_bf16_f32 v91, v12, v13
	v_add_u32_e32 v12, s35, v87
	v_ashrrev_i32_e32 v13, 31, v12
	v_lshl_add_u64 v[12:13], v[12:13], 3, s[0:1]
	global_load_dwordx2 v[14:15], v[14:15], off
	s_nop 0
	global_load_dwordx2 v[16:17], v[16:17], off
	s_nop 0
	;; [unrolled: 2-line block ×10, first 2 shown]
	global_load_dwordx2 v[36:37], v[36:37], off
	ds_write_b32 v89, v1 offset:3696
	ds_write_b32 v89, v68 offset:3960
	v_add_u32_e32 v87, 64, v87
	v_cmp_le_i32_e32 vcc, s5, v87
	s_or_b64 s[16:17], vcc, s[16:17]
	s_waitcnt vmcnt(10)
	v_cvt_pk_bf16_f32 v1, v14, v15
	s_waitcnt vmcnt(9)
	v_cvt_pk_bf16_f32 v74, v16, v17
	;; [unrolled: 2-line block ×9, first 2 shown]
	ds_read_b64 v[56:57], v90
	ds_read_b64 v[42:43], v90 offset:32
	ds_read_b64 v[38:39], v90 offset:64
	;; [unrolled: 1-line block ×7, first 2 shown]
	ds_write_b32 v89, v2
	ds_write_b32 v89, v66 offset:264
	ds_write_b32 v89, v67 offset:528
	;; [unrolled: 1-line block ×15, first 2 shown]
	s_waitcnt vmcnt(0)
	v_cvt_pk_bf16_f32 v112, v36, v37
	ds_read_b64 v[64:65], v90
	ds_read_b64 v[52:53], v90 offset:32
	ds_read_b64 v[50:51], v90 offset:64
	;; [unrolled: 1-line block ×7, first 2 shown]
	ds_write_b32 v89, v69
	ds_write_b32 v89, v71 offset:264
	ds_write_b32 v89, v83 offset:528
	;; [unrolled: 1-line block ×15, first 2 shown]
	v_cvt_pk_bf16_f32 v82, v32, v33
	ds_read_b64 v[70:71], v90
	ds_read_b64 v[62:63], v90 offset:32
	ds_read_b64 v[60:61], v90 offset:64
	;; [unrolled: 1-line block ×7, first 2 shown]
	ds_write_b32 v89, v58
	ds_write_b32 v89, v59 offset:264
	ds_write_b32 v89, v44 offset:528
	;; [unrolled: 1-line block ×15, first 2 shown]
	ds_read_b64 v[72:73], v90
	ds_read_b64 v[68:69], v90 offset:32
	ds_read_b64 v[66:67], v90 offset:64
	ds_read_b64 v[58:59], v90 offset:96
	ds_read_b64 v[54:55], v90 offset:128
	ds_read_b64 v[44:45], v90 offset:160
	ds_read_b64 v[40:41], v90 offset:192
	ds_read_b64 v[28:29], v90 offset:224
	ds_write_b32 v89, v111
	ds_write_b32 v89, v91 offset:264
	ds_write_b32 v89, v1 offset:528
	;; [unrolled: 1-line block ×15, first 2 shown]
	ds_read_b64 v[74:75], v90
	v_accvgpr_read_b32 v93, a9
	v_accvgpr_read_b32 v92, a8
	;; [unrolled: 1-line block ×4, first 2 shown]
	v_accvgpr_mov_b32 a6, a12
	v_accvgpr_mov_b32 a7, a13
	;; [unrolled: 1-line block ×4, first 2 shown]
	v_accvgpr_read_b32 v96, a4
	v_accvgpr_read_b32 v97, a5
	s_waitcnt lgkmcnt(0)
	v_mfma_f32_16x16x16_bf16 a[6:9], v[56:57], v[74:75], a[6:9]
	ds_read_b64 v[56:57], v90 offset:32
	v_accvgpr_write_b32 a2, v96
	v_accvgpr_read_b32 v95, a11
	v_accvgpr_read_b32 v94, a10
	v_accvgpr_write_b32 a10, v92
	v_accvgpr_write_b32 a3, v97
	;; [unrolled: 1-line block ×4, first 2 shown]
	s_waitcnt lgkmcnt(0)
	v_mfma_f32_16x16x16_bf16 a[6:9], v[42:43], v[56:57], a[6:9]
	ds_read_b64 v[42:43], v90 offset:64
	v_accvgpr_write_b32 a11, v93
	v_accvgpr_write_b32 a12, v94
	;; [unrolled: 1-line block ×3, first 2 shown]
	v_mfma_f32_16x16x16_bf16 a[2:5], v[70:71], v[74:75], a[2:5]
	v_accvgpr_mov_b32 a15, a1
	v_accvgpr_mov_b32 a14, a0
	v_mfma_f32_16x16x16_bf16 a[10:13], v[64:65], v[74:75], a[10:13]
	s_nop 0
	v_mfma_f32_16x16x16_bf16 a[14:17], v[72:73], v[74:75], a[14:17]
	v_mfma_f32_16x16x16_bf16 a[0:3], v[62:63], v[56:57], a[2:5]
	s_waitcnt lgkmcnt(0)
	v_mfma_f32_16x16x16_bf16 a[4:7], v[38:39], v[42:43], a[6:9]
	ds_read_b64 v[38:39], v90 offset:96
	v_mfma_f32_16x16x16_bf16 a[10:13], v[52:53], v[56:57], a[10:13]
	v_mfma_f32_16x16x16_bf16 a[14:17], v[68:69], v[56:57], a[14:17]
	;; [unrolled: 1-line block ×5, first 2 shown]
	s_waitcnt lgkmcnt(0)
	v_mfma_f32_16x16x16_bf16 a[4:7], v[26:27], v[38:39], a[4:7]
	ds_read_b64 v[26:27], v90 offset:128
	v_mfma_f32_16x16x16_bf16 a[8:11], v[36:37], v[38:39], a[8:11]
	v_mfma_f32_16x16x16_bf16 a[0:3], v[48:49], v[38:39], a[0:3]
	v_mfma_f32_16x16x16_bf16 a[12:15], v[58:59], v[38:39], a[12:15]
	s_waitcnt lgkmcnt(0)
	v_mfma_f32_16x16x16_bf16 a[4:7], v[24:25], v[26:27], a[4:7]
	ds_read_b64 v[24:25], v90 offset:160
	v_mfma_f32_16x16x16_bf16 a[8:11], v[34:35], v[26:27], a[8:11]
	v_mfma_f32_16x16x16_bf16 a[0:3], v[46:47], v[26:27], a[0:3]
	v_mfma_f32_16x16x16_bf16 a[12:15], v[54:55], v[26:27], a[12:15]
	;; [unrolled: 6-line block ×4, first 2 shown]
	s_waitcnt lgkmcnt(0)
	v_mfma_f32_16x16x16_bf16 a[12:15], v[10:11], v[12:13], a[4:7]
	v_mfma_f32_16x16x16_bf16 a[8:11], v[14:15], v[12:13], a[8:11]
	;; [unrolled: 1-line block ×4, first 2 shown]
	s_andn2_b64 exec, exec, s[16:17]
	s_cbranch_execnz .LBB125_4
; %bb.5:
	s_or_b64 exec, exec, s[16:17]
.LBB125_6:
	s_or_b64 exec, exec, s[24:25]
	v_lshl_add_u32 v1, v86, 2, 0
	v_and_b32_e32 v2, 0x3f0, v85
	v_add3_u32 v1, v1, v88, v2
	v_accvgpr_read_b32 v2, a13
	v_accvgpr_read_b32 v3, a12
	ds_write2_b32 v1, v3, v2 offset1:1
	v_accvgpr_read_b32 v2, a15
	v_accvgpr_read_b32 v3, a14
	ds_write2_b32 v1, v3, v2 offset0:2 offset1:3
	v_accvgpr_read_b32 v2, a9
	v_accvgpr_read_b32 v3, a8
	ds_write2_b32 v1, v3, v2 offset0:16 offset1:17
	;; [unrolled: 3-line block ×6, first 2 shown]
	v_accvgpr_read_b32 v2, a3
	v_accvgpr_read_b32 v3, a2
	s_waitcnt lgkmcnt(0)
	s_mul_hi_i32 s1, s15, s4
	s_mul_i32 s0, s15, s4
	ds_write2_b32 v1, v3, v2 offset0:50 offset1:51
	v_mul_u32_u24_e32 v1, 0x108, v84
	s_lshl_b64 s[0:1], s[0:1], 2
	v_add3_u32 v6, 0, v0, v1
	s_add_u32 s4, s6, s0
	s_mul_i32 s0, s11, s3
	ds_read2_b32 v[0:1], v6 offset1:66
	s_addc_u32 s5, s7, s1
	s_ashr_i32 s1, s0, 31
	s_lshl_b64 s[0:1], s[0:1], 2
	s_add_u32 s0, s4, s0
	v_mul_lo_u32 v2, v84, s18
	s_addc_u32 s1, s5, s1
	v_add3_u32 v2, s2, v85, v2
	v_mov_b32_e32 v3, 0
	s_waitcnt lgkmcnt(0)
	v_add_f32_e32 v0, 0, v0
	v_lshl_add_u64 v[4:5], v[2:3], 2, s[0:1]
	global_store_dword v[4:5], v0, off
	ds_read2_b32 v[4:5], v6 offset0:132 offset1:198
	v_add_u32_e32 v2, s18, v2
	v_add_f32_e32 v7, 0, v1
	v_lshl_add_u64 v[0:1], v[2:3], 2, s[0:1]
	v_add_u32_e32 v2, s18, v2
	global_store_dword v[0:1], v7, off
	s_waitcnt lgkmcnt(0)
	v_add_f32_e32 v4, 0, v4
	v_lshl_add_u64 v[0:1], v[2:3], 2, s[0:1]
	v_add_u32_e32 v7, 0x400, v6
	global_store_dword v[0:1], v4, off
	ds_read2_b32 v[0:1], v7 offset0:8 offset1:74
	v_add_u32_e32 v2, s18, v2
	v_add_f32_e32 v8, 0, v5
	v_lshl_add_u64 v[4:5], v[2:3], 2, s[0:1]
	v_add_u32_e32 v2, s18, v2
	global_store_dword v[4:5], v8, off
	s_waitcnt lgkmcnt(0)
	v_add_f32_e32 v0, 0, v0
	v_lshl_add_u64 v[4:5], v[2:3], 2, s[0:1]
	global_store_dword v[4:5], v0, off
	ds_read2_b32 v[4:5], v7 offset0:140 offset1:206
	v_add_u32_e32 v2, s18, v2
	v_add_f32_e32 v7, 0, v1
	v_lshl_add_u64 v[0:1], v[2:3], 2, s[0:1]
	v_add_u32_e32 v2, s18, v2
	global_store_dword v[0:1], v7, off
	s_waitcnt lgkmcnt(0)
	v_add_f32_e32 v4, 0, v4
	v_lshl_add_u64 v[0:1], v[2:3], 2, s[0:1]
	v_add_u32_e32 v7, 0x800, v6
	global_store_dword v[0:1], v4, off
	ds_read2_b32 v[0:1], v7 offset0:16 offset1:82
	v_add_u32_e32 v2, s18, v2
	v_add_f32_e32 v8, 0, v5
	v_lshl_add_u64 v[4:5], v[2:3], 2, s[0:1]
	v_add_u32_e32 v2, s18, v2
	global_store_dword v[4:5], v8, off
	s_waitcnt lgkmcnt(0)
	v_add_f32_e32 v0, 0, v0
	v_lshl_add_u64 v[4:5], v[2:3], 2, s[0:1]
	global_store_dword v[4:5], v0, off
	ds_read2_b32 v[4:5], v7 offset0:148 offset1:214
	v_add_u32_e32 v2, s18, v2
	v_add_f32_e32 v7, 0, v1
	v_lshl_add_u64 v[0:1], v[2:3], 2, s[0:1]
	v_add_u32_e32 v2, s18, v2
	global_store_dword v[0:1], v7, off
	s_waitcnt lgkmcnt(0)
	v_add_f32_e32 v4, 0, v4
	v_lshl_add_u64 v[0:1], v[2:3], 2, s[0:1]
	global_store_dword v[0:1], v4, off
	ds_read_b32 v4, v6 offset:3168
	v_add_u32_e32 v2, s18, v2
	v_add_f32_e32 v5, 0, v5
	v_lshl_add_u64 v[0:1], v[2:3], 2, s[0:1]
	v_add_u32_e32 v2, s18, v2
	global_store_dword v[0:1], v5, off
	s_waitcnt lgkmcnt(0)
	v_add_f32_e32 v4, 0, v4
	v_lshl_add_u64 v[0:1], v[2:3], 2, s[0:1]
	global_store_dword v[0:1], v4, off
	s_endpgm
	.section	.rodata,"a",@progbits
	.p2align	6, 0x0
	.amdhsa_kernel _ZL9mul_mat_fI15__hip_bfloat162Li64ELi13ELi1ELb0EEvPKT_PKfPKiPfiiiiiiiiiiiiiiii
		.amdhsa_group_segment_fixed_size 0
		.amdhsa_private_segment_fixed_size 0
		.amdhsa_kernarg_size 96
		.amdhsa_user_sgpr_count 2
		.amdhsa_user_sgpr_dispatch_ptr 0
		.amdhsa_user_sgpr_queue_ptr 0
		.amdhsa_user_sgpr_kernarg_segment_ptr 1
		.amdhsa_user_sgpr_dispatch_id 0
		.amdhsa_user_sgpr_kernarg_preload_length 0
		.amdhsa_user_sgpr_kernarg_preload_offset 0
		.amdhsa_user_sgpr_private_segment_size 0
		.amdhsa_uses_dynamic_stack 0
		.amdhsa_enable_private_segment 0
		.amdhsa_system_sgpr_workgroup_id_x 1
		.amdhsa_system_sgpr_workgroup_id_y 1
		.amdhsa_system_sgpr_workgroup_id_z 1
		.amdhsa_system_sgpr_workgroup_info 0
		.amdhsa_system_vgpr_workitem_id 1
		.amdhsa_next_free_vgpr 136
		.amdhsa_next_free_sgpr 97
		.amdhsa_accum_offset 116
		.amdhsa_reserve_vcc 1
		.amdhsa_float_round_mode_32 0
		.amdhsa_float_round_mode_16_64 0
		.amdhsa_float_denorm_mode_32 3
		.amdhsa_float_denorm_mode_16_64 3
		.amdhsa_dx10_clamp 1
		.amdhsa_ieee_mode 1
		.amdhsa_fp16_overflow 0
		.amdhsa_tg_split 0
		.amdhsa_exception_fp_ieee_invalid_op 0
		.amdhsa_exception_fp_denorm_src 0
		.amdhsa_exception_fp_ieee_div_zero 0
		.amdhsa_exception_fp_ieee_overflow 0
		.amdhsa_exception_fp_ieee_underflow 0
		.amdhsa_exception_fp_ieee_inexact 0
		.amdhsa_exception_int_div_zero 0
	.end_amdhsa_kernel
	.section	.text._ZL9mul_mat_fI15__hip_bfloat162Li64ELi13ELi1ELb0EEvPKT_PKfPKiPfiiiiiiiiiiiiiiii,"axG",@progbits,_ZL9mul_mat_fI15__hip_bfloat162Li64ELi13ELi1ELb0EEvPKT_PKfPKiPfiiiiiiiiiiiiiiii,comdat
.Lfunc_end125:
	.size	_ZL9mul_mat_fI15__hip_bfloat162Li64ELi13ELi1ELb0EEvPKT_PKfPKiPfiiiiiiiiiiiiiiii, .Lfunc_end125-_ZL9mul_mat_fI15__hip_bfloat162Li64ELi13ELi1ELb0EEvPKT_PKfPKiPfiiiiiiiiiiiiiiii
                                        ; -- End function
	.set _ZL9mul_mat_fI15__hip_bfloat162Li64ELi13ELi1ELb0EEvPKT_PKfPKiPfiiiiiiiiiiiiiiii.num_vgpr, 113
	.set _ZL9mul_mat_fI15__hip_bfloat162Li64ELi13ELi1ELb0EEvPKT_PKfPKiPfiiiiiiiiiiiiiiii.num_agpr, 20
	.set _ZL9mul_mat_fI15__hip_bfloat162Li64ELi13ELi1ELb0EEvPKT_PKfPKiPfiiiiiiiiiiiiiiii.numbered_sgpr, 97
	.set _ZL9mul_mat_fI15__hip_bfloat162Li64ELi13ELi1ELb0EEvPKT_PKfPKiPfiiiiiiiiiiiiiiii.num_named_barrier, 0
	.set _ZL9mul_mat_fI15__hip_bfloat162Li64ELi13ELi1ELb0EEvPKT_PKfPKiPfiiiiiiiiiiiiiiii.private_seg_size, 0
	.set _ZL9mul_mat_fI15__hip_bfloat162Li64ELi13ELi1ELb0EEvPKT_PKfPKiPfiiiiiiiiiiiiiiii.uses_vcc, 1
	.set _ZL9mul_mat_fI15__hip_bfloat162Li64ELi13ELi1ELb0EEvPKT_PKfPKiPfiiiiiiiiiiiiiiii.uses_flat_scratch, 0
	.set _ZL9mul_mat_fI15__hip_bfloat162Li64ELi13ELi1ELb0EEvPKT_PKfPKiPfiiiiiiiiiiiiiiii.has_dyn_sized_stack, 0
	.set _ZL9mul_mat_fI15__hip_bfloat162Li64ELi13ELi1ELb0EEvPKT_PKfPKiPfiiiiiiiiiiiiiiii.has_recursion, 0
	.set _ZL9mul_mat_fI15__hip_bfloat162Li64ELi13ELi1ELb0EEvPKT_PKfPKiPfiiiiiiiiiiiiiiii.has_indirect_call, 0
	.section	.AMDGPU.csdata,"",@progbits
; Kernel info:
; codeLenInByte = 5384
; TotalNumSgprs: 103
; NumVgprs: 113
; NumAgprs: 20
; TotalNumVgprs: 136
; ScratchSize: 0
; MemoryBound: 0
; FloatMode: 240
; IeeeMode: 1
; LDSByteSize: 0 bytes/workgroup (compile time only)
; SGPRBlocks: 12
; VGPRBlocks: 16
; NumSGPRsForWavesPerEU: 103
; NumVGPRsForWavesPerEU: 136
; AccumOffset: 116
; Occupancy: 3
; WaveLimiterHint : 0
; COMPUTE_PGM_RSRC2:SCRATCH_EN: 0
; COMPUTE_PGM_RSRC2:USER_SGPR: 2
; COMPUTE_PGM_RSRC2:TRAP_HANDLER: 0
; COMPUTE_PGM_RSRC2:TGID_X_EN: 1
; COMPUTE_PGM_RSRC2:TGID_Y_EN: 1
; COMPUTE_PGM_RSRC2:TGID_Z_EN: 1
; COMPUTE_PGM_RSRC2:TIDIG_COMP_CNT: 1
; COMPUTE_PGM_RSRC3_GFX90A:ACCUM_OFFSET: 28
; COMPUTE_PGM_RSRC3_GFX90A:TG_SPLIT: 0
	.section	.text._ZL13mul_mat_f_idsI15__hip_bfloat162Li64ELi13ELi2EEvPKT_PKfPKiS7_S7_Pfiiiiiiiiiiiiii15HIP_vector_typeIjLj3EESA_,"axG",@progbits,_ZL13mul_mat_f_idsI15__hip_bfloat162Li64ELi13ELi2EEvPKT_PKfPKiS7_S7_Pfiiiiiiiiiiiiii15HIP_vector_typeIjLj3EESA_,comdat
	.globl	_ZL13mul_mat_f_idsI15__hip_bfloat162Li64ELi13ELi2EEvPKT_PKfPKiS7_S7_Pfiiiiiiiiiiiiii15HIP_vector_typeIjLj3EESA_ ; -- Begin function _ZL13mul_mat_f_idsI15__hip_bfloat162Li64ELi13ELi2EEvPKT_PKfPKiS7_S7_Pfiiiiiiiiiiiiii15HIP_vector_typeIjLj3EESA_
	.p2align	8
	.type	_ZL13mul_mat_f_idsI15__hip_bfloat162Li64ELi13ELi2EEvPKT_PKfPKiS7_S7_Pfiiiiiiiiiiiiii15HIP_vector_typeIjLj3EESA_,@function
_ZL13mul_mat_f_idsI15__hip_bfloat162Li64ELi13ELi2EEvPKT_PKfPKiS7_S7_Pfiiiiiiiiiiiiii15HIP_vector_typeIjLj3EESA_: ; @_ZL13mul_mat_f_idsI15__hip_bfloat162Li64ELi13ELi2EEvPKT_PKfPKiS7_S7_Pfiiiiiiiiiiiiii15HIP_vector_typeIjLj3EESA_
; %bb.0:
	s_load_dwordx2 s[6:7], s[0:1], 0x20
	s_mov_b32 s34, s3
	s_ashr_i32 s35, s3, 31
	s_lshl_b64 s[8:9], s[34:35], 2
	s_waitcnt lgkmcnt(0)
	s_add_u32 s6, s6, s8
	s_addc_u32 s7, s7, s9
	s_load_dwordx2 s[30:31], s[6:7], 0x0
	s_waitcnt lgkmcnt(0)
	s_sub_i32 s26, s31, s30
	s_add_i32 s3, s26, 12
	s_mul_hi_i32 s3, s3, 0x4ec4ec4f
	s_lshr_b32 s5, s3, 31
	s_ashr_i32 s3, s3, 2
	s_add_i32 s3, s3, s5
	s_cmp_ge_i32 s4, s3
	s_cbranch_scc1 .LBB126_68
; %bb.1:
	v_bfe_u32 v2, v0, 10, 10
	v_lshlrev_b32_e32 v70, 6, v2
	v_and_b32_e32 v3, 0x3ff, v0
	s_load_dwordx4 s[12:15], s[0:1], 0x30
	s_load_dwordx2 s[20:21], s[0:1], 0x40
	s_load_dwordx4 s[8:11], s[0:1], 0x4c
	s_load_dwordx4 s[16:19], s[0:1], 0x68
	s_load_dwordx2 s[24:25], s[0:1], 0x78
	v_add_u32_e32 v72, v70, v3
	s_ashr_i32 s31, s30, 31
	s_waitcnt lgkmcnt(0)
	v_cmp_le_i32_e32 vcc, s12, v72
	v_and_b32_e32 v71, 15, v3
	s_and_saveexec_b64 s[6:7], vcc
	s_xor_b64 s[6:7], exec, s[6:7]
; %bb.2:
	v_and_b32_e32 v71, 15, v3
                                        ; implicit-def: $vgpr72
; %bb.3:
	s_or_saveexec_b64 s[36:37], s[6:7]
	s_load_dwordx2 s[22:23], s[0:1], 0x18
	s_load_dwordx2 s[6:7], s[0:1], 0x28
                                        ; implicit-def: $vgpr102 : SGPR spill to VGPR lane
	s_lshl_b32 s11, s2, 6
	s_mul_i32 s28, s4, 13
	v_mov_b32_e32 v1, 0
	v_accvgpr_write_b32 a4, 0
	s_waitcnt lgkmcnt(0)
	v_writelane_b32 v102, s6, 0
	v_accvgpr_write_b32 a5, 0
	v_accvgpr_write_b32 a6, 0
	;; [unrolled: 1-line block ×15, first 2 shown]
	v_writelane_b32 v102, s7, 1
	s_xor_b64 exec, exec, s[36:37]
	s_cbranch_execz .LBB126_46
; %bb.4:
	s_load_dwordx4 s[4:7], s[0:1], 0x0
	s_load_dwordx2 s[2:3], s[0:1], 0x10
	v_writelane_b32 v102, s36, 2
	s_mul_i32 s0, s8, s34
	s_ashr_i32 s1, s0, 31
	v_writelane_b32 v102, s37, 3
	v_writelane_b32 v102, s22, 4
	s_lshl_b64 s[64:65], s[0:1], 2
	s_waitcnt lgkmcnt(0)
	s_add_u32 s0, s4, s64
	v_writelane_b32 v102, s23, 5
	s_mul_i32 s22, s15, s11
	v_writelane_b32 v102, s24, 6
	s_addc_u32 s1, s5, s65
	s_ashr_i32 s23, s22, 31
	v_writelane_b32 v102, s25, 7
	s_lshl_b64 s[66:67], s[22:23], 2
	v_writelane_b32 v102, s11, 8
	s_add_u32 s0, s0, s66
	s_addc_u32 s1, s1, s67
	v_writelane_b32 v102, s30, 9
	s_lshl_b64 s[22:23], s[30:31], 2
	s_add_u32 s8, s2, s22
	s_addc_u32 s11, s3, s23
	s_movk_i32 s2, 0x1080
	s_cmp_lt_i32 s28, s26
	v_writelane_b32 v102, s31, 10
	v_mad_u32_u24 v0, v2, s2, 0
	s_cselect_b64 s[2:3], -1, 0
	v_writelane_b32 v102, s2, 11
	s_ashr_i32 s29, s28, 31
	s_mov_b32 s22, s15
	v_writelane_b32 v102, s3, 12
	s_lshl_b64 s[2:3], s[28:29], 2
	s_add_u32 s36, s8, s2
	s_addc_u32 s37, s11, s3
	s_add_i32 s2, s28, 1
	s_cmp_lt_i32 s2, s26
	s_cselect_b64 s[2:3], -1, 0
	v_writelane_b32 v102, s2, 13
	v_lshrrev_b32_e32 v6, 1, v3
	v_lshlrev_b32_e32 v4, 2, v3
	v_writelane_b32 v102, s3, 14
	s_add_i32 s2, s28, 2
	s_cmp_lt_i32 s2, s26
	s_cselect_b64 s[2:3], -1, 0
	v_writelane_b32 v102, s2, 15
	v_mul_u32_u24_e32 v5, 0x108, v71
	v_and_b32_e32 v6, 0x1f8, v6
	v_writelane_b32 v102, s3, 16
	s_add_i32 s2, s28, 3
	s_cmp_lt_i32 s2, s26
	s_cselect_b64 s[2:3], -1, 0
	v_writelane_b32 v102, s2, 17
	v_add_u32_e32 v73, v0, v4
	v_add3_u32 v74, v0, v5, v6
	v_writelane_b32 v102, s3, 18
	s_add_i32 s2, s28, 4
	s_cmp_lt_i32 s2, s26
	s_cselect_b64 s[2:3], -1, 0
	v_writelane_b32 v102, s2, 19
	v_lshlrev_b32_e32 v0, 8, v2
	v_mov_b32_e32 v5, v1
	v_writelane_b32 v102, s3, 20
	s_add_i32 s2, s28, 5
	s_cmp_lt_i32 s2, s26
	s_cselect_b64 s[2:3], -1, 0
	v_writelane_b32 v102, s2, 21
	s_mul_i32 s8, s15, 3
	s_mul_i32 s69, s15, 5
	v_writelane_b32 v102, s3, 22
	s_add_i32 s2, s28, 6
	s_cmp_lt_i32 s2, s26
	s_cselect_b64 s[48:49], -1, 0
	s_add_i32 s2, s28, 7
	s_cmp_lt_i32 s2, s26
	s_cselect_b64 s[50:51], -1, 0
	;; [unrolled: 3-line block ×5, first 2 shown]
	s_add_i32 s2, s28, 11
	s_cmp_lt_i32 s2, s26
	s_mov_b32 s2, s28
	v_writelane_b32 v102, s2, 23
	s_cselect_b64 s[58:59], -1, 0
	s_mul_i32 s70, s15, 6
	v_writelane_b32 v102, s3, 24
	s_add_i32 s2, s28, 12
	s_cmp_lt_i32 s2, s26
	s_cselect_b64 s[60:61], -1, 0
	s_ashr_i32 s23, s15, 31
	s_add_i32 s3, s15, s15
	s_lshl_b32 s68, s15, 2
	s_lshl_b32 s72, s15, 3
	;; [unrolled: 1-line block ×4, first 2 shown]
	s_lshl_b64 s[62:63], s[22:23], 2
	s_add_u32 s22, s64, s66
	s_addc_u32 s23, s65, s67
	v_lshl_add_u64 v[6:7], s[22:23], 0, v[0:1]
	v_lshl_add_u64 v[4:5], v[6:7], 0, v[4:5]
	v_writelane_b32 v102, s26, 25
	s_mul_i32 s71, s15, 7
	s_mul_i32 s73, s15, 9
	;; [unrolled: 1-line block ×20, first 2 shown]
	v_accvgpr_write_b32 a15, 0
	v_accvgpr_write_b32 a14, 0
	;; [unrolled: 1-line block ×16, first 2 shown]
	v_lshl_add_u64 v[4:5], s[4:5], 0, v[4:5]
	s_mul_i32 s90, s15, 29
	s_mul_i32 s91, s15, 30
	;; [unrolled: 1-line block ×34, first 2 shown]
	s_mov_b32 s46, 0x5040100
	s_mov_b64 s[4:5], 0
	s_branch .LBB126_6
.LBB126_5:                              ;   in Loop: Header=BB126_6 Depth=1
	v_perm_b32 v0, v0, v75, s46
	v_perm_b32 v75, v77, v78, s46
	ds_write2_b32 v73, v0, v75 offset1:66
	v_perm_b32 v0, v79, v76, s46
	v_perm_b32 v75, v81, v82, s46
	ds_write2_b32 v73, v0, v75 offset0:132 offset1:198
	v_perm_b32 v0, v83, v80, s46
	v_perm_b32 v75, v85, v86, s46
	v_add_u32_e32 v76, 0x400, v73
	ds_write2_b32 v76, v0, v75 offset0:8 offset1:74
	v_perm_b32 v0, v87, v84, s46
	v_perm_b32 v75, v89, v90, s46
	ds_write2_b32 v76, v0, v75 offset0:140 offset1:206
	v_perm_b32 v0, v91, v88, s46
	v_perm_b32 v75, v93, v94, s46
	v_add_u32_e32 v76, 0x800, v73
	ds_write2_b32 v76, v0, v75 offset0:16 offset1:82
	v_perm_b32 v0, v95, v92, s46
	v_perm_b32 v75, v97, v98, s46
	ds_write2_b32 v76, v0, v75 offset0:148 offset1:214
	v_perm_b32 v0, v99, v96, s46
	v_add_u32_e32 v75, 0xc00, v73
	ds_write2_b32 v75, v0, v1 offset0:24 offset1:90
	ds_write2_b32 v75, v1, v1 offset0:156 offset1:222
	ds_read2_b64 v[76:79], v74 offset1:4
	s_waitcnt lgkmcnt(0)
	v_mfma_f32_16x16x16_bf16 a[4:7], v[12:13], v[76:77], a[4:7]
	v_add_u32_e32 v72, 0x80, v72
	s_mov_b64 vcc, 0x200
	v_lshl_add_u64 v[4:5], v[4:5], 0, vcc
	v_mfma_f32_16x16x16_bf16 a[0:3], v[38:39], v[76:77], a[0:3]
	v_cmp_le_i32_e32 vcc, s12, v72
	s_or_b64 s[4:5], vcc, s[4:5]
	v_mfma_f32_16x16x16_bf16 a[8:11], v[52:53], v[76:77], a[8:11]
	v_mfma_f32_16x16x16_bf16 a[12:15], v[68:69], v[76:77], a[12:15]
	;; [unrolled: 1-line block ×3, first 2 shown]
	ds_read2_b64 v[10:13], v74 offset0:8 offset1:12
	v_mfma_f32_16x16x16_bf16 a[0:3], v[36:37], v[78:79], a[0:3]
	v_mfma_f32_16x16x16_bf16 a[8:11], v[50:51], v[78:79], a[8:11]
	;; [unrolled: 1-line block ×3, first 2 shown]
	s_waitcnt lgkmcnt(0)
	v_mfma_f32_16x16x16_bf16 a[4:7], v[8:9], v[10:11], a[4:7]
	v_mfma_f32_16x16x16_bf16 a[0:3], v[32:33], v[10:11], a[0:3]
	;; [unrolled: 1-line block ×5, first 2 shown]
	ds_read2_b64 v[6:9], v74 offset0:16 offset1:20
	v_mfma_f32_16x16x16_bf16 a[0:3], v[30:31], v[12:13], a[0:3]
	v_mfma_f32_16x16x16_bf16 a[8:11], v[46:47], v[12:13], a[8:11]
	;; [unrolled: 1-line block ×3, first 2 shown]
	s_waitcnt lgkmcnt(0)
	v_mfma_f32_16x16x16_bf16 a[4:7], v[20:21], v[6:7], a[4:7]
	v_mfma_f32_16x16x16_bf16 a[0:3], v[28:29], v[6:7], a[0:3]
	;; [unrolled: 1-line block ×8, first 2 shown]
	ds_read2_b64 v[6:9], v74 offset0:24 offset1:28
	s_waitcnt lgkmcnt(0)
	v_mfma_f32_16x16x16_bf16 a[4:7], v[16:17], v[6:7], a[4:7]
	v_mfma_f32_16x16x16_bf16 a[0:3], v[24:25], v[6:7], a[0:3]
	;; [unrolled: 1-line block ×8, first 2 shown]
	s_andn2_b64 exec, exec, s[4:5]
	s_cbranch_execz .LBB126_45
.LBB126_6:                              ; =>This Inner Loop Header: Depth=1
	v_lshl_add_u64 v[6:7], v[4:5], 0, s[62:63]
	global_load_dword v0, v[4:5], off
	global_load_dword v22, v[6:7], off
	v_add_u32_e32 v6, s3, v72
	v_add_u32_e32 v10, s68, v72
	;; [unrolled: 1-line block ×4, first 2 shown]
	v_ashrrev_i32_e32 v7, 31, v6
	v_add_u32_e32 v8, s8, v72
	v_ashrrev_i32_e32 v11, 31, v10
	v_ashrrev_i32_e32 v13, 31, v12
	v_add_u32_e32 v14, s70, v72
	v_add_u32_e32 v16, s71, v72
	v_ashrrev_i32_e32 v19, 31, v18
	v_add_u32_e32 v20, s73, v72
	v_lshl_add_u64 v[6:7], v[6:7], 2, s[0:1]
	v_ashrrev_i32_e32 v9, 31, v8
	v_lshl_add_u64 v[10:11], v[10:11], 2, s[0:1]
	v_lshl_add_u64 v[12:13], v[12:13], 2, s[0:1]
	v_ashrrev_i32_e32 v15, 31, v14
	v_ashrrev_i32_e32 v17, 31, v16
	v_lshl_add_u64 v[18:19], v[18:19], 2, s[0:1]
	v_ashrrev_i32_e32 v21, 31, v20
	v_lshl_add_u64 v[8:9], v[8:9], 2, s[0:1]
	v_lshl_add_u64 v[14:15], v[14:15], 2, s[0:1]
	;; [unrolled: 1-line block ×4, first 2 shown]
	global_load_dword v23, v[6:7], off
	global_load_dword v24, v[8:9], off
	;; [unrolled: 1-line block ×6, first 2 shown]
	s_nop 0
	global_load_dword v18, v[18:19], off
	s_nop 0
	global_load_dword v19, v[20:21], off
	v_add_u32_e32 v6, s74, v72
	v_add_u32_e32 v10, s76, v72
	;; [unrolled: 1-line block ×3, first 2 shown]
	v_ashrrev_i32_e32 v7, 31, v6
	v_add_u32_e32 v8, s75, v72
	v_ashrrev_i32_e32 v11, 31, v10
	v_ashrrev_i32_e32 v13, 31, v12
	v_add_u32_e32 v14, s78, v72
	v_add_u32_e32 v16, s79, v72
	v_lshl_add_u64 v[6:7], v[6:7], 2, s[0:1]
	v_ashrrev_i32_e32 v9, 31, v8
	v_lshl_add_u64 v[10:11], v[10:11], 2, s[0:1]
	v_lshl_add_u64 v[12:13], v[12:13], 2, s[0:1]
	v_ashrrev_i32_e32 v15, 31, v14
	v_ashrrev_i32_e32 v17, 31, v16
	v_lshl_add_u64 v[8:9], v[8:9], 2, s[0:1]
	v_lshl_add_u64 v[14:15], v[14:15], 2, s[0:1]
	;; [unrolled: 1-line block ×3, first 2 shown]
	global_load_dword v20, v[6:7], off
	global_load_dword v21, v[8:9], off
	s_nop 0
	global_load_dword v10, v[10:11], off
	s_nop 0
	;; [unrolled: 2-line block ×3, first 2 shown]
	global_load_dword v12, v[14:15], off
	global_load_dword v13, v[16:17], off
	v_add_u32_e32 v6, s80, v72
	v_add_u32_e32 v8, s81, v72
	v_ashrrev_i32_e32 v7, 31, v6
	v_ashrrev_i32_e32 v9, 31, v8
	v_lshl_add_u64 v[6:7], v[6:7], 2, s[0:1]
	v_add_u32_e32 v14, s82, v72
	v_lshl_add_u64 v[8:9], v[8:9], 2, s[0:1]
	global_load_dword v30, v[6:7], off
	global_load_dword v31, v[8:9], off
	v_ashrrev_i32_e32 v15, 31, v14
	v_add_u32_e32 v16, s83, v72
	v_lshl_add_u64 v[14:15], v[14:15], 2, s[0:1]
	v_ashrrev_i32_e32 v17, 31, v16
	v_lshl_add_u64 v[16:17], v[16:17], 2, s[0:1]
	v_readlane_b32 vcc_lo, v102, 11
	v_readlane_b32 vcc_hi, v102, 12
	s_andn2_b64 vcc, exec, vcc
	s_waitcnt vmcnt(17)
	ds_write_b32 v73, v0
	s_waitcnt vmcnt(16)
	ds_write_b32 v73, v22 offset:264
	s_waitcnt vmcnt(15)
	ds_write_b32 v73, v23 offset:528
	;; [unrolled: 2-line block ×15, first 2 shown]
	v_add_u32_e32 v18, s84, v72
	v_add_u32_e32 v20, s64, v72
	;; [unrolled: 1-line block ×6, first 2 shown]
	v_ashrrev_i32_e32 v19, 31, v18
	v_ashrrev_i32_e32 v21, 31, v20
	;; [unrolled: 1-line block ×6, first 2 shown]
	ds_read_b64 v[12:13], v74
	ds_read_b64 v[10:11], v74 offset:32
	ds_read_b64 v[8:9], v74 offset:64
	;; [unrolled: 1-line block ×3, first 2 shown]
	v_lshl_add_u64 v[18:19], v[18:19], 2, s[0:1]
	v_lshl_add_u64 v[20:21], v[20:21], 2, s[0:1]
	v_lshl_add_u64 v[22:23], v[22:23], 2, s[0:1]
	v_lshl_add_u64 v[24:25], v[24:25], 2, s[0:1]
	v_lshl_add_u64 v[26:27], v[26:27], 2, s[0:1]
	v_lshl_add_u64 v[28:29], v[28:29], 2, s[0:1]
	global_load_dword v0, v[14:15], off
	global_load_dword v32, v[16:17], off
	global_load_dword v33, v[18:19], off
	global_load_dword v34, v[20:21], off
	global_load_dword v35, v[22:23], off
	global_load_dword v36, v[24:25], off
	global_load_dword v37, v[26:27], off
	global_load_dword v38, v[28:29], off
	v_add_u32_e32 v14, s87, v72
	v_ashrrev_i32_e32 v15, 31, v14
	v_add_u32_e32 v16, s88, v72
	v_add_u32_e32 v18, s89, v72
	v_add_u32_e32 v20, s90, v72
	v_add_u32_e32 v22, s91, v72
	v_add_u32_e32 v24, s92, v72
	v_add_u32_e32 v26, s85, v72
	v_add_u32_e32 v28, s93, v72
	v_lshl_add_u64 v[14:15], v[14:15], 2, s[0:1]
	v_ashrrev_i32_e32 v17, 31, v16
	v_ashrrev_i32_e32 v19, 31, v18
	v_ashrrev_i32_e32 v21, 31, v20
	v_ashrrev_i32_e32 v23, 31, v22
	v_ashrrev_i32_e32 v25, 31, v24
	v_ashrrev_i32_e32 v27, 31, v26
	v_ashrrev_i32_e32 v29, 31, v28
	v_lshl_add_u64 v[16:17], v[16:17], 2, s[0:1]
	v_lshl_add_u64 v[18:19], v[18:19], 2, s[0:1]
	v_lshl_add_u64 v[20:21], v[20:21], 2, s[0:1]
	v_lshl_add_u64 v[22:23], v[22:23], 2, s[0:1]
	v_lshl_add_u64 v[24:25], v[24:25], 2, s[0:1]
	v_lshl_add_u64 v[26:27], v[26:27], 2, s[0:1]
	v_lshl_add_u64 v[28:29], v[28:29], 2, s[0:1]
	global_load_dword v39, v[14:15], off
	global_load_dword v40, v[16:17], off
	global_load_dword v41, v[18:19], off
	global_load_dword v42, v[20:21], off
	global_load_dword v43, v[22:23], off
	global_load_dword v44, v[24:25], off
	global_load_dword v45, v[26:27], off
	global_load_dword v46, v[28:29], off
	v_add_u32_e32 v14, s94, v72
	v_ashrrev_i32_e32 v15, 31, v14
	v_add_u32_e32 v16, s95, v72
	v_add_u32_e32 v18, s96, v72
	v_add_u32_e32 v20, s97, v72
	v_add_u32_e32 v22, s98, v72
	v_add_u32_e32 v24, s99, v72
	v_add_u32_e32 v26, s24, v72
	v_add_u32_e32 v28, s25, v72
	v_lshl_add_u64 v[14:15], v[14:15], 2, s[0:1]
	v_ashrrev_i32_e32 v17, 31, v16
	v_ashrrev_i32_e32 v19, 31, v18
	v_ashrrev_i32_e32 v21, 31, v20
	v_ashrrev_i32_e32 v23, 31, v22
	v_ashrrev_i32_e32 v25, 31, v24
	v_ashrrev_i32_e32 v27, 31, v26
	v_ashrrev_i32_e32 v29, 31, v28
	v_lshl_add_u64 v[16:17], v[16:17], 2, s[0:1]
	v_lshl_add_u64 v[18:19], v[18:19], 2, s[0:1]
	v_lshl_add_u64 v[20:21], v[20:21], 2, s[0:1]
	v_lshl_add_u64 v[22:23], v[22:23], 2, s[0:1]
	v_lshl_add_u64 v[24:25], v[24:25], 2, s[0:1]
	v_lshl_add_u64 v[26:27], v[26:27], 2, s[0:1]
	v_lshl_add_u64 v[28:29], v[28:29], 2, s[0:1]
	global_load_dword v47, v[14:15], off
	global_load_dword v48, v[16:17], off
	global_load_dword v49, v[18:19], off
	global_load_dword v50, v[20:21], off
	global_load_dword v51, v[22:23], off
	global_load_dword v52, v[24:25], off
	global_load_dword v53, v[26:27], off
	global_load_dword v54, v[28:29], off
	v_add_u32_e32 v14, s11, v72
	v_ashrrev_i32_e32 v15, 31, v14
	v_add_u32_e32 v16, s28, v72
	v_add_u32_e32 v18, s29, v72
	v_add_u32_e32 v20, s30, v72
	v_add_u32_e32 v22, s31, v72
	v_add_u32_e32 v24, s22, v72
	v_add_u32_e32 v26, s23, v72
	v_add_u32_e32 v28, s26, v72
	v_lshl_add_u64 v[14:15], v[14:15], 2, s[0:1]
	v_ashrrev_i32_e32 v17, 31, v16
	v_ashrrev_i32_e32 v19, 31, v18
	v_ashrrev_i32_e32 v21, 31, v20
	v_ashrrev_i32_e32 v23, 31, v22
	v_ashrrev_i32_e32 v25, 31, v24
	v_ashrrev_i32_e32 v27, 31, v26
	v_ashrrev_i32_e32 v29, 31, v28
	v_lshl_add_u64 v[16:17], v[16:17], 2, s[0:1]
	v_lshl_add_u64 v[18:19], v[18:19], 2, s[0:1]
	v_lshl_add_u64 v[20:21], v[20:21], 2, s[0:1]
	v_lshl_add_u64 v[22:23], v[22:23], 2, s[0:1]
	v_lshl_add_u64 v[24:25], v[24:25], 2, s[0:1]
	v_lshl_add_u64 v[26:27], v[26:27], 2, s[0:1]
	v_lshl_add_u64 v[28:29], v[28:29], 2, s[0:1]
	global_load_dword v55, v[14:15], off
	global_load_dword v56, v[16:17], off
	global_load_dword v57, v[18:19], off
	global_load_dword v58, v[20:21], off
	global_load_dword v59, v[22:23], off
	global_load_dword v60, v[24:25], off
	global_load_dword v61, v[26:27], off
	global_load_dword v62, v[28:29], off
	v_add_u32_e32 v14, s27, v72
	v_ashrrev_i32_e32 v15, 31, v14
	v_add_u32_e32 v16, s33, v72
	v_add_u32_e32 v18, s2, v72
	v_add_u32_e32 v20, s34, v72
	v_add_u32_e32 v22, s35, v72
	v_add_u32_e32 v24, s38, v72
	v_add_u32_e32 v26, s39, v72
	v_add_u32_e32 v28, s40, v72
	v_lshl_add_u64 v[14:15], v[14:15], 2, s[0:1]
	v_ashrrev_i32_e32 v17, 31, v16
	v_ashrrev_i32_e32 v19, 31, v18
	v_ashrrev_i32_e32 v21, 31, v20
	v_ashrrev_i32_e32 v23, 31, v22
	v_ashrrev_i32_e32 v25, 31, v24
	v_ashrrev_i32_e32 v27, 31, v26
	v_ashrrev_i32_e32 v29, 31, v28
	v_lshl_add_u64 v[16:17], v[16:17], 2, s[0:1]
	v_lshl_add_u64 v[18:19], v[18:19], 2, s[0:1]
	v_lshl_add_u64 v[20:21], v[20:21], 2, s[0:1]
	;; [unrolled: 1-line block ×6, first 2 shown]
	global_load_dword v63, v[14:15], off
	global_load_dword v64, v[16:17], off
	;; [unrolled: 1-line block ×8, first 2 shown]
	v_add_u32_e32 v14, s41, v72
	v_ashrrev_i32_e32 v15, 31, v14
	v_add_u32_e32 v16, s42, v72
	v_add_u32_e32 v18, s43, v72
	;; [unrolled: 1-line block ×5, first 2 shown]
	v_lshl_add_u64 v[14:15], v[14:15], 2, s[0:1]
	v_ashrrev_i32_e32 v17, 31, v16
	v_ashrrev_i32_e32 v19, 31, v18
	;; [unrolled: 1-line block ×5, first 2 shown]
	v_lshl_add_u64 v[16:17], v[16:17], 2, s[0:1]
	v_lshl_add_u64 v[18:19], v[18:19], 2, s[0:1]
	;; [unrolled: 1-line block ×5, first 2 shown]
	global_load_dword v76, v[14:15], off
	global_load_dword v77, v[16:17], off
	;; [unrolled: 1-line block ×6, first 2 shown]
	ds_read_b64 v[20:21], v74 offset:128
	ds_read_b64 v[18:19], v74 offset:160
	ds_read_b64 v[16:17], v74 offset:192
	ds_read_b64 v[14:15], v74 offset:224
	s_waitcnt vmcnt(47)
	ds_write_b32 v73, v30
	s_waitcnt vmcnt(46)
	ds_write_b32 v73, v31 offset:264
	s_waitcnt vmcnt(45)
	ds_write_b32 v73, v0 offset:528
	s_waitcnt vmcnt(44)
	ds_write_b32 v73, v32 offset:792
	s_waitcnt vmcnt(43)
	ds_write_b32 v73, v33 offset:1056
	s_waitcnt vmcnt(42)
	ds_write_b32 v73, v34 offset:1320
	s_waitcnt vmcnt(41)
	ds_write_b32 v73, v35 offset:1584
	s_waitcnt vmcnt(40)
	ds_write_b32 v73, v36 offset:1848
	s_waitcnt vmcnt(39)
	ds_write_b32 v73, v37 offset:2112
	s_waitcnt vmcnt(38)
	ds_write_b32 v73, v38 offset:2376
	s_waitcnt vmcnt(37)
	ds_write_b32 v73, v39 offset:2640
	s_waitcnt vmcnt(36)
	ds_write_b32 v73, v40 offset:2904
	s_waitcnt vmcnt(35)
	ds_write_b32 v73, v41 offset:3168
	s_waitcnt vmcnt(34)
	ds_write_b32 v73, v42 offset:3432
	s_waitcnt vmcnt(33)
	ds_write_b32 v73, v43 offset:3696
	s_waitcnt vmcnt(32)
	ds_write_b32 v73, v44 offset:3960
	ds_read_b64 v[38:39], v74
	ds_read_b64 v[36:37], v74 offset:32
	ds_read_b64 v[32:33], v74 offset:64
	ds_read_b64 v[30:31], v74 offset:96
	ds_read_b64 v[28:29], v74 offset:128
	ds_read_b64 v[26:27], v74 offset:160
	ds_read_b64 v[24:25], v74 offset:192
	ds_read_b64 v[22:23], v74 offset:224
	s_waitcnt vmcnt(31)
	ds_write_b32 v73, v45
	s_waitcnt vmcnt(30)
	ds_write_b32 v73, v46 offset:264
	s_waitcnt vmcnt(29)
	ds_write_b32 v73, v47 offset:528
	s_waitcnt vmcnt(28)
	ds_write_b32 v73, v48 offset:792
	s_waitcnt vmcnt(27)
	ds_write_b32 v73, v49 offset:1056
	s_waitcnt vmcnt(26)
	ds_write_b32 v73, v50 offset:1320
	s_waitcnt vmcnt(25)
	ds_write_b32 v73, v51 offset:1584
	s_waitcnt vmcnt(24)
	ds_write_b32 v73, v52 offset:1848
	s_waitcnt vmcnt(23)
	ds_write_b32 v73, v53 offset:2112
	s_waitcnt vmcnt(22)
	ds_write_b32 v73, v54 offset:2376
	s_waitcnt vmcnt(21)
	ds_write_b32 v73, v55 offset:2640
	s_waitcnt vmcnt(20)
	ds_write_b32 v73, v56 offset:2904
	s_waitcnt vmcnt(19)
	ds_write_b32 v73, v57 offset:3168
	s_waitcnt vmcnt(18)
	ds_write_b32 v73, v58 offset:3432
	s_waitcnt vmcnt(17)
	ds_write_b32 v73, v59 offset:3696
	s_waitcnt vmcnt(16)
	ds_write_b32 v73, v60 offset:3960
	ds_read_b64 v[52:53], v74
	ds_read_b64 v[50:51], v74 offset:32
	ds_read_b64 v[48:49], v74 offset:64
	ds_read_b64 v[46:47], v74 offset:96
	;; [unrolled: 40-line block ×3, first 2 shown]
	ds_read_b64 v[64:65], v74 offset:128
	ds_read_b64 v[60:61], v74 offset:160
	;; [unrolled: 1-line block ×4, first 2 shown]
	v_mov_b32_e32 v75, 0
	v_mov_b32_e32 v0, 0
	s_cbranch_vccnz .LBB126_9
; %bb.7:                                ;   in Loop: Header=BB126_6 Depth=1
	s_load_dword s47, s[36:37], 0x0
	v_mov_b32_e32 v0, 0
	v_mov_b32_e32 v75, 0
	s_waitcnt lgkmcnt(0)
	s_mul_hi_u32 vcc_lo, s47, s16
	s_add_i32 vcc_lo, s47, vcc_lo
	s_lshr_b32 vcc_lo, vcc_lo, s17
	s_cmp_ge_i32 vcc_lo, s13
	s_cbranch_scc1 .LBB126_9
; %bb.8:                                ;   in Loop: Header=BB126_6 Depth=1
	s_mul_i32 vcc_hi, vcc_lo, s18
	s_sub_i32 s47, s47, vcc_hi
	s_mul_i32 vcc_lo, vcc_lo, s20
	s_mul_i32 s47, s47, s9
	v_add_u32_e32 v0, vcc_lo, v72
	v_lshl_add_u32 v76, v0, 1, s47
	v_ashrrev_i32_e32 v77, 31, v76
	v_lshl_add_u64 v[76:77], v[76:77], 2, s[6:7]
	global_load_dwordx2 v[76:77], v[76:77], off
	s_waitcnt vmcnt(0)
	v_cvt_pk_bf16_f32 v75, v76, s0
	v_cvt_pk_bf16_f32 v0, v77, s0
.LBB126_9:                              ;   in Loop: Header=BB126_6 Depth=1
	v_readlane_b32 vcc_lo, v102, 13
	v_readlane_b32 vcc_hi, v102, 14
	v_mov_b32_e32 v76, 0
	s_andn2_b64 vcc, exec, vcc
	v_mov_b32_e32 v78, 0
	v_mov_b32_e32 v77, 0
	s_cbranch_vccnz .LBB126_12
; %bb.10:                               ;   in Loop: Header=BB126_6 Depth=1
	s_load_dword s47, s[36:37], 0x4
	v_mov_b32_e32 v77, 0
	v_mov_b32_e32 v78, 0
	s_waitcnt lgkmcnt(0)
	s_mul_hi_u32 vcc_lo, s47, s16
	s_add_i32 vcc_lo, s47, vcc_lo
	s_lshr_b32 vcc_lo, vcc_lo, s17
	s_cmp_ge_i32 vcc_lo, s13
	s_cbranch_scc1 .LBB126_12
; %bb.11:                               ;   in Loop: Header=BB126_6 Depth=1
	s_mul_i32 vcc_hi, vcc_lo, s18
	s_sub_i32 s47, s47, vcc_hi
	s_mul_i32 vcc_lo, vcc_lo, s20
	s_mul_i32 s47, s47, s9
	v_add_u32_e32 v77, vcc_lo, v72
	v_lshl_add_u32 v78, v77, 1, s47
	v_ashrrev_i32_e32 v79, 31, v78
	v_lshl_add_u64 v[78:79], v[78:79], 2, s[6:7]
	global_load_dwordx2 v[78:79], v[78:79], off
	s_waitcnt vmcnt(0)
	v_cvt_pk_bf16_f32 v78, v78, s0
	v_cvt_pk_bf16_f32 v77, v79, s0
.LBB126_12:                             ;   in Loop: Header=BB126_6 Depth=1
	v_readlane_b32 vcc_lo, v102, 15
	v_readlane_b32 vcc_hi, v102, 16
	s_andn2_b64 vcc, exec, vcc
	v_mov_b32_e32 v79, 0
	s_cbranch_vccnz .LBB126_15
; %bb.13:                               ;   in Loop: Header=BB126_6 Depth=1
	s_load_dword s47, s[36:37], 0x8
	v_mov_b32_e32 v79, 0
	v_mov_b32_e32 v76, 0
	s_waitcnt lgkmcnt(0)
	s_mul_hi_u32 vcc_lo, s47, s16
	s_add_i32 vcc_lo, s47, vcc_lo
	s_lshr_b32 vcc_lo, vcc_lo, s17
	s_cmp_ge_i32 vcc_lo, s13
	s_cbranch_scc1 .LBB126_15
; %bb.14:                               ;   in Loop: Header=BB126_6 Depth=1
	s_mul_i32 vcc_hi, vcc_lo, s18
	s_sub_i32 s47, s47, vcc_hi
	s_mul_i32 vcc_lo, vcc_lo, s20
	s_mul_i32 s47, s47, s9
	v_add_u32_e32 v76, vcc_lo, v72
	v_lshl_add_u32 v80, v76, 1, s47
	v_ashrrev_i32_e32 v81, 31, v80
	v_lshl_add_u64 v[80:81], v[80:81], 2, s[6:7]
	global_load_dwordx2 v[80:81], v[80:81], off
	s_waitcnt vmcnt(0)
	v_cvt_pk_bf16_f32 v76, v80, s0
	v_cvt_pk_bf16_f32 v79, v81, s0
.LBB126_15:                             ;   in Loop: Header=BB126_6 Depth=1
	v_readlane_b32 vcc_lo, v102, 17
	v_readlane_b32 vcc_hi, v102, 18
	v_mov_b32_e32 v80, 0
	s_andn2_b64 vcc, exec, vcc
	v_mov_b32_e32 v82, 0
	v_mov_b32_e32 v81, 0
	s_cbranch_vccnz .LBB126_18
; %bb.16:                               ;   in Loop: Header=BB126_6 Depth=1
	s_load_dword s47, s[36:37], 0xc
	v_mov_b32_e32 v81, 0
	v_mov_b32_e32 v82, 0
	s_waitcnt lgkmcnt(0)
	s_mul_hi_u32 vcc_lo, s47, s16
	s_add_i32 vcc_lo, s47, vcc_lo
	s_lshr_b32 vcc_lo, vcc_lo, s17
	s_cmp_ge_i32 vcc_lo, s13
	s_cbranch_scc1 .LBB126_18
; %bb.17:                               ;   in Loop: Header=BB126_6 Depth=1
	s_mul_i32 vcc_hi, vcc_lo, s18
	s_sub_i32 s47, s47, vcc_hi
	s_mul_i32 vcc_lo, vcc_lo, s20
	s_mul_i32 s47, s47, s9
	v_add_u32_e32 v81, vcc_lo, v72
	v_lshl_add_u32 v82, v81, 1, s47
	v_ashrrev_i32_e32 v83, 31, v82
	v_lshl_add_u64 v[82:83], v[82:83], 2, s[6:7]
	global_load_dwordx2 v[82:83], v[82:83], off
	s_waitcnt vmcnt(0)
	v_cvt_pk_bf16_f32 v82, v82, s0
	v_cvt_pk_bf16_f32 v81, v83, s0
.LBB126_18:                             ;   in Loop: Header=BB126_6 Depth=1
	v_readlane_b32 vcc_lo, v102, 19
	v_readlane_b32 vcc_hi, v102, 20
	s_andn2_b64 vcc, exec, vcc
	v_mov_b32_e32 v83, 0
	s_cbranch_vccnz .LBB126_21
; %bb.19:                               ;   in Loop: Header=BB126_6 Depth=1
	s_load_dword s47, s[36:37], 0x10
	v_mov_b32_e32 v83, 0
	v_mov_b32_e32 v80, 0
	s_waitcnt lgkmcnt(0)
	s_mul_hi_u32 vcc_lo, s47, s16
	s_add_i32 vcc_lo, s47, vcc_lo
	s_lshr_b32 vcc_lo, vcc_lo, s17
	s_cmp_ge_i32 vcc_lo, s13
	s_cbranch_scc1 .LBB126_21
; %bb.20:                               ;   in Loop: Header=BB126_6 Depth=1
	s_mul_i32 vcc_hi, vcc_lo, s18
	s_sub_i32 s47, s47, vcc_hi
	s_mul_i32 vcc_lo, vcc_lo, s20
	s_mul_i32 s47, s47, s9
	v_add_u32_e32 v80, vcc_lo, v72
	v_lshl_add_u32 v84, v80, 1, s47
	v_ashrrev_i32_e32 v85, 31, v84
	v_lshl_add_u64 v[84:85], v[84:85], 2, s[6:7]
	global_load_dwordx2 v[84:85], v[84:85], off
	s_waitcnt vmcnt(0)
	v_cvt_pk_bf16_f32 v80, v84, s0
	v_cvt_pk_bf16_f32 v83, v85, s0
.LBB126_21:                             ;   in Loop: Header=BB126_6 Depth=1
	v_readlane_b32 vcc_lo, v102, 21
	v_readlane_b32 vcc_hi, v102, 22
	v_mov_b32_e32 v84, 0
	s_andn2_b64 vcc, exec, vcc
	v_mov_b32_e32 v86, 0
	v_mov_b32_e32 v85, 0
	s_cbranch_vccnz .LBB126_24
; %bb.22:                               ;   in Loop: Header=BB126_6 Depth=1
	s_load_dword s47, s[36:37], 0x14
	v_mov_b32_e32 v85, 0
	v_mov_b32_e32 v86, 0
	s_waitcnt lgkmcnt(0)
	s_mul_hi_u32 vcc_lo, s47, s16
	s_add_i32 vcc_lo, s47, vcc_lo
	s_lshr_b32 vcc_lo, vcc_lo, s17
	s_cmp_ge_i32 vcc_lo, s13
	s_cbranch_scc1 .LBB126_24
; %bb.23:                               ;   in Loop: Header=BB126_6 Depth=1
	s_mul_i32 vcc_hi, vcc_lo, s18
	s_sub_i32 s47, s47, vcc_hi
	s_mul_i32 vcc_lo, vcc_lo, s20
	s_mul_i32 s47, s47, s9
	v_add_u32_e32 v85, vcc_lo, v72
	v_lshl_add_u32 v86, v85, 1, s47
	v_ashrrev_i32_e32 v87, 31, v86
	v_lshl_add_u64 v[86:87], v[86:87], 2, s[6:7]
	global_load_dwordx2 v[86:87], v[86:87], off
	s_waitcnt vmcnt(0)
	v_cvt_pk_bf16_f32 v86, v86, s0
	v_cvt_pk_bf16_f32 v85, v87, s0
.LBB126_24:                             ;   in Loop: Header=BB126_6 Depth=1
	s_andn2_b64 vcc, exec, s[48:49]
	v_mov_b32_e32 v87, 0
	s_cbranch_vccnz .LBB126_27
; %bb.25:                               ;   in Loop: Header=BB126_6 Depth=1
	s_load_dword s47, s[36:37], 0x18
	v_mov_b32_e32 v87, 0
	v_mov_b32_e32 v84, 0
	s_waitcnt lgkmcnt(0)
	s_mul_hi_u32 vcc_lo, s47, s16
	s_add_i32 vcc_lo, s47, vcc_lo
	s_lshr_b32 vcc_lo, vcc_lo, s17
	s_cmp_ge_i32 vcc_lo, s13
	s_cbranch_scc1 .LBB126_27
; %bb.26:                               ;   in Loop: Header=BB126_6 Depth=1
	s_mul_i32 vcc_hi, vcc_lo, s18
	s_sub_i32 s47, s47, vcc_hi
	s_mul_i32 vcc_lo, vcc_lo, s20
	s_mul_i32 s47, s47, s9
	v_add_u32_e32 v84, vcc_lo, v72
	v_lshl_add_u32 v88, v84, 1, s47
	v_ashrrev_i32_e32 v89, 31, v88
	v_lshl_add_u64 v[88:89], v[88:89], 2, s[6:7]
	global_load_dwordx2 v[88:89], v[88:89], off
	s_waitcnt vmcnt(0)
	v_cvt_pk_bf16_f32 v84, v88, s0
	v_cvt_pk_bf16_f32 v87, v89, s0
.LBB126_27:                             ;   in Loop: Header=BB126_6 Depth=1
	v_mov_b32_e32 v88, 0
	s_andn2_b64 vcc, exec, s[50:51]
	v_mov_b32_e32 v90, 0
	v_mov_b32_e32 v89, 0
	s_cbranch_vccnz .LBB126_30
; %bb.28:                               ;   in Loop: Header=BB126_6 Depth=1
	s_load_dword s47, s[36:37], 0x1c
	v_mov_b32_e32 v89, 0
	v_mov_b32_e32 v90, 0
	s_waitcnt lgkmcnt(0)
	s_mul_hi_u32 vcc_lo, s47, s16
	s_add_i32 vcc_lo, s47, vcc_lo
	s_lshr_b32 vcc_lo, vcc_lo, s17
	s_cmp_ge_i32 vcc_lo, s13
	s_cbranch_scc1 .LBB126_30
; %bb.29:                               ;   in Loop: Header=BB126_6 Depth=1
	s_mul_i32 vcc_hi, vcc_lo, s18
	s_sub_i32 s47, s47, vcc_hi
	s_mul_i32 vcc_lo, vcc_lo, s20
	s_mul_i32 s47, s47, s9
	v_add_u32_e32 v89, vcc_lo, v72
	v_lshl_add_u32 v90, v89, 1, s47
	v_ashrrev_i32_e32 v91, 31, v90
	v_lshl_add_u64 v[90:91], v[90:91], 2, s[6:7]
	global_load_dwordx2 v[90:91], v[90:91], off
	s_waitcnt vmcnt(0)
	v_cvt_pk_bf16_f32 v90, v90, s0
	v_cvt_pk_bf16_f32 v89, v91, s0
.LBB126_30:                             ;   in Loop: Header=BB126_6 Depth=1
	s_andn2_b64 vcc, exec, s[52:53]
	v_mov_b32_e32 v91, 0
	s_cbranch_vccnz .LBB126_33
; %bb.31:                               ;   in Loop: Header=BB126_6 Depth=1
	s_load_dword s47, s[36:37], 0x20
	v_mov_b32_e32 v91, 0
	v_mov_b32_e32 v88, 0
	s_waitcnt lgkmcnt(0)
	s_mul_hi_u32 vcc_lo, s47, s16
	s_add_i32 vcc_lo, s47, vcc_lo
	s_lshr_b32 vcc_lo, vcc_lo, s17
	s_cmp_ge_i32 vcc_lo, s13
	s_cbranch_scc1 .LBB126_33
; %bb.32:                               ;   in Loop: Header=BB126_6 Depth=1
	s_mul_i32 vcc_hi, vcc_lo, s18
	s_sub_i32 s47, s47, vcc_hi
	s_mul_i32 vcc_lo, vcc_lo, s20
	s_mul_i32 s47, s47, s9
	v_add_u32_e32 v88, vcc_lo, v72
	v_lshl_add_u32 v92, v88, 1, s47
	v_ashrrev_i32_e32 v93, 31, v92
	v_lshl_add_u64 v[92:93], v[92:93], 2, s[6:7]
	global_load_dwordx2 v[92:93], v[92:93], off
	s_waitcnt vmcnt(0)
	v_cvt_pk_bf16_f32 v88, v92, s0
	v_cvt_pk_bf16_f32 v91, v93, s0
.LBB126_33:                             ;   in Loop: Header=BB126_6 Depth=1
	v_mov_b32_e32 v92, 0
	s_andn2_b64 vcc, exec, s[54:55]
	;; [unrolled: 56-line block ×3, first 2 shown]
	v_mov_b32_e32 v98, 0
	v_mov_b32_e32 v97, 0
	s_cbranch_vccnz .LBB126_42
; %bb.40:                               ;   in Loop: Header=BB126_6 Depth=1
	s_load_dword s47, s[36:37], 0x2c
	v_mov_b32_e32 v97, 0
	v_mov_b32_e32 v98, 0
	s_waitcnt lgkmcnt(0)
	s_mul_hi_u32 vcc_lo, s47, s16
	s_add_i32 vcc_lo, s47, vcc_lo
	s_lshr_b32 vcc_lo, vcc_lo, s17
	s_cmp_ge_i32 vcc_lo, s13
	s_cbranch_scc1 .LBB126_42
; %bb.41:                               ;   in Loop: Header=BB126_6 Depth=1
	s_mul_i32 vcc_hi, vcc_lo, s18
	s_sub_i32 s47, s47, vcc_hi
	s_mul_i32 vcc_lo, vcc_lo, s20
	s_mul_i32 s47, s47, s9
	v_add_u32_e32 v97, vcc_lo, v72
	v_lshl_add_u32 v98, v97, 1, s47
	v_ashrrev_i32_e32 v99, 31, v98
	v_lshl_add_u64 v[98:99], v[98:99], 2, s[6:7]
	global_load_dwordx2 v[98:99], v[98:99], off
	s_waitcnt vmcnt(0)
	v_cvt_pk_bf16_f32 v98, v98, s0
	v_cvt_pk_bf16_f32 v97, v99, s0
.LBB126_42:                             ;   in Loop: Header=BB126_6 Depth=1
	s_andn2_b64 vcc, exec, s[60:61]
	v_mov_b32_e32 v99, 0
	s_cbranch_vccnz .LBB126_5
; %bb.43:                               ;   in Loop: Header=BB126_6 Depth=1
	s_load_dword s47, s[36:37], 0x30
	v_mov_b32_e32 v99, 0
	v_mov_b32_e32 v96, 0
	s_waitcnt lgkmcnt(0)
	s_mul_hi_u32 vcc_lo, s47, s16
	s_add_i32 vcc_lo, s47, vcc_lo
	s_lshr_b32 vcc_lo, vcc_lo, s17
	s_cmp_ge_i32 vcc_lo, s13
	s_cbranch_scc1 .LBB126_5
; %bb.44:                               ;   in Loop: Header=BB126_6 Depth=1
	s_mul_i32 vcc_hi, vcc_lo, s18
	s_sub_i32 s47, s47, vcc_hi
	s_mul_i32 vcc_lo, vcc_lo, s20
	s_mul_i32 s47, s47, s9
	v_add_u32_e32 v96, vcc_lo, v72
	v_lshl_add_u32 v100, v96, 1, s47
	v_ashrrev_i32_e32 v101, 31, v100
	v_lshl_add_u64 v[100:101], v[100:101], 2, s[6:7]
	global_load_dwordx2 v[100:101], v[100:101], off
	s_waitcnt vmcnt(0)
	v_cvt_pk_bf16_f32 v96, v100, s0
	v_cvt_pk_bf16_f32 v99, v101, s0
	s_branch .LBB126_5
.LBB126_45:
	s_or_b64 exec, exec, s[4:5]
	v_readlane_b32 s24, v102, 6
	v_readlane_b32 s30, v102, 9
	;; [unrolled: 1-line block ×12, first 2 shown]
.LBB126_46:
	s_or_b64 exec, exec, s[36:37]
	v_lshl_add_u32 v0, v70, 2, 0
	v_mul_u32_u24_e32 v1, 0x208, v71
	v_and_b32_e32 v4, 0x3f0, v3
	v_add3_u32 v0, v0, v1, v4
	v_accvgpr_read_b32 v1, a5
	v_accvgpr_read_b32 v4, a4
	s_barrier
	ds_write2_b32 v0, v4, v1 offset1:1
	v_accvgpr_read_b32 v1, a7
	v_accvgpr_read_b32 v4, a6
	ds_write2_b32 v0, v4, v1 offset0:2 offset1:3
	v_accvgpr_read_b32 v1, a1
	v_accvgpr_read_b32 v4, a0
	ds_write2_b32 v0, v4, v1 offset0:16 offset1:17
	;; [unrolled: 3-line block ×3, first 2 shown]
	v_accvgpr_read_b32 v1, a9
	v_accvgpr_read_b32 v4, a8
	s_lshl_b64 s[0:1], s[30:31], 2
	ds_write2_b32 v0, v4, v1 offset0:32 offset1:33
	v_accvgpr_read_b32 v1, a11
	v_accvgpr_read_b32 v4, a10
	s_add_u32 s4, s22, s0
	ds_write2_b32 v0, v4, v1 offset0:34 offset1:35
	v_accvgpr_read_b32 v1, a13
	v_accvgpr_read_b32 v4, a12
	s_addc_u32 s5, s23, s1
	ds_write2_b32 v0, v4, v1 offset0:48 offset1:49
	v_accvgpr_read_b32 v1, a15
	v_accvgpr_read_b32 v4, a14
	ds_write2_b32 v0, v4, v1 offset0:50 offset1:51
	s_cmp_gt_i32 s14, 0
	v_add_u32_e32 v0, s28, v2
	s_cselect_b64 s[6:7], -1, 0
	v_cmp_gt_i32_e64 s[0:1], s26, v0
	v_cmp_gt_u32_e32 vcc, 13, v2
	s_and_b64 s[0:1], s[6:7], s[0:1]
	v_lshl_add_u32 v5, v3, 2, 0
	v_add_u32_e32 v4, s11, v3
	v_mul_u32_u24_e32 v6, 0x208, v2
	s_and_b64 s[2:3], vcc, s[0:1]
	s_waitcnt lgkmcnt(0)
	s_barrier
	s_and_saveexec_b64 s[0:1], s[2:3]
	v_readlane_b32 s8, v102, 0
	v_readlane_b32 s9, v102, 1
	s_cbranch_execz .LBB126_49
; %bb.47:
	v_ashrrev_i32_e32 v1, 31, v0
	v_lshl_add_u64 v[8:9], v[0:1], 2, s[4:5]
	global_load_dword v1, v[8:9], off
	s_waitcnt vmcnt(0)
	v_mul_hi_u32 v3, v1, s19
	v_add_u32_e32 v3, v1, v3
	v_lshrrev_b32_e32 v3, s24, v3
	v_cmp_gt_i32_e32 vcc, s13, v3
	s_and_b64 exec, exec, vcc
	s_cbranch_execz .LBB126_49
; %bb.48:
	v_add_u32_e32 v7, v5, v6
	ds_read2st64_b32 v[8:9], v7 offset1:1
	v_mul_lo_u32 v7, v3, s25
	v_sub_u32_e32 v1, v1, v7
	v_mul_lo_u32 v3, v3, s21
	v_mul_lo_u32 v1, v1, s10
	s_waitcnt lgkmcnt(0)
	v_add_f32_e32 v7, 0, v8
	v_add_f32_e32 v7, v7, v9
	v_add3_u32 v8, v4, v3, v1
	v_mov_b32_e32 v9, 0
	v_lshl_add_u64 v[8:9], v[8:9], 2, s[8:9]
	global_store_dword v[8:9], v7, off
.LBB126_49:
	s_or_b64 exec, exec, s[0:1]
	v_add_u32_e32 v1, 2, v0
	v_cmp_gt_i32_e64 s[0:1], s26, v1
	v_cmp_gt_u32_e32 vcc, 11, v2
	s_and_b64 s[0:1], s[6:7], s[0:1]
	s_and_b64 s[2:3], vcc, s[0:1]
	s_and_saveexec_b64 s[0:1], s[2:3]
	s_cbranch_execz .LBB126_52
; %bb.50:
	s_ashr_i32 s29, s28, 31
	v_mov_b32_e32 v3, 0
	v_lshl_add_u64 v[8:9], v[2:3], 0, s[28:29]
	v_lshl_add_u64 v[8:9], v[8:9], 2, s[4:5]
	global_load_dword v1, v[8:9], off offset:8
	s_waitcnt vmcnt(0)
	v_mul_hi_u32 v7, v1, s19
	v_add_u32_e32 v7, v1, v7
	v_lshrrev_b32_e32 v7, s24, v7
	v_cmp_gt_i32_e32 vcc, s13, v7
	s_and_b64 exec, exec, vcc
	s_cbranch_execz .LBB126_52
; %bb.51:
	v_add_u32_e32 v8, v6, v5
	v_add_u32_e32 v8, 16, v8
	ds_read2st64_b32 v[8:9], v8 offset0:4 offset1:5
	v_mul_lo_u32 v10, v7, s25
	v_sub_u32_e32 v1, v1, v10
	v_mul_lo_u32 v7, v7, s21
	v_mul_lo_u32 v1, v1, s10
	s_waitcnt lgkmcnt(0)
	v_add_f32_e32 v8, 0, v8
	v_add_f32_e32 v10, v8, v9
	v_add3_u32 v8, v4, v7, v1
	v_mov_b32_e32 v9, v3
	v_lshl_add_u64 v[8:9], v[8:9], 2, s[8:9]
	global_store_dword v[8:9], v10, off
.LBB126_52:
	s_or_b64 exec, exec, s[0:1]
	v_add_u32_e32 v1, 4, v0
	v_cmp_gt_i32_e64 s[0:1], s26, v1
	v_cmp_gt_u32_e32 vcc, 9, v2
	s_and_b64 s[0:1], s[6:7], s[0:1]
	s_and_b64 s[2:3], vcc, s[0:1]
	s_and_saveexec_b64 s[0:1], s[2:3]
	s_cbranch_execz .LBB126_55
; %bb.53:
	s_ashr_i32 s29, s28, 31
	v_mov_b32_e32 v3, 0
	v_lshl_add_u64 v[8:9], v[2:3], 0, s[28:29]
	v_lshl_add_u64 v[8:9], v[8:9], 2, s[4:5]
	global_load_dword v1, v[8:9], off offset:16
	s_waitcnt vmcnt(0)
	v_mul_hi_u32 v7, v1, s19
	v_add_u32_e32 v7, v1, v7
	v_lshrrev_b32_e32 v7, s24, v7
	v_cmp_gt_i32_e32 vcc, s13, v7
	s_and_b64 exec, exec, vcc
	s_cbranch_execz .LBB126_55
; %bb.54:
	v_add_u32_e32 v8, v5, v6
	v_add_u32_e32 v8, 32, v8
	ds_read2st64_b32 v[8:9], v8 offset0:8 offset1:9
	v_mul_lo_u32 v10, v7, s25
	v_sub_u32_e32 v1, v1, v10
	v_mul_lo_u32 v7, v7, s21
	v_mul_lo_u32 v1, v1, s10
	s_waitcnt lgkmcnt(0)
	v_add_f32_e32 v8, 0, v8
	v_add_f32_e32 v10, v8, v9
	v_add3_u32 v8, v4, v7, v1
	v_mov_b32_e32 v9, v3
	v_lshl_add_u64 v[8:9], v[8:9], 2, s[8:9]
	global_store_dword v[8:9], v10, off
.LBB126_55:
	;; [unrolled: 37-line block ×4, first 2 shown]
	s_or_b64 exec, exec, s[0:1]
	v_add_u32_e32 v0, 10, v0
	v_cmp_gt_i32_e64 s[0:1], s26, v0
	v_cmp_gt_u32_e32 vcc, 3, v2
	s_and_b64 s[0:1], s[6:7], s[0:1]
	s_and_b64 s[2:3], vcc, s[0:1]
	s_and_saveexec_b64 s[0:1], s[2:3]
	s_cbranch_execz .LBB126_64
; %bb.62:
	s_ashr_i32 s29, s28, 31
	v_mov_b32_e32 v3, 0
	v_lshl_add_u64 v[0:1], v[2:3], 0, s[28:29]
	v_lshl_add_u64 v[0:1], v[0:1], 2, s[4:5]
	global_load_dword v0, v[0:1], off offset:40
	s_waitcnt vmcnt(0)
	v_mul_hi_u32 v1, v0, s19
	v_add_u32_e32 v1, v0, v1
	v_lshrrev_b32_e32 v1, s24, v1
	v_cmp_gt_i32_e32 vcc, s13, v1
	s_and_b64 exec, exec, vcc
	s_cbranch_execz .LBB126_64
; %bb.63:
	v_add_u32_e32 v6, v5, v6
	v_add_u32_e32 v6, 0x50, v6
	ds_read2st64_b32 v[6:7], v6 offset0:20 offset1:21
	v_mul_lo_u32 v8, v1, s25
	v_sub_u32_e32 v0, v0, v8
	v_mul_lo_u32 v1, v1, s21
	v_mul_lo_u32 v0, v0, s10
	s_waitcnt lgkmcnt(0)
	v_add_f32_e32 v6, 0, v6
	v_add3_u32 v0, v4, v1, v0
	v_mov_b32_e32 v1, v3
	v_add_f32_e32 v6, v6, v7
	v_lshl_add_u64 v[0:1], v[0:1], 2, s[8:9]
	global_store_dword v[0:1], v6, off
.LBB126_64:
	s_or_b64 exec, exec, s[0:1]
	v_cmp_eq_u32_e32 vcc, 0, v2
	s_and_saveexec_b64 s[0:1], vcc
	s_cbranch_execz .LBB126_68
; %bb.65:
	s_add_i32 s0, s28, 12
	s_cmp_ge_i32 s0, s26
	s_cselect_b64 s[0:1], -1, 0
	s_xor_b64 s[2:3], s[6:7], -1
	s_or_b64 s[0:1], s[2:3], s[0:1]
	s_and_b64 vcc, exec, s[0:1]
	s_cbranch_vccnz .LBB126_68
; %bb.66:
	s_ashr_i32 s29, s28, 31
	s_lshl_b64 s[0:1], s[28:29], 2
	s_add_u32 s0, s4, s0
	s_addc_u32 s1, s5, s1
	s_load_dword s0, s[0:1], 0x30
	s_waitcnt lgkmcnt(0)
	s_mul_hi_u32 s1, s0, s19
	s_add_i32 s1, s0, s1
	s_lshr_b32 s1, s1, s24
	s_cmp_ge_i32 s1, s13
	s_cbranch_scc1 .LBB126_68
; %bb.67:
	v_add_u32_e32 v0, 0x60, v5
	ds_read2st64_b32 v[0:1], v0 offset0:24 offset1:25
	s_mul_i32 s2, s1, s25
	s_sub_i32 s0, s0, s2
	s_mul_i32 s1, s1, s21
	s_mul_i32 s0, s0, s10
	s_waitcnt lgkmcnt(0)
	v_add_f32_e32 v0, 0, v0
	s_add_i32 s0, s0, s1
	v_add_f32_e32 v2, v0, v1
	v_add_u32_e32 v0, s0, v4
	v_mov_b32_e32 v1, 0
	v_lshl_add_u64 v[0:1], v[0:1], 2, s[8:9]
	global_store_dword v[0:1], v2, off
.LBB126_68:
	s_endpgm
	.section	.rodata,"a",@progbits
	.p2align	6, 0x0
	.amdhsa_kernel _ZL13mul_mat_f_idsI15__hip_bfloat162Li64ELi13ELi2EEvPKT_PKfPKiS7_S7_Pfiiiiiiiiiiiiii15HIP_vector_typeIjLj3EESA_
		.amdhsa_group_segment_fixed_size 0
		.amdhsa_private_segment_fixed_size 0
		.amdhsa_kernarg_size 128
		.amdhsa_user_sgpr_count 2
		.amdhsa_user_sgpr_dispatch_ptr 0
		.amdhsa_user_sgpr_queue_ptr 0
		.amdhsa_user_sgpr_kernarg_segment_ptr 1
		.amdhsa_user_sgpr_dispatch_id 0
		.amdhsa_user_sgpr_kernarg_preload_length 0
		.amdhsa_user_sgpr_kernarg_preload_offset 0
		.amdhsa_user_sgpr_private_segment_size 0
		.amdhsa_uses_dynamic_stack 0
		.amdhsa_enable_private_segment 0
		.amdhsa_system_sgpr_workgroup_id_x 1
		.amdhsa_system_sgpr_workgroup_id_y 1
		.amdhsa_system_sgpr_workgroup_id_z 1
		.amdhsa_system_sgpr_workgroup_info 0
		.amdhsa_system_vgpr_workitem_id 1
		.amdhsa_next_free_vgpr 120
		.amdhsa_next_free_sgpr 100
		.amdhsa_accum_offset 104
		.amdhsa_reserve_vcc 1
		.amdhsa_float_round_mode_32 0
		.amdhsa_float_round_mode_16_64 0
		.amdhsa_float_denorm_mode_32 3
		.amdhsa_float_denorm_mode_16_64 3
		.amdhsa_dx10_clamp 1
		.amdhsa_ieee_mode 1
		.amdhsa_fp16_overflow 0
		.amdhsa_tg_split 0
		.amdhsa_exception_fp_ieee_invalid_op 0
		.amdhsa_exception_fp_denorm_src 0
		.amdhsa_exception_fp_ieee_div_zero 0
		.amdhsa_exception_fp_ieee_overflow 0
		.amdhsa_exception_fp_ieee_underflow 0
		.amdhsa_exception_fp_ieee_inexact 0
		.amdhsa_exception_int_div_zero 0
	.end_amdhsa_kernel
	.section	.text._ZL13mul_mat_f_idsI15__hip_bfloat162Li64ELi13ELi2EEvPKT_PKfPKiS7_S7_Pfiiiiiiiiiiiiii15HIP_vector_typeIjLj3EESA_,"axG",@progbits,_ZL13mul_mat_f_idsI15__hip_bfloat162Li64ELi13ELi2EEvPKT_PKfPKiS7_S7_Pfiiiiiiiiiiiiii15HIP_vector_typeIjLj3EESA_,comdat
.Lfunc_end126:
	.size	_ZL13mul_mat_f_idsI15__hip_bfloat162Li64ELi13ELi2EEvPKT_PKfPKiS7_S7_Pfiiiiiiiiiiiiii15HIP_vector_typeIjLj3EESA_, .Lfunc_end126-_ZL13mul_mat_f_idsI15__hip_bfloat162Li64ELi13ELi2EEvPKT_PKfPKiS7_S7_Pfiiiiiiiiiiiiii15HIP_vector_typeIjLj3EESA_
                                        ; -- End function
	.set _ZL13mul_mat_f_idsI15__hip_bfloat162Li64ELi13ELi2EEvPKT_PKfPKiS7_S7_Pfiiiiiiiiiiiiii15HIP_vector_typeIjLj3EESA_.num_vgpr, 103
	.set _ZL13mul_mat_f_idsI15__hip_bfloat162Li64ELi13ELi2EEvPKT_PKfPKiS7_S7_Pfiiiiiiiiiiiiii15HIP_vector_typeIjLj3EESA_.num_agpr, 16
	.set _ZL13mul_mat_f_idsI15__hip_bfloat162Li64ELi13ELi2EEvPKT_PKfPKiS7_S7_Pfiiiiiiiiiiiiii15HIP_vector_typeIjLj3EESA_.numbered_sgpr, 100
	.set _ZL13mul_mat_f_idsI15__hip_bfloat162Li64ELi13ELi2EEvPKT_PKfPKiS7_S7_Pfiiiiiiiiiiiiii15HIP_vector_typeIjLj3EESA_.num_named_barrier, 0
	.set _ZL13mul_mat_f_idsI15__hip_bfloat162Li64ELi13ELi2EEvPKT_PKfPKiS7_S7_Pfiiiiiiiiiiiiii15HIP_vector_typeIjLj3EESA_.private_seg_size, 0
	.set _ZL13mul_mat_f_idsI15__hip_bfloat162Li64ELi13ELi2EEvPKT_PKfPKiS7_S7_Pfiiiiiiiiiiiiii15HIP_vector_typeIjLj3EESA_.uses_vcc, 1
	.set _ZL13mul_mat_f_idsI15__hip_bfloat162Li64ELi13ELi2EEvPKT_PKfPKiS7_S7_Pfiiiiiiiiiiiiii15HIP_vector_typeIjLj3EESA_.uses_flat_scratch, 0
	.set _ZL13mul_mat_f_idsI15__hip_bfloat162Li64ELi13ELi2EEvPKT_PKfPKiS7_S7_Pfiiiiiiiiiiiiii15HIP_vector_typeIjLj3EESA_.has_dyn_sized_stack, 0
	.set _ZL13mul_mat_f_idsI15__hip_bfloat162Li64ELi13ELi2EEvPKT_PKfPKiS7_S7_Pfiiiiiiiiiiiiii15HIP_vector_typeIjLj3EESA_.has_recursion, 0
	.set _ZL13mul_mat_f_idsI15__hip_bfloat162Li64ELi13ELi2EEvPKT_PKfPKiS7_S7_Pfiiiiiiiiiiiiii15HIP_vector_typeIjLj3EESA_.has_indirect_call, 0
	.section	.AMDGPU.csdata,"",@progbits
; Kernel info:
; codeLenInByte = 7744
; TotalNumSgprs: 106
; NumVgprs: 103
; NumAgprs: 16
; TotalNumVgprs: 120
; ScratchSize: 0
; MemoryBound: 0
; FloatMode: 240
; IeeeMode: 1
; LDSByteSize: 0 bytes/workgroup (compile time only)
; SGPRBlocks: 13
; VGPRBlocks: 14
; NumSGPRsForWavesPerEU: 106
; NumVGPRsForWavesPerEU: 120
; AccumOffset: 104
; Occupancy: 4
; WaveLimiterHint : 1
; COMPUTE_PGM_RSRC2:SCRATCH_EN: 0
; COMPUTE_PGM_RSRC2:USER_SGPR: 2
; COMPUTE_PGM_RSRC2:TRAP_HANDLER: 0
; COMPUTE_PGM_RSRC2:TGID_X_EN: 1
; COMPUTE_PGM_RSRC2:TGID_Y_EN: 1
; COMPUTE_PGM_RSRC2:TGID_Z_EN: 1
; COMPUTE_PGM_RSRC2:TIDIG_COMP_CNT: 1
; COMPUTE_PGM_RSRC3_GFX90A:ACCUM_OFFSET: 25
; COMPUTE_PGM_RSRC3_GFX90A:TG_SPLIT: 0
	.section	.text._ZL9mul_mat_fI15__hip_bfloat162Li64ELi13ELi2ELb1EEvPKT_PKfPKiPfiiiiiiiiiiiiiiii,"axG",@progbits,_ZL9mul_mat_fI15__hip_bfloat162Li64ELi13ELi2ELb1EEvPKT_PKfPKiPfiiiiiiiiiiiiiiii,comdat
	.globl	_ZL9mul_mat_fI15__hip_bfloat162Li64ELi13ELi2ELb1EEvPKT_PKfPKiPfiiiiiiiiiiiiiiii ; -- Begin function _ZL9mul_mat_fI15__hip_bfloat162Li64ELi13ELi2ELb1EEvPKT_PKfPKiPfiiiiiiiiiiiiiiii
	.p2align	8
	.type	_ZL9mul_mat_fI15__hip_bfloat162Li64ELi13ELi2ELb1EEvPKT_PKfPKiPfiiiiiiiiiiiiiiii,@function
_ZL9mul_mat_fI15__hip_bfloat162Li64ELi13ELi2ELb1EEvPKT_PKfPKiPfiiiiiiiiiiiiiiii: ; @_ZL9mul_mat_fI15__hip_bfloat162Li64ELi13ELi2ELb1EEvPKT_PKfPKiPfiiiiiiiiiiiiiiii
; %bb.0:
	s_load_dwordx8 s[48:55], s[0:1], 0x20
	s_mov_b32 s28, s4
	s_load_dwordx2 s[8:9], s[0:1], 0x10
	v_bfe_u32 v80, v0, 10, 10
	s_waitcnt lgkmcnt(0)
	s_add_i32 s4, s49, 12
	s_mul_hi_i32 s4, s4, 0x4ec4ec4f
	s_lshr_b32 s5, s4, 31
	s_ashr_i32 s4, s4, 2
	s_add_i32 s4, s4, s5
	v_cvt_f32_u32_e32 v1, s4
	s_load_dword s5, s[0:1], 0x64
	s_add_u32 s18, s0, 0x60
	s_addc_u32 s19, s1, 0
	v_rcp_iflag_f32_e32 v1, v1
	s_sub_i32 s6, 0, s4
	v_mul_f32_e32 v1, 0x4f7ffffe, v1
	v_cvt_u32_f32_e32 v1, v1
	v_mul_lo_u32 v2, s6, v1
	v_mul_hi_u32 v2, v1, v2
	v_add_u32_e32 v1, v1, v2
	s_waitcnt lgkmcnt(0)
	v_mul_hi_u32 v1, s5, v1
	v_mul_lo_u32 v2, v1, s4
	v_sub_u32_e32 v2, s5, v2
	v_add_u32_e32 v3, 1, v1
	v_subrev_u32_e32 v4, s4, v2
	v_cmp_le_u32_e32 vcc, s4, v2
	s_nop 1
	v_cndmask_b32_e32 v1, v1, v3, vcc
	v_cndmask_b32_e32 v2, v2, v4, vcc
	v_add_u32_e32 v3, 1, v1
	v_cmp_le_u32_e32 vcc, s4, v2
	s_nop 1
	v_cndmask_b32_e32 v1, v1, v3, vcc
	v_cvt_f32_u32_e32 v2, v1
	v_sub_u32_e32 v4, 0, v1
	v_rcp_iflag_f32_e32 v2, v2
	s_nop 0
	v_mul_f32_e32 v2, 0x4f7ffffe, v2
	v_cvt_u32_f32_e32 v3, v2
	v_and_b32_e32 v2, 0x3ff, v0
	v_cmp_eq_u32_e32 vcc, 0, v2
	v_mul_lo_u32 v4, v4, v3
	v_mul_hi_u32 v4, v3, v4
	v_add_u32_e32 v3, v3, v4
	v_mul_hi_u32 v3, s3, v3
	s_and_saveexec_b64 s[6:7], vcc
; %bb.1:
	v_mov_b32_e32 v4, 0x100
	v_lshl_add_u32 v4, v80, 2, v4
	v_mov_b32_e32 v5, -1
	ds_write_b32 v4, v5
; %bb.2:
	s_or_b64 exec, exec, s[6:7]
	v_mul_lo_u32 v4, v3, v1
	v_sub_u32_e32 v4, s3, v4
	v_add_u32_e32 v5, 1, v3
	v_sub_u32_e32 v6, v4, v1
	v_cmp_ge_u32_e64 s[6:7], v4, v1
	v_cmp_gt_i32_e64 s[14:15], s50, v2
	s_nop 0
	v_cndmask_b32_e64 v3, v3, v5, s[6:7]
	v_cndmask_b32_e64 v4, v4, v6, s[6:7]
	v_add_u32_e32 v5, 1, v3
	v_cmp_ge_u32_e64 s[6:7], v4, v1
	s_nop 1
	v_cndmask_b32_e64 v3, v3, v5, s[6:7]
	v_mul_lo_u32 v1, v3, v1
	v_mul_lo_u32 v3, v3, 13
	v_mul_hi_i32 v5, v3, s55
	v_mul_lo_u32 v4, v3, s55
	v_sub_u32_e32 v10, s3, v1
	v_lshlrev_b64 v[4:5], 2, v[4:5]
	v_add_u32_e32 v1, v80, v3
	v_lshl_add_u64 v[4:5], s[8:9], 0, v[4:5]
	v_cmp_gt_i32_e64 s[30:31], s49, v1
	v_mov_b32_e32 v1, 0
	s_and_saveexec_b64 s[10:11], s[30:31]
	s_cbranch_execz .LBB127_10
; %bb.3:
	v_mov_b32_e32 v1, 0
	s_and_saveexec_b64 s[12:13], s[14:15]
	s_cbranch_execz .LBB127_9
; %bb.4:
	v_mul_lo_u32 v6, v80, s55
	v_ashrrev_i32_e32 v7, 31, v6
	v_mov_b32_e32 v1, 0x100
	v_lshl_add_u64 v[6:7], v[6:7], 2, v[4:5]
	v_lshl_add_u32 v11, v80, 2, v1
	v_mul_lo_u32 v8, v2, s54
	s_lshl_b32 s3, s54, 6
	v_mov_b32_e32 v1, 0
	s_mov_b64 s[16:17], 0
	v_mov_b32_e32 v12, v2
	s_branch .LBB127_6
.LBB127_5:                              ;   in Loop: Header=BB127_6 Depth=1
	s_or_b64 exec, exec, s[20:21]
	v_add_u32_e32 v12, 64, v12
	v_cmp_le_i32_e64 s[8:9], s50, v12
	s_xor_b64 s[4:5], s[6:7], -1
	s_or_b64 s[4:5], s[4:5], s[8:9]
	s_and_b64 s[4:5], exec, s[4:5]
	s_or_b64 s[16:17], s[4:5], s[16:17]
	v_add_u32_e32 v8, s3, v8
	s_andn2_b64 exec, exec, s[16:17]
	s_cbranch_execz .LBB127_8
.LBB127_6:                              ; =>This Inner Loop Header: Depth=1
	v_ashrrev_i32_e32 v9, 31, v8
	v_lshl_add_u64 v[14:15], v[8:9], 2, v[6:7]
	global_load_dword v9, v[14:15], off
	s_waitcnt vmcnt(0)
	v_cmp_ne_u32_e64 s[6:7], v9, v10
	v_cmp_eq_u32_e64 s[8:9], v9, v10
	s_and_saveexec_b64 s[20:21], s[8:9]
	s_cbranch_execz .LBB127_5
; %bb.7:                                ;   in Loop: Header=BB127_6 Depth=1
	v_mov_b32_e32 v1, 1
	ds_write_b32 v11, v12
	s_branch .LBB127_5
.LBB127_8:
	s_or_b64 exec, exec, s[16:17]
.LBB127_9:
	s_or_b64 exec, exec, s[12:13]
.LBB127_10:
	s_or_b64 exec, exec, s[10:11]
	s_and_saveexec_b64 s[6:7], vcc
; %bb.11:
	v_mov_b32_e32 v6, 0x100
	v_lshl_add_u32 v6, v80, 2, v6
	v_mov_b32_e32 v7, -1
	ds_write_b32 v6, v7 offset:8
; %bb.12:
	s_or_b64 exec, exec, s[6:7]
	v_add_u32_e32 v81, 2, v80
	v_add_u32_e32 v6, v81, v3
	v_cmp_gt_i32_e64 s[4:5], s49, v6
	s_mov_b64 s[10:11], exec
                                        ; implicit-def: $vgpr94 : SGPR spill to VGPR lane
	s_nop 0
	v_writelane_b32 v94, s4, 0
	s_nop 1
	v_writelane_b32 v94, s5, 1
	s_and_b64 s[4:5], s[10:11], s[4:5]
	s_mov_b64 exec, s[4:5]
	s_cbranch_execz .LBB127_20
; %bb.13:
	s_and_saveexec_b64 s[12:13], s[14:15]
	s_cbranch_execz .LBB127_19
; %bb.14:
	v_mul_lo_u32 v6, v81, s55
	v_ashrrev_i32_e32 v7, 31, v6
	v_mov_b32_e32 v8, 0x100
	v_lshl_add_u64 v[6:7], v[6:7], 2, v[4:5]
	v_lshl_add_u32 v11, v80, 2, v8
	v_mul_lo_u32 v8, v2, s54
	s_lshl_b32 s3, s54, 6
	s_mov_b64 s[16:17], 0
	v_mov_b32_e32 v12, v2
	s_branch .LBB127_16
.LBB127_15:                             ;   in Loop: Header=BB127_16 Depth=1
	s_or_b64 exec, exec, s[20:21]
	v_add_u32_e32 v12, 64, v12
	v_cmp_le_i32_e64 s[8:9], s50, v12
	s_xor_b64 s[4:5], s[6:7], -1
	s_or_b64 s[4:5], s[4:5], s[8:9]
	s_and_b64 s[4:5], exec, s[4:5]
	s_or_b64 s[16:17], s[4:5], s[16:17]
	v_add_u32_e32 v8, s3, v8
	s_andn2_b64 exec, exec, s[16:17]
	s_cbranch_execz .LBB127_18
.LBB127_16:                             ; =>This Inner Loop Header: Depth=1
	v_ashrrev_i32_e32 v9, 31, v8
	v_lshl_add_u64 v[14:15], v[8:9], 2, v[6:7]
	global_load_dword v9, v[14:15], off
	s_waitcnt vmcnt(0)
	v_cmp_ne_u32_e64 s[6:7], v9, v10
	v_cmp_eq_u32_e64 s[8:9], v9, v10
	s_and_saveexec_b64 s[20:21], s[8:9]
	s_cbranch_execz .LBB127_15
; %bb.17:                               ;   in Loop: Header=BB127_16 Depth=1
	v_mov_b32_e32 v1, 1
	ds_write_b32 v11, v12 offset:8
	s_branch .LBB127_15
.LBB127_18:
	s_or_b64 exec, exec, s[16:17]
.LBB127_19:
	s_or_b64 exec, exec, s[12:13]
.LBB127_20:
	s_or_b64 exec, exec, s[10:11]
	s_load_dwordx4 s[56:59], s[0:1], 0x44
	s_and_saveexec_b64 s[6:7], vcc
; %bb.21:
	v_mov_b32_e32 v6, 0x100
	v_lshl_add_u32 v6, v80, 2, v6
	v_mov_b32_e32 v7, -1
	ds_write_b32 v6, v7 offset:16
; %bb.22:
	s_or_b64 exec, exec, s[6:7]
	v_add_u32_e32 v82, 4, v80
	v_add_u32_e32 v6, v82, v3
	v_cmp_gt_i32_e64 s[4:5], s49, v6
	s_mov_b64 s[10:11], exec
	s_nop 0
	v_writelane_b32 v94, s4, 2
	s_nop 1
	v_writelane_b32 v94, s5, 3
	s_and_b64 s[4:5], s[10:11], s[4:5]
	s_mov_b64 exec, s[4:5]
	s_cbranch_execz .LBB127_30
; %bb.23:
	s_and_saveexec_b64 s[12:13], s[14:15]
	s_cbranch_execz .LBB127_29
; %bb.24:
	v_mul_lo_u32 v6, v82, s55
	v_ashrrev_i32_e32 v7, 31, v6
	v_mov_b32_e32 v8, 0x100
	v_lshl_add_u64 v[6:7], v[6:7], 2, v[4:5]
	v_lshl_add_u32 v11, v80, 2, v8
	v_mul_lo_u32 v8, v2, s54
	s_lshl_b32 s3, s54, 6
	s_mov_b64 s[16:17], 0
	v_mov_b32_e32 v12, v2
	s_branch .LBB127_26
.LBB127_25:                             ;   in Loop: Header=BB127_26 Depth=1
	s_or_b64 exec, exec, s[20:21]
	v_add_u32_e32 v12, 64, v12
	v_cmp_le_i32_e64 s[8:9], s50, v12
	s_xor_b64 s[4:5], s[6:7], -1
	s_or_b64 s[4:5], s[4:5], s[8:9]
	s_and_b64 s[4:5], exec, s[4:5]
	s_or_b64 s[16:17], s[4:5], s[16:17]
	v_add_u32_e32 v8, s3, v8
	s_andn2_b64 exec, exec, s[16:17]
	s_cbranch_execz .LBB127_28
.LBB127_26:                             ; =>This Inner Loop Header: Depth=1
	v_ashrrev_i32_e32 v9, 31, v8
	v_lshl_add_u64 v[14:15], v[8:9], 2, v[6:7]
	global_load_dword v9, v[14:15], off
	s_waitcnt vmcnt(0)
	v_cmp_ne_u32_e64 s[6:7], v9, v10
	v_cmp_eq_u32_e64 s[8:9], v9, v10
	s_and_saveexec_b64 s[20:21], s[8:9]
	s_cbranch_execz .LBB127_25
; %bb.27:                               ;   in Loop: Header=BB127_26 Depth=1
	v_mov_b32_e32 v1, 1
	ds_write_b32 v11, v12 offset:16
	s_branch .LBB127_25
.LBB127_28:
	s_or_b64 exec, exec, s[16:17]
.LBB127_29:
	s_or_b64 exec, exec, s[12:13]
.LBB127_30:
	s_or_b64 exec, exec, s[10:11]
	s_waitcnt lgkmcnt(0)
	s_abs_i32 s3, s59
	s_and_saveexec_b64 s[6:7], vcc
; %bb.31:
	v_mov_b32_e32 v6, 0x100
	v_lshl_add_u32 v6, v80, 2, v6
	v_mov_b32_e32 v7, -1
	ds_write_b32 v6, v7 offset:24
; %bb.32:
	s_or_b64 exec, exec, s[6:7]
	v_cvt_f32_u32_e32 v11, s3
	v_add_u32_e32 v83, 6, v80
	v_add_u32_e32 v6, v83, v3
	v_cmp_gt_i32_e64 s[4:5], s49, v6
	s_mov_b64 s[12:13], exec
	s_nop 0
	v_writelane_b32 v94, s4, 4
	s_nop 1
	v_writelane_b32 v94, s5, 5
	s_and_b64 s[4:5], s[12:13], s[4:5]
	s_mov_b64 exec, s[4:5]
	s_cbranch_execz .LBB127_40
; %bb.33:
	s_and_saveexec_b64 s[16:17], s[14:15]
	s_cbranch_execz .LBB127_39
; %bb.34:
	v_mul_lo_u32 v6, v83, s55
	v_ashrrev_i32_e32 v7, 31, v6
	v_mov_b32_e32 v8, 0x100
	v_lshl_add_u64 v[6:7], v[6:7], 2, v[4:5]
	v_lshl_add_u32 v12, v80, 2, v8
	v_mul_lo_u32 v8, v2, s54
	s_lshl_b32 s4, s54, 6
	s_mov_b64 s[20:21], 0
	v_mov_b32_e32 v13, v2
	s_branch .LBB127_36
.LBB127_35:                             ;   in Loop: Header=BB127_36 Depth=1
	s_or_b64 exec, exec, s[22:23]
	v_add_u32_e32 v13, 64, v13
	v_cmp_le_i32_e64 s[10:11], s50, v13
	s_xor_b64 s[6:7], s[8:9], -1
	s_or_b64 s[6:7], s[6:7], s[10:11]
	s_and_b64 s[6:7], exec, s[6:7]
	s_or_b64 s[20:21], s[6:7], s[20:21]
	v_add_u32_e32 v8, s4, v8
	s_andn2_b64 exec, exec, s[20:21]
	s_cbranch_execz .LBB127_38
.LBB127_36:                             ; =>This Inner Loop Header: Depth=1
	v_ashrrev_i32_e32 v9, 31, v8
	v_lshl_add_u64 v[14:15], v[8:9], 2, v[6:7]
	global_load_dword v9, v[14:15], off
	s_waitcnt vmcnt(0)
	v_cmp_ne_u32_e64 s[8:9], v9, v10
	v_cmp_eq_u32_e64 s[10:11], v9, v10
	s_and_saveexec_b64 s[22:23], s[10:11]
	s_cbranch_execz .LBB127_35
; %bb.37:                               ;   in Loop: Header=BB127_36 Depth=1
	v_mov_b32_e32 v1, 1
	ds_write_b32 v12, v13 offset:24
	s_branch .LBB127_35
.LBB127_38:
	s_or_b64 exec, exec, s[20:21]
.LBB127_39:
	s_or_b64 exec, exec, s[16:17]
.LBB127_40:
	s_or_b64 exec, exec, s[12:13]
	v_rcp_iflag_f32_e32 v6, v11
	s_and_saveexec_b64 s[8:9], vcc
; %bb.41:
	v_mov_b32_e32 v7, 0x100
	v_lshl_add_u32 v7, v80, 2, v7
	v_mov_b32_e32 v8, -1
	ds_write_b32 v7, v8 offset:32
; %bb.42:
	s_or_b64 exec, exec, s[8:9]
	v_add_u32_e32 v84, 8, v80
	v_mul_f32_e32 v11, 0x4f7ffffe, v6
	v_add_u32_e32 v6, v84, v3
	v_cmp_gt_i32_e64 s[4:5], s49, v6
	s_mov_b64 s[16:17], exec
	s_nop 0
	v_writelane_b32 v94, s4, 6
	s_nop 1
	v_writelane_b32 v94, s5, 7
	s_and_b64 s[4:5], s[16:17], s[4:5]
	s_mov_b64 exec, s[4:5]
	s_cbranch_execz .LBB127_50
; %bb.43:
	s_and_saveexec_b64 s[20:21], s[14:15]
	s_cbranch_execz .LBB127_49
; %bb.44:
	v_mul_lo_u32 v6, v84, s55
	v_ashrrev_i32_e32 v7, 31, v6
	v_mov_b32_e32 v8, 0x100
	v_lshl_add_u64 v[6:7], v[6:7], 2, v[4:5]
	v_lshl_add_u32 v12, v80, 2, v8
	v_mul_lo_u32 v8, v2, s54
	s_lshl_b32 s4, s54, 6
	s_mov_b64 s[22:23], 0
	v_mov_b32_e32 v13, v2
	s_branch .LBB127_46
.LBB127_45:                             ;   in Loop: Header=BB127_46 Depth=1
	s_or_b64 exec, exec, s[24:25]
	v_add_u32_e32 v13, 64, v13
	v_cmp_le_i32_e64 s[12:13], s50, v13
	s_xor_b64 s[6:7], s[10:11], -1
	s_or_b64 s[6:7], s[6:7], s[12:13]
	s_and_b64 s[6:7], exec, s[6:7]
	s_or_b64 s[22:23], s[6:7], s[22:23]
	v_add_u32_e32 v8, s4, v8
	s_andn2_b64 exec, exec, s[22:23]
	s_cbranch_execz .LBB127_48
.LBB127_46:                             ; =>This Inner Loop Header: Depth=1
	v_ashrrev_i32_e32 v9, 31, v8
	v_lshl_add_u64 v[14:15], v[8:9], 2, v[6:7]
	global_load_dword v9, v[14:15], off
	s_waitcnt vmcnt(0)
	v_cmp_ne_u32_e64 s[10:11], v9, v10
	v_cmp_eq_u32_e64 s[12:13], v9, v10
	s_and_saveexec_b64 s[24:25], s[12:13]
	s_cbranch_execz .LBB127_45
; %bb.47:                               ;   in Loop: Header=BB127_46 Depth=1
	v_mov_b32_e32 v1, 1
	ds_write_b32 v12, v13 offset:32
	s_branch .LBB127_45
.LBB127_48:
	s_or_b64 exec, exec, s[22:23]
.LBB127_49:
	s_or_b64 exec, exec, s[20:21]
.LBB127_50:
	s_or_b64 exec, exec, s[16:17]
	v_cvt_u32_f32_e32 v11, v11
	s_sub_i32 s4, 0, s3
	s_and_saveexec_b64 s[10:11], vcc
; %bb.51:
	v_mov_b32_e32 v6, 0x100
	v_lshl_add_u32 v6, v80, 2, v6
	v_mov_b32_e32 v7, -1
	ds_write_b32 v6, v7 offset:40
; %bb.52:
	s_or_b64 exec, exec, s[10:11]
	v_add_u32_e32 v85, 10, v80
	v_mul_lo_u32 v12, s4, v11
	v_add_u32_e32 v6, v85, v3
	v_cmp_gt_i32_e64 s[4:5], s49, v6
	s_mov_b64 s[20:21], exec
	s_nop 0
	v_writelane_b32 v94, s4, 8
	s_nop 1
	v_writelane_b32 v94, s5, 9
	s_and_b64 s[4:5], s[20:21], s[4:5]
	s_mov_b64 exec, s[4:5]
	s_cbranch_execz .LBB127_60
; %bb.53:
	s_and_saveexec_b64 s[22:23], s[14:15]
	s_cbranch_execz .LBB127_59
; %bb.54:
	v_mul_lo_u32 v6, v85, s55
	v_ashrrev_i32_e32 v7, 31, v6
	v_mov_b32_e32 v8, 0x100
	v_lshl_add_u64 v[6:7], v[6:7], 2, v[4:5]
	v_lshl_add_u32 v13, v80, 2, v8
	v_mul_lo_u32 v8, v2, s54
	s_lshl_b32 s4, s54, 6
	s_mov_b64 s[24:25], 0
	v_mov_b32_e32 v14, v2
	s_branch .LBB127_56
.LBB127_55:                             ;   in Loop: Header=BB127_56 Depth=1
	s_or_b64 exec, exec, s[26:27]
	v_add_u32_e32 v14, 64, v14
	v_cmp_le_i32_e64 s[16:17], s50, v14
	s_xor_b64 s[6:7], s[12:13], -1
	s_or_b64 s[6:7], s[6:7], s[16:17]
	s_and_b64 s[6:7], exec, s[6:7]
	s_or_b64 s[24:25], s[6:7], s[24:25]
	v_add_u32_e32 v8, s4, v8
	s_andn2_b64 exec, exec, s[24:25]
	s_cbranch_execz .LBB127_58
.LBB127_56:                             ; =>This Inner Loop Header: Depth=1
	v_ashrrev_i32_e32 v9, 31, v8
	v_lshl_add_u64 v[16:17], v[8:9], 2, v[6:7]
	global_load_dword v9, v[16:17], off
	s_waitcnt vmcnt(0)
	v_cmp_ne_u32_e64 s[12:13], v9, v10
	v_cmp_eq_u32_e64 s[16:17], v9, v10
	s_and_saveexec_b64 s[26:27], s[16:17]
	s_cbranch_execz .LBB127_55
; %bb.57:                               ;   in Loop: Header=BB127_56 Depth=1
	v_mov_b32_e32 v1, 1
	ds_write_b32 v13, v14 offset:40
	s_branch .LBB127_55
.LBB127_58:
	s_or_b64 exec, exec, s[24:25]
.LBB127_59:
	s_or_b64 exec, exec, s[22:23]
.LBB127_60:
	s_or_b64 exec, exec, s[20:21]
	v_mul_hi_u32 v6, v11, v12
	s_and_saveexec_b64 s[12:13], vcc
; %bb.61:
	v_mov_b32_e32 v7, 0x100
	v_lshl_add_u32 v7, v80, 2, v7
	v_mov_b32_e32 v8, -1
	ds_write_b32 v7, v8 offset:48
; %bb.62:
	s_or_b64 exec, exec, s[12:13]
	s_load_dwordx4 s[36:39], s[0:1], 0x54
	v_add_u32_e32 v8, v11, v6
	v_add_u32_e32 v6, 12, v80
	s_abs_i32 s4, s28
	v_add_u32_e32 v7, v6, v3
	v_cmp_gt_i32_e64 s[6:7], s49, v7
	s_mov_b64 s[16:17], exec
	s_nop 0
	v_writelane_b32 v94, s6, 10
	s_nop 1
	v_writelane_b32 v94, s7, 11
	s_and_b64 s[6:7], s[16:17], s[6:7]
	s_mov_b64 exec, s[6:7]
	s_cbranch_execz .LBB127_70
; %bb.63:
	s_and_saveexec_b64 s[20:21], s[14:15]
	s_cbranch_execz .LBB127_69
; %bb.64:
	v_mul_lo_u32 v6, v6, s55
	v_ashrrev_i32_e32 v7, 31, v6
	v_lshl_add_u64 v[4:5], v[6:7], 2, v[4:5]
	v_mov_b32_e32 v6, 0x100
	v_lshl_add_u32 v9, v80, 2, v6
	v_mul_lo_u32 v6, v2, s54
	s_lshl_b32 s5, s54, 6
	s_mov_b64 s[22:23], 0
	v_mov_b32_e32 v11, v2
	s_branch .LBB127_66
.LBB127_65:                             ;   in Loop: Header=BB127_66 Depth=1
	s_or_b64 exec, exec, s[24:25]
	v_add_u32_e32 v11, 64, v11
	v_cmp_le_i32_e64 s[14:15], s50, v11
	s_xor_b64 s[6:7], vcc, -1
	s_or_b64 s[6:7], s[6:7], s[14:15]
	s_and_b64 s[6:7], exec, s[6:7]
	s_or_b64 s[22:23], s[6:7], s[22:23]
	v_add_u32_e32 v6, s5, v6
	s_andn2_b64 exec, exec, s[22:23]
	s_cbranch_execz .LBB127_68
.LBB127_66:                             ; =>This Inner Loop Header: Depth=1
	v_ashrrev_i32_e32 v7, 31, v6
	v_lshl_add_u64 v[12:13], v[6:7], 2, v[4:5]
	global_load_dword v7, v[12:13], off
	s_waitcnt vmcnt(0)
	v_cmp_ne_u32_e32 vcc, v7, v10
	v_cmp_eq_u32_e64 s[14:15], v7, v10
	s_and_saveexec_b64 s[24:25], s[14:15]
	s_cbranch_execz .LBB127_65
; %bb.67:                               ;   in Loop: Header=BB127_66 Depth=1
	v_mov_b32_e32 v1, 1
	ds_write_b32 v9, v11 offset:48
	s_branch .LBB127_65
.LBB127_68:
	s_or_b64 exec, exec, s[22:23]
.LBB127_69:
	s_or_b64 exec, exec, s[20:21]
.LBB127_70:
	s_or_b64 exec, exec, s[16:17]
	s_load_dwordx2 s[6:7], s[18:19], 0xc
	s_load_dwordx2 s[16:17], s[0:1], 0x8
	;; [unrolled: 1-line block ×3, first 2 shown]
	v_or_b32_dpp v1, v1, v1 row_shl:1 row_mask:0xf bank_mask:0xf bound_ctrl:1
	v_mul_hi_u32 v4, s4, v8
	s_waitcnt lgkmcnt(0)
	s_and_b32 s5, s7, 0xffff
	s_lshr_b32 s7, s6, 16
	v_writelane_b32 v94, s8, 12
	s_and_b32 s6, s6, 0xffff
	v_or_b32_dpp v1, v1, v1 row_shl:2 row_mask:0xf bank_mask:0xf bound_ctrl:1
	v_writelane_b32 v94, s9, 13
	s_mul_i32 s8, s7, s6
	v_or_b32_dpp v1, v1, v1 row_shl:4 row_mask:0xf bank_mask:0xf bound_ctrl:1
	s_bfe_i32 s8, s8, 0x180000
	s_mul_i32 s5, s8, s5
	v_or_b32_dpp v1, v1, v1 row_shl:8 row_mask:0xf bank_mask:0xf bound_ctrl:1
	s_add_i32 s8, s5, 63
	s_bitcmp1_b32 exec_hi, 0
	v_mov_b32_dpp v5, v1 wave_shl:1 row_mask:0xf bank_mask:0xf bound_ctrl:1
                                        ; kill: killed $sgpr18 killed $sgpr19
	s_nop 1
	v_or_b32_dpp v1, v5, v1 row_mirror row_mask:0xf bank_mask:0xf bound_ctrl:1
	s_nop 0
	v_readlane_b32 s5, v1, 32
	s_cselect_b32 s5, s5, 0
	v_readlane_b32 s9, v1, 0
	s_or_b32 s5, s5, s9
	s_andn2_b32 s8, s8, 63
	s_cmp_lg_u32 s8, 64
	v_mov_b32_e32 v1, s5
	s_cbranch_scc0 .LBB127_77
; %bb.71:
	v_bfe_u32 v0, v0, 20, 10
	v_mbcnt_lo_u32_b32 v1, -1, 0
	v_mad_u32_u24 v0, v0, s7, v80
	v_mbcnt_hi_u32_b32 v5, -1, v1
	v_mad_u64_u32 v[0:1], s[6:7], v0, s6, v[2:3]
	v_lshrrev_b32_e32 v1, 6, v0
	v_or_b32_e32 v1, v5, v1
	v_cmp_eq_u32_e32 vcc, 0, v1
	s_and_saveexec_b64 s[14:15], vcc
; %bb.72:
	v_mov_b32_e32 v1, 0
	v_mov_b32_e32 v6, s5
	ds_write_b32 v1, v6
; %bb.73:
	s_or_b64 exec, exec, s[14:15]
	v_cmp_eq_u32_e32 vcc, 0, v5
	v_cmp_lt_u32_e64 s[14:15], 63, v0
	s_and_b64 s[6:7], s[14:15], vcc
	s_waitcnt lgkmcnt(0)
	s_barrier
	s_and_saveexec_b64 s[14:15], s[6:7]
	s_cbranch_execz .LBB127_76
; %bb.74:
	v_mbcnt_lo_u32_b32 v0, exec_lo, 0
	v_mbcnt_hi_u32_b32 v0, exec_hi, v0
	v_cmp_eq_u32_e32 vcc, 0, v0
	s_and_b64 exec, exec, vcc
; %bb.75:
	v_mov_b32_e32 v0, 0
	v_mov_b32_e32 v1, s5
	ds_or_b32 v0, v1
.LBB127_76:
	s_or_b64 exec, exec, s[14:15]
	v_mov_b32_e32 v0, 0
	s_waitcnt lgkmcnt(0)
	s_barrier
	ds_read_b32 v1, v0
	s_waitcnt lgkmcnt(0)
	s_barrier
.LBB127_77:
	s_load_dwordx2 s[14:15], s[0:1], 0x0
	v_cmp_ne_u32_e32 vcc, 0, v1
	s_ashr_i32 s5, s28, 31
	s_ashr_i32 s6, s59, 31
	s_cbranch_vccz .LBB127_163
; %bb.78:
	v_lshlrev_b32_e32 v86, 6, v80
	v_add_u32_e32 v88, v86, v2
	v_cmp_le_i32_e32 vcc, s48, v88
	v_and_b32_e32 v87, 15, v2
	s_and_saveexec_b64 s[0:1], vcc
	s_xor_b64 s[0:1], exec, s[0:1]
; %bb.79:
	v_and_b32_e32 v87, 15, v2
                                        ; implicit-def: $vgpr88
                                        ; implicit-def: $vgpr4
                                        ; implicit-def: $vgpr10
; %bb.80:
	s_or_saveexec_b64 s[0:1], s[0:1]
	s_lshl_b32 s7, s2, 6
	v_mov_b32_e32 v1, 0
	v_accvgpr_write_b32 a0, 0
	v_accvgpr_write_b32 a1, 0
	;; [unrolled: 1-line block ×16, first 2 shown]
	v_writelane_b32 v94, s0, 14
	s_nop 1
	v_writelane_b32 v94, s1, 15
	s_xor_b64 exec, exec, s[0:1]
	s_cbranch_execz .LBB127_136
; %bb.81:
	v_mul_lo_u32 v0, v4, s3
	v_sub_u32_e32 v0, s4, v0
	v_add_u32_e32 v5, 1, v4
	v_subrev_u32_e32 v6, s3, v0
	v_cmp_le_u32_e32 vcc, s3, v0
	s_xor_b32 s0, s5, s6
	v_writelane_b32 v94, s30, 16
	v_cndmask_b32_e32 v4, v4, v5, vcc
	v_cndmask_b32_e32 v0, v0, v6, vcc
	v_add_u32_e32 v5, 1, v4
	v_cmp_le_u32_e32 vcc, s3, v0
	v_writelane_b32 v94, s31, 17
	v_writelane_b32 v94, s7, 18
	v_cndmask_b32_e32 v0, v4, v5, vcc
	v_xor_b32_e32 v0, s0, v0
	v_subrev_u32_e32 v0, s0, v0
	s_mul_i32 s0, s51, s7
	s_ashr_i32 s1, s0, 31
	s_lshl_b64 s[2:3], s[0:1], 2
	s_movk_i32 s0, 0x1080
	v_mov_b32_e32 v89, 0x100
	v_writelane_b32 v94, s28, 19
	v_mul_hi_i32 v5, v0, s36
	v_mul_lo_u32 v4, v0, s36
	v_mul_lo_u32 v6, v10, s56
	v_mad_u32_u24 v0, v80, s0, v89
	s_mul_hi_i32 s1, s37, s28
	v_writelane_b32 v94, s36, 20
	s_mul_i32 s0, s37, s28
	v_ashrrev_i32_e32 v7, 31, v6
	s_lshl_b64 s[0:1], s[0:1], 2
	v_lshlrev_b64 v[10:11], 2, v[6:7]
	v_writelane_b32 v94, s37, 21
	v_mul_hi_i32 v7, s52, v3
	v_mul_lo_u32 v6, s52, v3
	s_add_u32 s0, s16, s0
	v_writelane_b32 v94, s38, 22
	v_lshlrev_b64 v[6:7], 3, v[6:7]
	s_addc_u32 s1, s17, s1
	v_writelane_b32 v94, s39, 23
	v_lshl_add_u64 v[6:7], s[0:1], 0, v[6:7]
	s_lshl_b32 s0, s52, 3
	v_writelane_b32 v94, s0, 24
	s_mul_i32 s0, s52, 6
	v_lshlrev_b64 v[8:9], 2, v[4:5]
	v_writelane_b32 v94, s0, 25
	s_lshl_b32 s0, s52, 4
	s_waitcnt lgkmcnt(0)
	v_lshl_add_u64 v[4:5], s[14:15], 0, v[8:9]
	v_writelane_b32 v94, s0, 26
	s_mul_i32 s0, s52, 10
	v_lshl_add_u64 v[4:5], v[4:5], 0, v[10:11]
	v_writelane_b32 v94, s0, 27
	s_mul_i32 s0, s52, 12
	s_ashr_i32 s17, s51, 31
	s_mov_b32 s16, s51
	v_lshl_add_u64 v[4:5], v[4:5], 0, s[2:3]
	v_lshrrev_b32_e32 v13, 1, v2
	v_writelane_b32 v94, s0, 28
	v_lshl_add_u64 v[8:9], v[8:9], 0, s[2:3]
	s_lshl_b64 s[2:3], s[16:17], 2
	s_mul_i32 s16, s52, 24
	v_mul_u32_u24_e32 v12, 0x108, v87
	v_and_b32_e32 v13, 0x1f8, v13
	v_writelane_b32 v94, s16, 29
	s_mul_i32 s16, s52, 22
	v_lshl_add_u32 v90, v2, 2, v0
	v_add3_u32 v91, v0, v12, v13
	v_lshl_add_u64 v[8:9], v[8:9], 0, v[10:11]
	v_lshlrev_b32_e32 v0, 1, v2
	v_writelane_b32 v94, s16, 30
	s_mul_i32 s16, s52, 20
	v_add_u32_e32 v12, 1, v3
	v_add_u32_e32 v13, 2, v3
	s_lshl_b32 s50, s52, 2
	v_add_u32_e32 v14, 3, v3
	v_add_u32_e32 v15, 4, v3
	;; [unrolled: 1-line block ×10, first 2 shown]
	v_lshl_add_u64 v[8:9], s[14:15], 0, v[8:9]
	v_lshl_add_u32 v92, v80, 7, v0
	v_lshlrev_b32_e32 v0, 2, v88
	v_writelane_b32 v94, s16, 31
	s_mul_i32 s16, s52, 18
	s_add_i32 s64, s51, s51
	s_mul_i32 s65, s51, 3
	s_lshl_b32 s66, s51, 2
	s_mul_i32 s67, s51, 5
	s_mul_i32 s68, s51, 6
	;; [unrolled: 1-line block ×3, first 2 shown]
	s_lshl_b32 s70, s51, 3
	s_mul_i32 s71, s51, 9
	s_mul_i32 s72, s51, 10
	s_mul_i32 s73, s51, 11
	s_mul_i32 s74, s51, 12
	s_mul_i32 s75, s51, 13
	s_mul_i32 s76, s51, 14
	s_mul_i32 s77, s51, 15
	s_lshl_b32 s78, s51, 4
	s_mul_i32 s79, s51, 17
	s_mul_i32 s80, s51, 18
	;; [unrolled: 1-line block ×15, first 2 shown]
	s_lshl_b32 s94, s51, 5
	s_mul_i32 s95, s51, 33
	s_mul_i32 s96, s51, 34
	;; [unrolled: 1-line block ×17, first 2 shown]
	v_cmp_gt_i32_e64 s[14:15], s49, v3
	s_mul_i32 s9, s51, 50
	s_mul_i32 s0, s51, 51
	v_accvgpr_write_b32 a15, 0
	v_accvgpr_write_b32 a14, 0
	;; [unrolled: 1-line block ×16, first 2 shown]
	v_lshl_add_u64 v[8:9], v[8:9], 0, v[0:1]
	s_mul_i32 s1, s51, 52
	s_mul_i32 s10, s51, 53
	;; [unrolled: 1-line block ×12, first 2 shown]
	v_writelane_b32 v94, s16, 32
	s_mul_i32 s63, s52, 14
	s_lshl_b32 s52, s52, 1
	v_cmp_gt_i32_e64 s[16:17], s49, v12
	v_cmp_gt_i32_e64 s[18:19], s49, v13
	;; [unrolled: 1-line block ×12, first 2 shown]
	s_mov_b32 s49, s50
	s_mov_b64 s[50:51], 0
	s_branch .LBB127_84
.LBB127_82:                             ;   in Loop: Header=BB127_84 Depth=1
	v_mul_lo_u32 v0, v0, s57
	v_readlane_b32 vcc_lo, v94, 29
	s_nop 1
	v_add_u32_e32 v0, vcc_lo, v0
	v_add_u32_e32 v74, v0, v92
	v_ashrrev_i32_e32 v75, 31, v74
	v_lshl_add_u64 v[74:75], v[74:75], 2, v[6:7]
	global_load_dwordx2 v[74:75], v[74:75], off
.LBB127_83:                             ;   in Loop: Header=BB127_84 Depth=1
	s_waitcnt vmcnt(0)
	v_cvt_pk_bf16_f32 v0, v74, v75
	v_add_u32_e32 v74, 0xc00, v90
	ds_write2_b32 v74, v0, v1 offset0:40 offset1:106
	ds_write2_b32 v74, v1, v1 offset0:172 offset1:238
	ds_read2_b64 v[74:77], v91 offset0:8 offset1:12
	v_add_u32_e32 v88, 0x80, v88
	s_mov_b64 vcc, 0x200
	v_lshl_add_u64 v[8:9], v[8:9], 0, vcc
	s_waitcnt lgkmcnt(0)
	v_mfma_f32_16x16x16_bf16 a[12:15], v[16:17], v[74:75], a[12:15]
	v_cmp_le_i32_e32 vcc, s48, v88
	v_add_u32_e32 v92, 0x100, v92
	s_or_b64 s[50:51], vcc, s[50:51]
	v_mfma_f32_16x16x16_bf16 a[8:11], v[42:43], v[74:75], a[8:11]
	v_mfma_f32_16x16x16_bf16 a[4:7], v[56:57], v[74:75], a[4:7]
	;; [unrolled: 1-line block ×4, first 2 shown]
	ds_read2_b64 v[14:17], v91 offset0:16 offset1:20
	v_mfma_f32_16x16x16_bf16 a[8:11], v[40:41], v[76:77], a[8:11]
	v_mfma_f32_16x16x16_bf16 a[4:7], v[54:55], v[76:77], a[4:7]
	;; [unrolled: 1-line block ×3, first 2 shown]
	s_waitcnt lgkmcnt(0)
	v_mfma_f32_16x16x16_bf16 a[12:15], v[12:13], v[14:15], a[12:15]
	v_mfma_f32_16x16x16_bf16 a[8:11], v[36:37], v[14:15], a[8:11]
	;; [unrolled: 1-line block ×5, first 2 shown]
	ds_read2_b64 v[10:13], v91 offset0:24 offset1:28
	v_mfma_f32_16x16x16_bf16 a[8:11], v[34:35], v[16:17], a[8:11]
	v_mfma_f32_16x16x16_bf16 a[4:7], v[50:51], v[16:17], a[4:7]
	;; [unrolled: 1-line block ×3, first 2 shown]
	s_waitcnt lgkmcnt(0)
	v_mfma_f32_16x16x16_bf16 a[12:15], v[24:25], v[10:11], a[12:15]
	v_mfma_f32_16x16x16_bf16 a[8:11], v[32:33], v[10:11], a[8:11]
	;; [unrolled: 1-line block ×8, first 2 shown]
	ds_read2_b64 v[10:13], v91 offset0:32 offset1:36
	s_waitcnt lgkmcnt(0)
	v_mfma_f32_16x16x16_bf16 a[12:15], v[20:21], v[10:11], a[12:15]
	v_mfma_f32_16x16x16_bf16 a[8:11], v[28:29], v[10:11], a[8:11]
	;; [unrolled: 1-line block ×8, first 2 shown]
	s_andn2_b64 exec, exec, s[50:51]
	s_cbranch_execz .LBB127_135
.LBB127_84:                             ; =>This Inner Loop Header: Depth=1
	v_lshl_add_u64 v[10:11], v[8:9], 0, s[2:3]
	global_load_dword v0, v[8:9], off
	global_load_dword v26, v[10:11], off
	v_add_u32_e32 v10, s64, v88
	v_add_u32_e32 v14, s66, v88
	;; [unrolled: 1-line block ×4, first 2 shown]
	v_ashrrev_i32_e32 v11, 31, v10
	v_add_u32_e32 v12, s65, v88
	v_ashrrev_i32_e32 v15, 31, v14
	v_ashrrev_i32_e32 v17, 31, v16
	v_add_u32_e32 v18, s68, v88
	v_add_u32_e32 v20, s69, v88
	v_ashrrev_i32_e32 v23, 31, v22
	v_add_u32_e32 v24, s71, v88
	v_lshl_add_u64 v[10:11], v[10:11], 2, v[4:5]
	v_ashrrev_i32_e32 v13, 31, v12
	v_lshl_add_u64 v[14:15], v[14:15], 2, v[4:5]
	v_lshl_add_u64 v[16:17], v[16:17], 2, v[4:5]
	v_ashrrev_i32_e32 v19, 31, v18
	v_ashrrev_i32_e32 v21, 31, v20
	v_lshl_add_u64 v[22:23], v[22:23], 2, v[4:5]
	v_ashrrev_i32_e32 v25, 31, v24
	v_lshl_add_u64 v[12:13], v[12:13], 2, v[4:5]
	v_lshl_add_u64 v[18:19], v[18:19], 2, v[4:5]
	;; [unrolled: 1-line block ×4, first 2 shown]
	global_load_dword v27, v[10:11], off
	global_load_dword v28, v[12:13], off
	;; [unrolled: 1-line block ×6, first 2 shown]
	s_nop 0
	global_load_dword v22, v[22:23], off
	s_nop 0
	global_load_dword v23, v[24:25], off
	v_add_u32_e32 v10, s72, v88
	v_add_u32_e32 v14, s74, v88
	;; [unrolled: 1-line block ×3, first 2 shown]
	v_ashrrev_i32_e32 v11, 31, v10
	v_add_u32_e32 v12, s73, v88
	v_ashrrev_i32_e32 v15, 31, v14
	v_ashrrev_i32_e32 v17, 31, v16
	v_add_u32_e32 v18, s76, v88
	v_add_u32_e32 v20, s77, v88
	v_lshl_add_u64 v[10:11], v[10:11], 2, v[4:5]
	v_ashrrev_i32_e32 v13, 31, v12
	v_lshl_add_u64 v[14:15], v[14:15], 2, v[4:5]
	v_lshl_add_u64 v[16:17], v[16:17], 2, v[4:5]
	v_ashrrev_i32_e32 v19, 31, v18
	v_ashrrev_i32_e32 v21, 31, v20
	v_lshl_add_u64 v[12:13], v[12:13], 2, v[4:5]
	v_lshl_add_u64 v[18:19], v[18:19], 2, v[4:5]
	;; [unrolled: 1-line block ×3, first 2 shown]
	global_load_dword v24, v[10:11], off
	global_load_dword v25, v[12:13], off
	s_nop 0
	global_load_dword v14, v[14:15], off
	s_nop 0
	;; [unrolled: 2-line block ×3, first 2 shown]
	global_load_dword v16, v[18:19], off
	global_load_dword v17, v[20:21], off
	v_add_u32_e32 v10, s78, v88
	v_add_u32_e32 v12, s79, v88
	v_ashrrev_i32_e32 v11, 31, v10
	v_ashrrev_i32_e32 v13, 31, v12
	v_lshl_add_u64 v[10:11], v[10:11], 2, v[4:5]
	v_add_u32_e32 v18, s80, v88
	v_lshl_add_u64 v[12:13], v[12:13], 2, v[4:5]
	global_load_dword v34, v[10:11], off
	global_load_dword v35, v[12:13], off
	v_ashrrev_i32_e32 v19, 31, v18
	v_add_u32_e32 v20, s81, v88
	v_lshl_add_u64 v[18:19], v[18:19], 2, v[4:5]
	v_ashrrev_i32_e32 v21, 31, v20
	v_lshl_add_u64 v[20:21], v[20:21], 2, v[4:5]
	s_andn2_b64 vcc, exec, s[14:15]
	s_waitcnt vmcnt(17)
	ds_write_b32 v90, v0 offset:64
	s_waitcnt vmcnt(16)
	ds_write_b32 v90, v26 offset:328
	s_waitcnt vmcnt(15)
	ds_write_b32 v90, v27 offset:592
	s_waitcnt vmcnt(14)
	ds_write_b32 v90, v28 offset:856
	s_waitcnt vmcnt(13)
	ds_write_b32 v90, v29 offset:1120
	s_waitcnt vmcnt(12)
	ds_write_b32 v90, v30 offset:1384
	s_waitcnt vmcnt(11)
	ds_write_b32 v90, v31 offset:1648
	s_waitcnt vmcnt(10)
	ds_write_b32 v90, v32 offset:1912
	s_waitcnt vmcnt(9)
	ds_write_b32 v90, v22 offset:2176
	s_waitcnt vmcnt(8)
	ds_write_b32 v90, v23 offset:2440
	s_waitcnt vmcnt(7)
	ds_write_b32 v90, v24 offset:2704
	s_waitcnt vmcnt(6)
	ds_write_b32 v90, v25 offset:2968
	s_waitcnt vmcnt(5)
	ds_write_b32 v90, v14 offset:3232
	s_waitcnt vmcnt(4)
	ds_write_b32 v90, v15 offset:3496
	s_waitcnt vmcnt(3)
	ds_write_b32 v90, v16 offset:3760
	s_waitcnt vmcnt(2)
	ds_write_b32 v90, v17 offset:4024
	v_add_u32_e32 v22, s82, v88
	v_add_u32_e32 v24, s83, v88
	;; [unrolled: 1-line block ×6, first 2 shown]
	v_ashrrev_i32_e32 v23, 31, v22
	v_ashrrev_i32_e32 v25, 31, v24
	;; [unrolled: 1-line block ×6, first 2 shown]
	ds_read_b64 v[16:17], v91 offset:64
	ds_read_b64 v[14:15], v91 offset:96
	;; [unrolled: 1-line block ×4, first 2 shown]
	v_lshl_add_u64 v[22:23], v[22:23], 2, v[4:5]
	v_lshl_add_u64 v[24:25], v[24:25], 2, v[4:5]
	v_lshl_add_u64 v[26:27], v[26:27], 2, v[4:5]
	v_lshl_add_u64 v[28:29], v[28:29], 2, v[4:5]
	v_lshl_add_u64 v[30:31], v[30:31], 2, v[4:5]
	v_lshl_add_u64 v[32:33], v[32:33], 2, v[4:5]
	global_load_dword v0, v[18:19], off
	global_load_dword v36, v[20:21], off
	global_load_dword v37, v[22:23], off
	global_load_dword v38, v[24:25], off
	global_load_dword v39, v[26:27], off
	global_load_dword v40, v[28:29], off
	global_load_dword v41, v[30:31], off
	global_load_dword v42, v[32:33], off
	v_add_u32_e32 v18, s88, v88
	v_ashrrev_i32_e32 v19, 31, v18
	v_add_u32_e32 v20, s89, v88
	v_add_u32_e32 v22, s90, v88
	v_add_u32_e32 v24, s91, v88
	v_add_u32_e32 v26, s92, v88
	v_add_u32_e32 v28, s93, v88
	v_add_u32_e32 v30, s94, v88
	v_add_u32_e32 v32, s95, v88
	v_lshl_add_u64 v[18:19], v[18:19], 2, v[4:5]
	v_ashrrev_i32_e32 v21, 31, v20
	v_ashrrev_i32_e32 v23, 31, v22
	v_ashrrev_i32_e32 v25, 31, v24
	v_ashrrev_i32_e32 v27, 31, v26
	v_ashrrev_i32_e32 v29, 31, v28
	v_ashrrev_i32_e32 v31, 31, v30
	v_ashrrev_i32_e32 v33, 31, v32
	v_lshl_add_u64 v[20:21], v[20:21], 2, v[4:5]
	v_lshl_add_u64 v[22:23], v[22:23], 2, v[4:5]
	v_lshl_add_u64 v[24:25], v[24:25], 2, v[4:5]
	v_lshl_add_u64 v[26:27], v[26:27], 2, v[4:5]
	v_lshl_add_u64 v[28:29], v[28:29], 2, v[4:5]
	v_lshl_add_u64 v[30:31], v[30:31], 2, v[4:5]
	v_lshl_add_u64 v[32:33], v[32:33], 2, v[4:5]
	global_load_dword v43, v[18:19], off
	global_load_dword v44, v[20:21], off
	global_load_dword v45, v[22:23], off
	global_load_dword v46, v[24:25], off
	global_load_dword v47, v[26:27], off
	global_load_dword v48, v[28:29], off
	global_load_dword v49, v[30:31], off
	global_load_dword v50, v[32:33], off
	v_add_u32_e32 v18, s96, v88
	v_ashrrev_i32_e32 v19, 31, v18
	v_add_u32_e32 v20, s97, v88
	v_add_u32_e32 v22, s98, v88
	v_add_u32_e32 v24, s99, v88
	v_add_u32_e32 v26, s5, v88
	v_add_u32_e32 v28, s42, v88
	v_add_u32_e32 v30, s43, v88
	v_add_u32_e32 v32, s46, v88
	v_lshl_add_u64 v[18:19], v[18:19], 2, v[4:5]
	v_ashrrev_i32_e32 v21, 31, v20
	v_ashrrev_i32_e32 v23, 31, v22
	v_ashrrev_i32_e32 v25, 31, v24
	v_ashrrev_i32_e32 v27, 31, v26
	v_ashrrev_i32_e32 v29, 31, v28
	v_ashrrev_i32_e32 v31, 31, v30
	v_ashrrev_i32_e32 v33, 31, v32
	v_lshl_add_u64 v[20:21], v[20:21], 2, v[4:5]
	v_lshl_add_u64 v[22:23], v[22:23], 2, v[4:5]
	v_lshl_add_u64 v[24:25], v[24:25], 2, v[4:5]
	v_lshl_add_u64 v[26:27], v[26:27], 2, v[4:5]
	v_lshl_add_u64 v[28:29], v[28:29], 2, v[4:5]
	v_lshl_add_u64 v[30:31], v[30:31], 2, v[4:5]
	v_lshl_add_u64 v[32:33], v[32:33], 2, v[4:5]
	global_load_dword v51, v[18:19], off
	global_load_dword v52, v[20:21], off
	global_load_dword v53, v[22:23], off
	global_load_dword v54, v[24:25], off
	global_load_dword v55, v[26:27], off
	global_load_dword v56, v[28:29], off
	global_load_dword v57, v[30:31], off
	global_load_dword v58, v[32:33], off
	v_add_u32_e32 v18, s47, v88
	v_ashrrev_i32_e32 v19, 31, v18
	v_add_u32_e32 v20, s12, v88
	v_add_u32_e32 v22, s13, v88
	v_add_u32_e32 v24, s44, v88
	v_add_u32_e32 v26, s45, v88
	v_add_u32_e32 v28, s6, v88
	v_add_u32_e32 v30, s7, v88
	v_add_u32_e32 v32, s8, v88
	v_lshl_add_u64 v[18:19], v[18:19], 2, v[4:5]
	v_ashrrev_i32_e32 v21, 31, v20
	v_ashrrev_i32_e32 v23, 31, v22
	v_ashrrev_i32_e32 v25, 31, v24
	v_ashrrev_i32_e32 v27, 31, v26
	v_ashrrev_i32_e32 v29, 31, v28
	v_ashrrev_i32_e32 v31, 31, v30
	v_ashrrev_i32_e32 v33, 31, v32
	v_lshl_add_u64 v[20:21], v[20:21], 2, v[4:5]
	v_lshl_add_u64 v[22:23], v[22:23], 2, v[4:5]
	v_lshl_add_u64 v[24:25], v[24:25], 2, v[4:5]
	v_lshl_add_u64 v[26:27], v[26:27], 2, v[4:5]
	v_lshl_add_u64 v[28:29], v[28:29], 2, v[4:5]
	v_lshl_add_u64 v[30:31], v[30:31], 2, v[4:5]
	v_lshl_add_u64 v[32:33], v[32:33], 2, v[4:5]
	global_load_dword v59, v[18:19], off
	global_load_dword v60, v[20:21], off
	global_load_dword v61, v[22:23], off
	global_load_dword v62, v[24:25], off
	global_load_dword v63, v[26:27], off
	global_load_dword v64, v[28:29], off
	global_load_dword v65, v[30:31], off
	global_load_dword v66, v[32:33], off
	v_add_u32_e32 v18, s9, v88
	v_ashrrev_i32_e32 v19, 31, v18
	v_add_u32_e32 v20, s0, v88
	v_add_u32_e32 v22, s1, v88
	v_add_u32_e32 v24, s10, v88
	v_add_u32_e32 v26, s11, v88
	v_add_u32_e32 v28, s54, v88
	v_add_u32_e32 v30, s55, v88
	v_add_u32_e32 v32, s62, v88
	v_lshl_add_u64 v[18:19], v[18:19], 2, v[4:5]
	v_ashrrev_i32_e32 v21, 31, v20
	v_ashrrev_i32_e32 v23, 31, v22
	v_ashrrev_i32_e32 v25, 31, v24
	v_ashrrev_i32_e32 v27, 31, v26
	v_ashrrev_i32_e32 v29, 31, v28
	v_ashrrev_i32_e32 v31, 31, v30
	v_ashrrev_i32_e32 v33, 31, v32
	v_lshl_add_u64 v[20:21], v[20:21], 2, v[4:5]
	v_lshl_add_u64 v[22:23], v[22:23], 2, v[4:5]
	v_lshl_add_u64 v[24:25], v[24:25], 2, v[4:5]
	;; [unrolled: 1-line block ×6, first 2 shown]
	global_load_dword v67, v[18:19], off
	global_load_dword v68, v[20:21], off
	;; [unrolled: 1-line block ×8, first 2 shown]
	v_add_u32_e32 v18, s33, v88
	v_ashrrev_i32_e32 v19, 31, v18
	v_add_u32_e32 v20, s4, v88
	v_add_u32_e32 v22, s56, v88
	;; [unrolled: 1-line block ×5, first 2 shown]
	v_lshl_add_u64 v[18:19], v[18:19], 2, v[4:5]
	v_ashrrev_i32_e32 v21, 31, v20
	v_ashrrev_i32_e32 v23, 31, v22
	;; [unrolled: 1-line block ×5, first 2 shown]
	v_lshl_add_u64 v[20:21], v[20:21], 2, v[4:5]
	v_lshl_add_u64 v[22:23], v[22:23], 2, v[4:5]
	;; [unrolled: 1-line block ×5, first 2 shown]
	global_load_dword v75, v[18:19], off
	global_load_dword v76, v[20:21], off
	;; [unrolled: 1-line block ×6, first 2 shown]
	ds_read_b64 v[24:25], v91 offset:192
	ds_read_b64 v[22:23], v91 offset:224
	ds_read_b64 v[20:21], v91 offset:256
	ds_read_b64 v[18:19], v91 offset:288
	s_waitcnt vmcnt(47)
	ds_write_b32 v90, v34 offset:64
	s_waitcnt vmcnt(46)
	ds_write_b32 v90, v35 offset:328
	s_waitcnt vmcnt(45)
	ds_write_b32 v90, v0 offset:592
	s_waitcnt vmcnt(44)
	ds_write_b32 v90, v36 offset:856
	s_waitcnt vmcnt(43)
	ds_write_b32 v90, v37 offset:1120
	s_waitcnt vmcnt(42)
	ds_write_b32 v90, v38 offset:1384
	s_waitcnt vmcnt(41)
	ds_write_b32 v90, v39 offset:1648
	s_waitcnt vmcnt(40)
	ds_write_b32 v90, v40 offset:1912
	s_waitcnt vmcnt(39)
	ds_write_b32 v90, v41 offset:2176
	s_waitcnt vmcnt(38)
	ds_write_b32 v90, v42 offset:2440
	s_waitcnt vmcnt(37)
	ds_write_b32 v90, v43 offset:2704
	s_waitcnt vmcnt(36)
	ds_write_b32 v90, v44 offset:2968
	s_waitcnt vmcnt(35)
	ds_write_b32 v90, v45 offset:3232
	s_waitcnt vmcnt(34)
	ds_write_b32 v90, v46 offset:3496
	s_waitcnt vmcnt(33)
	ds_write_b32 v90, v47 offset:3760
	s_waitcnt vmcnt(32)
	ds_write_b32 v90, v48 offset:4024
	ds_read_b64 v[42:43], v91 offset:64
	ds_read_b64 v[40:41], v91 offset:96
	ds_read_b64 v[36:37], v91 offset:128
	ds_read_b64 v[34:35], v91 offset:160
	ds_read_b64 v[32:33], v91 offset:192
	ds_read_b64 v[30:31], v91 offset:224
	ds_read_b64 v[28:29], v91 offset:256
	ds_read_b64 v[26:27], v91 offset:288
	s_waitcnt vmcnt(31)
	ds_write_b32 v90, v49 offset:64
	s_waitcnt vmcnt(30)
	ds_write_b32 v90, v50 offset:328
	s_waitcnt vmcnt(29)
	ds_write_b32 v90, v51 offset:592
	s_waitcnt vmcnt(28)
	ds_write_b32 v90, v52 offset:856
	s_waitcnt vmcnt(27)
	ds_write_b32 v90, v53 offset:1120
	s_waitcnt vmcnt(26)
	ds_write_b32 v90, v54 offset:1384
	s_waitcnt vmcnt(25)
	ds_write_b32 v90, v55 offset:1648
	s_waitcnt vmcnt(24)
	ds_write_b32 v90, v56 offset:1912
	s_waitcnt vmcnt(23)
	ds_write_b32 v90, v57 offset:2176
	s_waitcnt vmcnt(22)
	ds_write_b32 v90, v58 offset:2440
	s_waitcnt vmcnt(21)
	ds_write_b32 v90, v59 offset:2704
	s_waitcnt vmcnt(20)
	ds_write_b32 v90, v60 offset:2968
	s_waitcnt vmcnt(19)
	ds_write_b32 v90, v61 offset:3232
	s_waitcnt vmcnt(18)
	ds_write_b32 v90, v62 offset:3496
	s_waitcnt vmcnt(17)
	ds_write_b32 v90, v63 offset:3760
	s_waitcnt vmcnt(16)
	ds_write_b32 v90, v64 offset:4024
	ds_read_b64 v[56:57], v91 offset:64
	ds_read_b64 v[54:55], v91 offset:96
	ds_read_b64 v[52:53], v91 offset:128
	ds_read_b64 v[50:51], v91 offset:160
	;; [unrolled: 40-line block ×3, first 2 shown]
	ds_read_b64 v[68:69], v91 offset:192
	ds_read_b64 v[64:65], v91 offset:224
	;; [unrolled: 1-line block ×4, first 2 shown]
	v_mov_b32_e32 v76, 0
	v_mov_b32_e32 v77, 0
	v_mov_b32_e32 v74, 0
	s_cbranch_vccnz .LBB127_88
; %bb.85:                               ;   in Loop: Header=BB127_84 Depth=1
	ds_read_b32 v0, v89
	s_waitcnt lgkmcnt(0)
	v_cmp_gt_i32_e32 vcc, 0, v0
	s_cbranch_vccnz .LBB127_87
; %bb.86:                               ;   in Loop: Header=BB127_84 Depth=1
	v_mul_lo_u32 v0, v0, s57
	v_add_u32_e32 v76, v92, v0
	v_ashrrev_i32_e32 v77, 31, v76
	v_lshl_add_u64 v[76:77], v[76:77], 2, v[6:7]
	global_load_dwordx2 v[76:77], v[76:77], off
	s_branch .LBB127_88
.LBB127_87:                             ;   in Loop: Header=BB127_84 Depth=1
	v_mov_b32_e32 v76, 0
	v_mov_b32_e32 v77, 0
.LBB127_88:                             ;   in Loop: Header=BB127_84 Depth=1
	s_waitcnt vmcnt(0)
	v_cvt_pk_bf16_f32 v0, v76, v77
	s_andn2_b64 vcc, exec, s[16:17]
	v_mov_b32_e32 v76, 0
	v_mov_b32_e32 v77, 0
	ds_write_b32 v90, v0 offset:64
	s_cbranch_vccnz .LBB127_92
; %bb.89:                               ;   in Loop: Header=BB127_84 Depth=1
	ds_read_b32 v0, v89 offset:4
	s_waitcnt lgkmcnt(0)
	v_cmp_gt_i32_e32 vcc, 0, v0
	s_cbranch_vccnz .LBB127_91
; %bb.90:                               ;   in Loop: Header=BB127_84 Depth=1
	v_mul_lo_u32 v0, v0, s57
	v_add_u32_e32 v0, s52, v0
	v_add_u32_e32 v76, v0, v92
	v_ashrrev_i32_e32 v77, 31, v76
	v_lshl_add_u64 v[76:77], v[76:77], 2, v[6:7]
	global_load_dwordx2 v[76:77], v[76:77], off
	s_branch .LBB127_92
.LBB127_91:                             ;   in Loop: Header=BB127_84 Depth=1
	v_mov_b32_e32 v76, 0
	v_mov_b32_e32 v77, 0
.LBB127_92:                             ;   in Loop: Header=BB127_84 Depth=1
	s_waitcnt vmcnt(0)
	v_cvt_pk_bf16_f32 v0, v76, v77
	v_mov_b32_e32 v76, 0
	s_andn2_b64 vcc, exec, s[18:19]
	v_mov_b32_e32 v75, 0
	ds_write_b32 v90, v0 offset:328
	s_cbranch_vccnz .LBB127_96
; %bb.93:                               ;   in Loop: Header=BB127_84 Depth=1
	ds_read_b32 v0, v89 offset:8
	s_waitcnt lgkmcnt(0)
	v_cmp_gt_i32_e32 vcc, 0, v0
	s_cbranch_vccnz .LBB127_95
; %bb.94:                               ;   in Loop: Header=BB127_84 Depth=1
	v_mul_lo_u32 v0, v0, s57
	v_add_u32_e32 v0, s49, v0
	v_add_u32_e32 v74, v0, v92
	v_ashrrev_i32_e32 v75, 31, v74
	v_lshl_add_u64 v[74:75], v[74:75], 2, v[6:7]
	global_load_dwordx2 v[74:75], v[74:75], off
	s_branch .LBB127_96
.LBB127_95:                             ;   in Loop: Header=BB127_84 Depth=1
	v_mov_b32_e32 v74, 0
	v_mov_b32_e32 v75, 0
.LBB127_96:                             ;   in Loop: Header=BB127_84 Depth=1
	s_waitcnt vmcnt(0)
	v_cvt_pk_bf16_f32 v0, v74, v75
	s_andn2_b64 vcc, exec, s[20:21]
	v_mov_b32_e32 v74, 0
	v_mov_b32_e32 v75, 0
	ds_write_b32 v90, v0 offset:592
	s_cbranch_vccnz .LBB127_100
; %bb.97:                               ;   in Loop: Header=BB127_84 Depth=1
	ds_read_b32 v0, v89 offset:12
	s_waitcnt lgkmcnt(0)
	v_cmp_gt_i32_e32 vcc, 0, v0
	s_cbranch_vccnz .LBB127_99
; %bb.98:                               ;   in Loop: Header=BB127_84 Depth=1
	v_mul_lo_u32 v0, v0, s57
	v_readlane_b32 vcc_lo, v94, 25
	s_nop 1
	v_add_u32_e32 v0, vcc_lo, v0
	v_add_u32_e32 v74, v0, v92
	v_ashrrev_i32_e32 v75, 31, v74
	v_lshl_add_u64 v[74:75], v[74:75], 2, v[6:7]
	global_load_dwordx2 v[74:75], v[74:75], off
	s_branch .LBB127_100
.LBB127_99:                             ;   in Loop: Header=BB127_84 Depth=1
	v_mov_b32_e32 v74, 0
	v_mov_b32_e32 v75, 0
.LBB127_100:                            ;   in Loop: Header=BB127_84 Depth=1
	s_waitcnt vmcnt(0)
	v_cvt_pk_bf16_f32 v0, v74, v75
	v_mov_b32_e32 v74, 0
	s_andn2_b64 vcc, exec, s[22:23]
	v_mov_b32_e32 v77, 0
	ds_write_b32 v90, v0 offset:856
	s_cbranch_vccnz .LBB127_104
; %bb.101:                              ;   in Loop: Header=BB127_84 Depth=1
	ds_read_b32 v0, v89 offset:16
	s_waitcnt lgkmcnt(0)
	v_cmp_gt_i32_e32 vcc, 0, v0
	s_cbranch_vccnz .LBB127_103
; %bb.102:                              ;   in Loop: Header=BB127_84 Depth=1
	v_mul_lo_u32 v0, v0, s57
	v_readlane_b32 vcc_lo, v94, 24
	s_nop 1
	v_add_u32_e32 v0, vcc_lo, v0
	v_add_u32_e32 v76, v0, v92
	v_ashrrev_i32_e32 v77, 31, v76
	v_lshl_add_u64 v[76:77], v[76:77], 2, v[6:7]
	global_load_dwordx2 v[76:77], v[76:77], off
	s_branch .LBB127_104
.LBB127_103:                            ;   in Loop: Header=BB127_84 Depth=1
	v_mov_b32_e32 v76, 0
	v_mov_b32_e32 v77, 0
.LBB127_104:                            ;   in Loop: Header=BB127_84 Depth=1
	s_waitcnt vmcnt(0)
	v_cvt_pk_bf16_f32 v0, v76, v77
	s_andn2_b64 vcc, exec, s[24:25]
	v_mov_b32_e32 v76, 0
	v_mov_b32_e32 v77, 0
	ds_write_b32 v90, v0 offset:1120
	s_cbranch_vccnz .LBB127_108
; %bb.105:                              ;   in Loop: Header=BB127_84 Depth=1
	ds_read_b32 v0, v89 offset:20
	s_waitcnt lgkmcnt(0)
	v_cmp_gt_i32_e32 vcc, 0, v0
	s_cbranch_vccnz .LBB127_107
; %bb.106:                              ;   in Loop: Header=BB127_84 Depth=1
	v_mul_lo_u32 v0, v0, s57
	v_readlane_b32 vcc_lo, v94, 27
	s_nop 1
	v_add_u32_e32 v0, vcc_lo, v0
	v_add_u32_e32 v76, v0, v92
	v_ashrrev_i32_e32 v77, 31, v76
	v_lshl_add_u64 v[76:77], v[76:77], 2, v[6:7]
	global_load_dwordx2 v[76:77], v[76:77], off
	s_branch .LBB127_108
.LBB127_107:                            ;   in Loop: Header=BB127_84 Depth=1
	v_mov_b32_e32 v76, 0
	v_mov_b32_e32 v77, 0
.LBB127_108:                            ;   in Loop: Header=BB127_84 Depth=1
	s_waitcnt vmcnt(0)
	v_cvt_pk_bf16_f32 v0, v76, v77
	v_mov_b32_e32 v78, 0
	s_andn2_b64 vcc, exec, s[26:27]
	v_mov_b32_e32 v75, 0
	ds_write_b32 v90, v0 offset:1384
	s_cbranch_vccnz .LBB127_112
; %bb.109:                              ;   in Loop: Header=BB127_84 Depth=1
	ds_read_b32 v0, v89 offset:24
	s_waitcnt lgkmcnt(0)
	v_cmp_gt_i32_e32 vcc, 0, v0
	s_cbranch_vccnz .LBB127_111
; %bb.110:                              ;   in Loop: Header=BB127_84 Depth=1
	v_mul_lo_u32 v0, v0, s57
	v_readlane_b32 vcc_lo, v94, 28
	s_nop 1
	v_add_u32_e32 v0, vcc_lo, v0
	v_add_u32_e32 v74, v0, v92
	v_ashrrev_i32_e32 v75, 31, v74
	v_lshl_add_u64 v[74:75], v[74:75], 2, v[6:7]
	global_load_dwordx2 v[74:75], v[74:75], off
	s_branch .LBB127_112
.LBB127_111:                            ;   in Loop: Header=BB127_84 Depth=1
	v_mov_b32_e32 v74, 0
	v_mov_b32_e32 v75, 0
.LBB127_112:                            ;   in Loop: Header=BB127_84 Depth=1
	s_waitcnt vmcnt(0)
	v_cvt_pk_bf16_f32 v0, v74, v75
	s_andn2_b64 vcc, exec, s[28:29]
	v_mov_b32_e32 v74, 0
	v_mov_b32_e32 v75, 0
	ds_write_b32 v90, v0 offset:1648
	s_cbranch_vccnz .LBB127_116
; %bb.113:                              ;   in Loop: Header=BB127_84 Depth=1
	ds_read_b32 v0, v89 offset:28
	s_waitcnt lgkmcnt(0)
	v_cmp_gt_i32_e32 vcc, 0, v0
	s_cbranch_vccnz .LBB127_115
; %bb.114:                              ;   in Loop: Header=BB127_84 Depth=1
	v_mul_lo_u32 v0, v0, s57
	v_add_u32_e32 v0, s63, v0
	v_add_u32_e32 v74, v0, v92
	v_ashrrev_i32_e32 v75, 31, v74
	v_lshl_add_u64 v[74:75], v[74:75], 2, v[6:7]
	global_load_dwordx2 v[74:75], v[74:75], off
	s_branch .LBB127_116
.LBB127_115:                            ;   in Loop: Header=BB127_84 Depth=1
	v_mov_b32_e32 v74, 0
	v_mov_b32_e32 v75, 0
.LBB127_116:                            ;   in Loop: Header=BB127_84 Depth=1
	s_waitcnt vmcnt(0)
	v_cvt_pk_bf16_f32 v0, v74, v75
	v_mov_b32_e32 v76, 0
	s_andn2_b64 vcc, exec, s[30:31]
	v_mov_b32_e32 v79, 0
	ds_write_b32 v90, v0 offset:1912
	s_cbranch_vccnz .LBB127_120
; %bb.117:                              ;   in Loop: Header=BB127_84 Depth=1
	ds_read_b32 v0, v89 offset:32
	s_waitcnt lgkmcnt(0)
	v_cmp_gt_i32_e32 vcc, 0, v0
	s_cbranch_vccnz .LBB127_119
; %bb.118:                              ;   in Loop: Header=BB127_84 Depth=1
	v_mul_lo_u32 v0, v0, s57
	v_readlane_b32 vcc_lo, v94, 26
	s_nop 1
	v_add_u32_e32 v0, vcc_lo, v0
	v_add_u32_e32 v74, v0, v92
	v_ashrrev_i32_e32 v75, 31, v74
	v_lshl_add_u64 v[74:75], v[74:75], 2, v[6:7]
	global_load_dwordx2 v[78:79], v[74:75], off
	s_branch .LBB127_120
.LBB127_119:                            ;   in Loop: Header=BB127_84 Depth=1
	v_mov_b32_e32 v78, 0
	v_mov_b32_e32 v79, 0
.LBB127_120:                            ;   in Loop: Header=BB127_84 Depth=1
	s_waitcnt vmcnt(0)
	v_cvt_pk_bf16_f32 v0, v78, v79
	s_andn2_b64 vcc, exec, s[34:35]
	v_mov_b32_e32 v74, 0
	v_mov_b32_e32 v75, 0
	ds_write_b32 v90, v0 offset:2176
	s_cbranch_vccnz .LBB127_124
; %bb.121:                              ;   in Loop: Header=BB127_84 Depth=1
	ds_read_b32 v0, v89 offset:36
	s_waitcnt lgkmcnt(0)
	v_cmp_gt_i32_e32 vcc, 0, v0
	s_cbranch_vccnz .LBB127_123
; %bb.122:                              ;   in Loop: Header=BB127_84 Depth=1
	v_mul_lo_u32 v0, v0, s57
	v_readlane_b32 vcc_lo, v94, 32
	s_nop 1
	v_add_u32_e32 v0, vcc_lo, v0
	v_add_u32_e32 v74, v0, v92
	v_ashrrev_i32_e32 v75, 31, v74
	v_lshl_add_u64 v[74:75], v[74:75], 2, v[6:7]
	global_load_dwordx2 v[74:75], v[74:75], off
	s_branch .LBB127_124
.LBB127_123:                            ;   in Loop: Header=BB127_84 Depth=1
	v_mov_b32_e32 v74, 0
	v_mov_b32_e32 v75, 0
.LBB127_124:                            ;   in Loop: Header=BB127_84 Depth=1
	s_waitcnt vmcnt(0)
	v_cvt_pk_bf16_f32 v0, v74, v75
	v_mov_b32_e32 v74, 0
	s_andn2_b64 vcc, exec, s[36:37]
	v_mov_b32_e32 v77, 0
	ds_write_b32 v90, v0 offset:2440
	s_cbranch_vccnz .LBB127_128
; %bb.125:                              ;   in Loop: Header=BB127_84 Depth=1
	ds_read_b32 v0, v89 offset:40
	s_waitcnt lgkmcnt(0)
	v_cmp_gt_i32_e32 vcc, 0, v0
	s_cbranch_vccnz .LBB127_127
; %bb.126:                              ;   in Loop: Header=BB127_84 Depth=1
	v_mul_lo_u32 v0, v0, s57
	v_readlane_b32 vcc_lo, v94, 31
	s_nop 1
	v_add_u32_e32 v0, vcc_lo, v0
	v_add_u32_e32 v76, v0, v92
	v_ashrrev_i32_e32 v77, 31, v76
	v_lshl_add_u64 v[76:77], v[76:77], 2, v[6:7]
	global_load_dwordx2 v[76:77], v[76:77], off
	s_branch .LBB127_128
.LBB127_127:                            ;   in Loop: Header=BB127_84 Depth=1
	v_mov_b32_e32 v76, 0
	v_mov_b32_e32 v77, 0
.LBB127_128:                            ;   in Loop: Header=BB127_84 Depth=1
	s_waitcnt vmcnt(0)
	v_cvt_pk_bf16_f32 v0, v76, v77
	s_andn2_b64 vcc, exec, s[38:39]
	v_mov_b32_e32 v76, 0
	v_mov_b32_e32 v77, 0
	ds_write_b32 v90, v0 offset:2704
	s_cbranch_vccnz .LBB127_132
; %bb.129:                              ;   in Loop: Header=BB127_84 Depth=1
	ds_read_b32 v0, v89 offset:44
	s_waitcnt lgkmcnt(0)
	v_cmp_gt_i32_e32 vcc, 0, v0
	s_cbranch_vccnz .LBB127_131
; %bb.130:                              ;   in Loop: Header=BB127_84 Depth=1
	v_mul_lo_u32 v0, v0, s57
	v_readlane_b32 vcc_lo, v94, 30
	s_nop 1
	v_add_u32_e32 v0, vcc_lo, v0
	v_add_u32_e32 v76, v0, v92
	v_ashrrev_i32_e32 v77, 31, v76
	v_lshl_add_u64 v[76:77], v[76:77], 2, v[6:7]
	global_load_dwordx2 v[76:77], v[76:77], off
	s_branch .LBB127_132
.LBB127_131:                            ;   in Loop: Header=BB127_84 Depth=1
	v_mov_b32_e32 v76, 0
	v_mov_b32_e32 v77, 0
.LBB127_132:                            ;   in Loop: Header=BB127_84 Depth=1
	s_waitcnt vmcnt(0)
	v_cvt_pk_bf16_f32 v0, v76, v77
	s_andn2_b64 vcc, exec, s[40:41]
	v_mov_b32_e32 v75, 0
	ds_write_b32 v90, v0 offset:2968
	s_cbranch_vccnz .LBB127_83
; %bb.133:                              ;   in Loop: Header=BB127_84 Depth=1
	ds_read_b32 v0, v89 offset:48
	s_waitcnt lgkmcnt(0)
	v_cmp_gt_i32_e32 vcc, 0, v0
	s_cbranch_vccz .LBB127_82
; %bb.134:                              ;   in Loop: Header=BB127_84 Depth=1
	v_mov_b32_e32 v74, 0
	v_mov_b32_e32 v75, 0
	s_branch .LBB127_83
.LBB127_135:
	s_or_b64 exec, exec, s[50:51]
	v_readlane_b32 s30, v94, 16
	v_readlane_b32 s36, v94, 20
	;; [unrolled: 1-line block ×8, first 2 shown]
.LBB127_136:
	v_readlane_b32 s0, v94, 14
	v_readlane_b32 s1, v94, 15
	s_or_b64 exec, exec, s[0:1]
	v_mov_b32_e32 v0, 0x100
	v_lshl_add_u32 v8, v86, 2, v0
	v_mul_u32_u24_e32 v1, 0x208, v87
	v_and_b32_e32 v4, 0x3f0, v2
	v_add3_u32 v1, v8, v1, v4
	v_accvgpr_read_b32 v4, a13
	v_accvgpr_read_b32 v5, a12
	s_waitcnt lgkmcnt(0)
	s_barrier
	ds_write2_b32 v1, v5, v4 offset0:16 offset1:17
	v_accvgpr_read_b32 v4, a15
	v_accvgpr_read_b32 v5, a14
	ds_write2_b32 v1, v5, v4 offset0:18 offset1:19
	v_accvgpr_read_b32 v4, a9
	v_accvgpr_read_b32 v5, a8
	;; [unrolled: 3-line block ×5, first 2 shown]
	s_movk_i32 s0, 0x208
	ds_write2_b32 v1, v5, v4 offset0:50 offset1:51
	v_accvgpr_read_b32 v4, a1
	v_accvgpr_read_b32 v5, a0
	v_lshl_add_u32 v6, v2, 2, v0
	ds_write2_b32 v1, v5, v4 offset0:64 offset1:65
	v_accvgpr_read_b32 v4, a3
	v_accvgpr_read_b32 v5, a2
	v_mad_u32_u24 v0, v80, s0, v6
	ds_write2_b32 v1, v5, v4 offset0:66 offset1:67
	s_waitcnt lgkmcnt(0)
	s_barrier
	ds_read2_b32 v[4:5], v0 offset0:16 offset1:80
	v_cmp_gt_u32_e32 vcc, 13, v80
	v_mov_b32_e32 v9, -1
	s_and_saveexec_b64 s[0:1], vcc
; %bb.137:
	s_movk_i32 s2, 0xff04
	v_mad_i32_i24 v0, v80, s2, v8
	ds_read_b32 v9, v0
; %bb.138:
	s_or_b64 exec, exec, s[0:1]
	s_mul_hi_i32 s1, s38, s28
	s_mul_i32 s0, s38, s28
	s_lshl_b64 s[0:1], s[0:1], 2
	v_readlane_b32 s2, v94, 12
	v_mul_hi_i32 v1, v3, s53
	v_mul_lo_u32 v0, v3, s53
	v_readlane_b32 s3, v94, 13
	s_add_u32 s0, s2, s0
	s_addc_u32 s1, s3, s1
	v_lshlrev_b64 v[0:1], 2, v[0:1]
	s_waitcnt lgkmcnt(0)
	v_cmp_lt_i32_e32 vcc, -1, v9
	v_mul_u32_u24_e32 v10, 0x208, v80
	v_add_u32_e32 v7, s7, v2
	v_lshl_add_u64 v[0:1], s[0:1], 0, v[0:1]
	s_and_b64 s[2:3], vcc, s[30:31]
	s_and_saveexec_b64 s[0:1], s[2:3]
	s_cbranch_execz .LBB127_140
; %bb.139:
	v_add_f32_e32 v2, 0, v4
	v_add_f32_e32 v4, v2, v5
	v_mul_lo_u32 v2, v9, s58
	v_mul_lo_u32 v3, v80, s53
	v_add3_u32 v2, v7, v3, v2
	v_mov_b32_e32 v3, 0
	v_lshl_add_u64 v[2:3], v[2:3], 2, v[0:1]
	global_store_dword v[2:3], v4, off
.LBB127_140:
	s_or_b64 exec, exec, s[0:1]
	v_add_u32_e32 v4, v10, v6
	v_add_u32_e32 v2, 0x50, v4
	ds_read2st64_b32 v[2:3], v2 offset0:4 offset1:5
	v_cmp_gt_u32_e32 vcc, 11, v80
	v_mov_b32_e32 v5, -1
	s_and_saveexec_b64 s[0:1], vcc
; %bb.141:
	s_movk_i32 s2, 0xff04
	v_mad_i32_i24 v5, v80, s2, v8
	ds_read_b32 v5, v5 offset:8
; %bb.142:
	s_or_b64 exec, exec, s[0:1]
	v_readlane_b32 s0, v94, 0
	s_waitcnt lgkmcnt(0)
	v_cmp_lt_i32_e32 vcc, -1, v5
	v_readlane_b32 s1, v94, 1
	s_and_b64 s[2:3], vcc, s[0:1]
	s_and_saveexec_b64 s[0:1], s[2:3]
	s_cbranch_execz .LBB127_144
; %bb.143:
	v_add_f32_e32 v2, 0, v2
	v_add_f32_e32 v8, v2, v3
	v_mul_lo_u32 v2, v5, s58
	v_mul_lo_u32 v3, v81, s53
	v_add3_u32 v2, v7, v3, v2
	v_mov_b32_e32 v3, 0
	v_lshl_add_u64 v[2:3], v[2:3], 2, v[0:1]
	global_store_dword v[2:3], v8, off
.LBB127_144:
	s_or_b64 exec, exec, s[0:1]
	v_add_u32_e32 v2, 0x60, v4
	ds_read2st64_b32 v[2:3], v2 offset0:8 offset1:9
	v_cmp_gt_u32_e32 vcc, 9, v80
	v_mov_b32_e32 v5, -1
	s_and_saveexec_b64 s[0:1], vcc
; %bb.145:
	v_mov_b32_e32 v5, 0x100
	v_lshl_add_u32 v5, v80, 2, v5
	ds_read_b32 v5, v5 offset:16
; %bb.146:
	s_or_b64 exec, exec, s[0:1]
	v_readlane_b32 s0, v94, 2
	s_waitcnt lgkmcnt(0)
	v_cmp_lt_i32_e32 vcc, -1, v5
	v_readlane_b32 s1, v94, 3
	s_and_b64 s[2:3], vcc, s[0:1]
	s_and_saveexec_b64 s[0:1], s[2:3]
	s_cbranch_execz .LBB127_148
; %bb.147:
	v_add_f32_e32 v2, 0, v2
	v_add_f32_e32 v8, v2, v3
	v_mul_lo_u32 v2, v5, s58
	v_mul_lo_u32 v3, v82, s53
	v_add3_u32 v2, v7, v3, v2
	v_mov_b32_e32 v3, 0
	v_lshl_add_u64 v[2:3], v[2:3], 2, v[0:1]
	global_store_dword v[2:3], v8, off
.LBB127_148:
	s_or_b64 exec, exec, s[0:1]
	v_add_u32_e32 v2, 0x70, v4
	ds_read2st64_b32 v[2:3], v2 offset0:12 offset1:13
	v_cmp_gt_u32_e32 vcc, 7, v80
	v_mov_b32_e32 v5, -1
	s_and_saveexec_b64 s[0:1], vcc
; %bb.149:
	v_mov_b32_e32 v5, 0x100
	v_lshl_add_u32 v5, v80, 2, v5
	;; [unrolled: 29-line block ×4, first 2 shown]
	ds_read_b32 v4, v4 offset:40
; %bb.158:
	s_or_b64 exec, exec, s[0:1]
	v_readlane_b32 s0, v94, 8
	s_waitcnt lgkmcnt(0)
	v_cmp_lt_i32_e32 vcc, -1, v4
	v_readlane_b32 s1, v94, 9
	s_and_b64 s[2:3], vcc, s[0:1]
	s_and_saveexec_b64 s[0:1], s[2:3]
	s_cbranch_execz .LBB127_160
; %bb.159:
	v_add_f32_e32 v2, 0, v2
	v_add_f32_e32 v5, v2, v3
	v_mul_lo_u32 v2, v4, s58
	v_mul_lo_u32 v3, v85, s53
	v_add3_u32 v2, v7, v3, v2
	v_mov_b32_e32 v3, 0
	v_lshl_add_u64 v[2:3], v[2:3], 2, v[0:1]
	global_store_dword v[2:3], v5, off
.LBB127_160:
	s_or_b64 exec, exec, s[0:1]
	v_cmp_eq_u32_e32 vcc, 0, v80
	s_and_saveexec_b64 s[0:1], vcc
	s_cbranch_execz .LBB127_163
; %bb.161:
	v_mov_b32_e32 v2, 0x100
	ds_read_b32 v2, v2 offset:48
	v_readlane_b32 s2, v94, 10
	v_readlane_b32 s3, v94, 11
	s_waitcnt lgkmcnt(0)
	v_readfirstlane_b32 s0, v2
	s_cmp_gt_i32 s0, -1
	s_cselect_b64 s[0:1], -1, 0
	s_and_b64 s[0:1], s[0:1], s[2:3]
	s_and_b64 exec, exec, s[0:1]
	s_cbranch_execz .LBB127_163
; %bb.162:
	v_add_u32_e32 v3, 0xa0, v6
	ds_read2st64_b32 v[4:5], v3 offset0:24 offset1:25
	v_mul_lo_u32 v2, v2, s58
	s_mul_i32 s0, s53, 12
	v_add_u32_e32 v2, s0, v2
	v_add_u32_e32 v2, v2, v7
	s_waitcnt lgkmcnt(0)
	v_add_f32_e32 v3, 0, v4
	v_add_f32_e32 v4, v3, v5
	v_mov_b32_e32 v3, 0
	v_lshl_add_u64 v[0:1], v[2:3], 2, v[0:1]
	global_store_dword v[0:1], v4, off
.LBB127_163:
	s_endpgm
	.section	.rodata,"a",@progbits
	.p2align	6, 0x0
	.amdhsa_kernel _ZL9mul_mat_fI15__hip_bfloat162Li64ELi13ELi2ELb1EEvPKT_PKfPKiPfiiiiiiiiiiiiiiii
		.amdhsa_group_segment_fixed_size 256
		.amdhsa_private_segment_fixed_size 0
		.amdhsa_kernarg_size 352
		.amdhsa_user_sgpr_count 2
		.amdhsa_user_sgpr_dispatch_ptr 0
		.amdhsa_user_sgpr_queue_ptr 0
		.amdhsa_user_sgpr_kernarg_segment_ptr 1
		.amdhsa_user_sgpr_dispatch_id 0
		.amdhsa_user_sgpr_kernarg_preload_length 0
		.amdhsa_user_sgpr_kernarg_preload_offset 0
		.amdhsa_user_sgpr_private_segment_size 0
		.amdhsa_uses_dynamic_stack 0
		.amdhsa_enable_private_segment 0
		.amdhsa_system_sgpr_workgroup_id_x 1
		.amdhsa_system_sgpr_workgroup_id_y 1
		.amdhsa_system_sgpr_workgroup_id_z 1
		.amdhsa_system_sgpr_workgroup_info 0
		.amdhsa_system_vgpr_workitem_id 2
		.amdhsa_next_free_vgpr 112
		.amdhsa_next_free_sgpr 100
		.amdhsa_accum_offset 96
		.amdhsa_reserve_vcc 1
		.amdhsa_float_round_mode_32 0
		.amdhsa_float_round_mode_16_64 0
		.amdhsa_float_denorm_mode_32 3
		.amdhsa_float_denorm_mode_16_64 3
		.amdhsa_dx10_clamp 1
		.amdhsa_ieee_mode 1
		.amdhsa_fp16_overflow 0
		.amdhsa_tg_split 0
		.amdhsa_exception_fp_ieee_invalid_op 0
		.amdhsa_exception_fp_denorm_src 0
		.amdhsa_exception_fp_ieee_div_zero 0
		.amdhsa_exception_fp_ieee_overflow 0
		.amdhsa_exception_fp_ieee_underflow 0
		.amdhsa_exception_fp_ieee_inexact 0
		.amdhsa_exception_int_div_zero 0
	.end_amdhsa_kernel
	.section	.text._ZL9mul_mat_fI15__hip_bfloat162Li64ELi13ELi2ELb1EEvPKT_PKfPKiPfiiiiiiiiiiiiiiii,"axG",@progbits,_ZL9mul_mat_fI15__hip_bfloat162Li64ELi13ELi2ELb1EEvPKT_PKfPKiPfiiiiiiiiiiiiiiii,comdat
.Lfunc_end127:
	.size	_ZL9mul_mat_fI15__hip_bfloat162Li64ELi13ELi2ELb1EEvPKT_PKfPKiPfiiiiiiiiiiiiiiii, .Lfunc_end127-_ZL9mul_mat_fI15__hip_bfloat162Li64ELi13ELi2ELb1EEvPKT_PKfPKiPfiiiiiiiiiiiiiiii
                                        ; -- End function
	.set _ZL9mul_mat_fI15__hip_bfloat162Li64ELi13ELi2ELb1EEvPKT_PKfPKiPfiiiiiiiiiiiiiiii.num_vgpr, 95
	.set _ZL9mul_mat_fI15__hip_bfloat162Li64ELi13ELi2ELb1EEvPKT_PKfPKiPfiiiiiiiiiiiiiiii.num_agpr, 16
	.set _ZL9mul_mat_fI15__hip_bfloat162Li64ELi13ELi2ELb1EEvPKT_PKfPKiPfiiiiiiiiiiiiiiii.numbered_sgpr, 100
	.set _ZL9mul_mat_fI15__hip_bfloat162Li64ELi13ELi2ELb1EEvPKT_PKfPKiPfiiiiiiiiiiiiiiii.num_named_barrier, 0
	.set _ZL9mul_mat_fI15__hip_bfloat162Li64ELi13ELi2ELb1EEvPKT_PKfPKiPfiiiiiiiiiiiiiiii.private_seg_size, 0
	.set _ZL9mul_mat_fI15__hip_bfloat162Li64ELi13ELi2ELb1EEvPKT_PKfPKiPfiiiiiiiiiiiiiiii.uses_vcc, 1
	.set _ZL9mul_mat_fI15__hip_bfloat162Li64ELi13ELi2ELb1EEvPKT_PKfPKiPfiiiiiiiiiiiiiiii.uses_flat_scratch, 0
	.set _ZL9mul_mat_fI15__hip_bfloat162Li64ELi13ELi2ELb1EEvPKT_PKfPKiPfiiiiiiiiiiiiiiii.has_dyn_sized_stack, 0
	.set _ZL9mul_mat_fI15__hip_bfloat162Li64ELi13ELi2ELb1EEvPKT_PKfPKiPfiiiiiiiiiiiiiiii.has_recursion, 0
	.set _ZL9mul_mat_fI15__hip_bfloat162Li64ELi13ELi2ELb1EEvPKT_PKfPKiPfiiiiiiiiiiiiiiii.has_indirect_call, 0
	.section	.AMDGPU.csdata,"",@progbits
; Kernel info:
; codeLenInByte = 9832
; TotalNumSgprs: 106
; NumVgprs: 95
; NumAgprs: 16
; TotalNumVgprs: 112
; ScratchSize: 0
; MemoryBound: 0
; FloatMode: 240
; IeeeMode: 1
; LDSByteSize: 256 bytes/workgroup (compile time only)
; SGPRBlocks: 13
; VGPRBlocks: 13
; NumSGPRsForWavesPerEU: 106
; NumVGPRsForWavesPerEU: 112
; AccumOffset: 96
; Occupancy: 4
; WaveLimiterHint : 0
; COMPUTE_PGM_RSRC2:SCRATCH_EN: 0
; COMPUTE_PGM_RSRC2:USER_SGPR: 2
; COMPUTE_PGM_RSRC2:TRAP_HANDLER: 0
; COMPUTE_PGM_RSRC2:TGID_X_EN: 1
; COMPUTE_PGM_RSRC2:TGID_Y_EN: 1
; COMPUTE_PGM_RSRC2:TGID_Z_EN: 1
; COMPUTE_PGM_RSRC2:TIDIG_COMP_CNT: 2
; COMPUTE_PGM_RSRC3_GFX90A:ACCUM_OFFSET: 23
; COMPUTE_PGM_RSRC3_GFX90A:TG_SPLIT: 0
	.section	.text._ZL9mul_mat_fI15__hip_bfloat162Li64ELi13ELi2ELb0EEvPKT_PKfPKiPfiiiiiiiiiiiiiiii,"axG",@progbits,_ZL9mul_mat_fI15__hip_bfloat162Li64ELi13ELi2ELb0EEvPKT_PKfPKiPfiiiiiiiiiiiiiiii,comdat
	.globl	_ZL9mul_mat_fI15__hip_bfloat162Li64ELi13ELi2ELb0EEvPKT_PKfPKiPfiiiiiiiiiiiiiiii ; -- Begin function _ZL9mul_mat_fI15__hip_bfloat162Li64ELi13ELi2ELb0EEvPKT_PKfPKiPfiiiiiiiiiiiiiiii
	.p2align	8
	.type	_ZL9mul_mat_fI15__hip_bfloat162Li64ELi13ELi2ELb0EEvPKT_PKfPKiPfiiiiiiiiiiiiiiii,@function
_ZL9mul_mat_fI15__hip_bfloat162Li64ELi13ELi2ELb0EEvPKT_PKfPKiPfiiiiiiiiiiiiiiii: ; @_ZL9mul_mat_fI15__hip_bfloat162Li64ELi13ELi2ELb0EEvPKT_PKfPKiPfiiiiiiiiiiiiiiii
; %bb.0:
	s_load_dword s5, s[0:1], 0x20
	s_load_dwordx4 s[16:19], s[0:1], 0x2c
	v_bfe_u32 v82, v0, 10, 10
	v_lshlrev_b32_e32 v84, 6, v82
	v_and_b32_e32 v83, 0x3ff, v0
	v_add_u32_e32 v86, v84, v83
	s_waitcnt lgkmcnt(0)
	s_ashr_i32 s19, s4, 31
	v_cmp_le_i32_e32 vcc, s5, v86
	v_and_b32_e32 v85, 15, v83
	s_and_saveexec_b64 s[6:7], vcc
	s_xor_b64 s[6:7], exec, s[6:7]
; %bb.1:
	v_and_b32_e32 v85, 15, v83
                                        ; implicit-def: $vgpr86
; %bb.2:
	s_or_saveexec_b64 s[24:25], s[6:7]
	s_load_dwordx8 s[8:15], s[0:1], 0x40
	s_load_dwordx2 s[6:7], s[0:1], 0x18
	s_lshl_b32 s2, s2, 6
	v_mov_b32_e32 v1, 0
	v_accvgpr_write_b32 a0, 0
	v_accvgpr_write_b32 a1, 0
	;; [unrolled: 1-line block ×16, first 2 shown]
	s_xor_b64 exec, exec, s[24:25]
	s_cbranch_execz .LBB128_6
; %bb.3:
	s_waitcnt lgkmcnt(0)
	s_abs_i32 s26, s8
	v_cvt_f32_u32_e32 v0, s26
	s_abs_i32 s27, s12
	v_cvt_f32_u32_e32 v2, s27
	s_sub_i32 s20, 0, s26
	v_rcp_iflag_f32_e32 v0, v0
	s_abs_i32 s28, s3
	v_rcp_iflag_f32_e32 v2, v2
	s_sub_i32 s21, 0, s27
	v_mul_f32_e32 v0, 0x4f7ffffe, v0
	v_cvt_u32_f32_e32 v0, v0
	v_mul_f32_e32 v2, 0x4f7ffffe, v2
	v_cvt_u32_f32_e32 v2, v2
	s_abs_i32 s29, s4
	v_mul_lo_u32 v3, s20, v0
	v_mul_hi_u32 v3, v0, v3
	v_add_u32_e32 v0, v0, v3
	v_mul_hi_u32 v0, s28, v0
	v_mul_lo_u32 v4, s21, v2
	v_mul_lo_u32 v3, v0, s26
	v_mul_hi_u32 v4, v2, v4
	v_sub_u32_e32 v3, s28, v3
	v_add_u32_e32 v2, v2, v4
	v_subrev_u32_e32 v5, s26, v3
	v_cmp_le_u32_e32 vcc, s26, v3
	v_mul_hi_u32 v2, s29, v2
	v_add_u32_e32 v4, 1, v0
	v_cndmask_b32_e32 v3, v3, v5, vcc
	v_cndmask_b32_e32 v0, v0, v4, vcc
	v_cmp_le_u32_e32 vcc, s26, v3
	v_mul_lo_u32 v3, v2, s27
	s_load_dwordx4 s[20:23], s[0:1], 0x0
	s_ashr_i32 s0, s3, 31
	s_ashr_i32 s1, s8, 31
	v_add_u32_e32 v4, 1, v0
	v_sub_u32_e32 v3, s29, v3
	s_xor_b32 s0, s0, s1
	v_cndmask_b32_e32 v0, v0, v4, vcc
	v_add_u32_e32 v4, 1, v2
	v_subrev_u32_e32 v5, s27, v3
	v_cmp_le_u32_e32 vcc, s27, v3
	v_xor_b32_e32 v0, s0, v0
	s_ashr_i32 s8, s12, 31
	v_cndmask_b32_e32 v2, v2, v4, vcc
	v_cndmask_b32_e32 v3, v3, v5, vcc
	v_subrev_u32_e32 v0, s0, v0
	v_add_u32_e32 v4, 1, v2
	v_cmp_le_u32_e32 vcc, s27, v3
	s_xor_b32 s0, s19, s8
	s_mul_i32 s8, s14, s4
	v_cndmask_b32_e32 v2, v2, v4, vcc
	v_mul_lo_u32 v4, v0, s9
	s_mul_hi_i32 s9, s14, s4
	v_xor_b32_e32 v2, s0, v2
	s_lshl_b64 s[26:27], s[8:9], 2
	v_subrev_u32_e32 v2, s0, v2
	s_mul_i32 s0, s16, s2
	s_mul_i32 s28, s10, s3
	s_waitcnt lgkmcnt(0)
	s_add_u32 s8, s22, s26
	v_mul_hi_i32 v3, v2, s13
	v_mul_lo_u32 v2, v2, s13
	s_addc_u32 s9, s23, s27
	s_ashr_i32 s1, s0, 31
	s_ashr_i32 s29, s28, 31
	v_ashrrev_i32_e32 v5, 31, v4
	v_lshlrev_b64 v[6:7], 2, v[2:3]
	s_lshl_b64 s[12:13], s[0:1], 2
	s_lshl_b64 s[28:29], s[28:29], 2
	v_lshl_add_u64 v[2:3], s[20:21], 0, v[6:7]
	v_lshlrev_b64 v[4:5], 2, v[4:5]
	s_add_u32 s0, s8, s28
	s_movk_i32 s8, 0x1080
	v_lshrrev_b32_e32 v10, 1, v83
	v_lshl_add_u64 v[2:3], v[2:3], 0, v[4:5]
	v_mad_u32_u24 v0, v82, s8, 0
	v_lshlrev_b32_e32 v8, 2, v83
	v_mul_u32_u24_e32 v9, 0x108, v85
	v_and_b32_e32 v10, 0x1f8, v10
	v_lshl_add_u64 v[4:5], v[4:5], 0, s[12:13]
	s_addc_u32 s1, s9, s29
	v_add_u32_e32 v87, v0, v8
	v_add3_u32 v88, v0, v9, v10
	s_ashr_i32 s9, s16, 31
	s_mov_b32 s8, s16
	s_ashr_i32 s31, s17, 31
	s_mov_b32 s30, s17
	v_lshlrev_b32_e32 v0, 8, v82
	v_lshl_add_u64 v[4:5], v[4:5], 0, v[6:7]
	v_lshl_add_u64 v[2:3], v[2:3], 0, s[12:13]
	s_add_i32 s10, s16, s16
	s_add_i32 s14, s17, s17
	s_lshl_b32 s33, s17, 2
	s_lshl_b32 s37, s17, 3
	;; [unrolled: 1-line block ×6, first 2 shown]
	s_lshl_b64 s[8:9], s[8:9], 2
	s_lshl_b64 s[12:13], s[30:31], 3
	v_lshl_add_u64 v[4:5], v[4:5], 0, v[0:1]
	v_lshlrev_b32_e32 v0, 9, v82
	s_add_u32 s22, s22, s28
	v_mov_b32_e32 v9, v1
	v_lshl_add_u64 v[6:7], s[26:27], 0, v[0:1]
	v_lshlrev_b32_e32 v0, 3, v83
	s_addc_u32 s23, s23, s29
	v_lshl_add_u64 v[4:5], v[4:5], 0, v[8:9]
	v_lshl_add_u64 v[6:7], v[6:7], 0, v[0:1]
	s_mul_i32 s19, s17, 3
	s_mul_i32 s34, s17, 5
	;; [unrolled: 1-line block ×39, first 2 shown]
	v_lshl_add_u64 v[4:5], s[20:21], 0, v[4:5]
	s_mul_i32 s30, s16, 38
	s_mul_i32 s31, s16, 39
	;; [unrolled: 1-line block ×6, first 2 shown]
	v_lshl_add_u64 v[6:7], s[22:23], 0, v[6:7]
	s_mul_i32 s77, s16, 44
	s_mul_i32 s78, s16, 45
	v_accvgpr_write_b32 a15, 0
	v_accvgpr_write_b32 a14, 0
	;; [unrolled: 1-line block ×16, first 2 shown]
	s_mul_i32 s79, s16, 46
	s_mul_i32 s80, s16, 47
	;; [unrolled: 1-line block ×18, first 2 shown]
	s_mov_b64 s[16:17], 0
	s_mov_b64 s[20:21], 0x200
	;; [unrolled: 1-line block ×3, first 2 shown]
.LBB128_4:                              ; =>This Inner Loop Header: Depth=1
	v_add_u32_e32 v80, s10, v86
	v_add_u32_e32 v10, s42, v86
	;; [unrolled: 1-line block ×3, first 2 shown]
	v_lshl_add_u64 v[8:9], v[4:5], 0, s[8:9]
	v_add_u32_e32 v12, s44, v86
	v_add_u32_e32 v76, s45, v86
	v_ashrrev_i32_e32 v81, 31, v80
	v_ashrrev_i32_e32 v11, 31, v10
	;; [unrolled: 1-line block ×3, first 2 shown]
	v_add_u32_e32 v14, s46, v86
	v_add_u32_e32 v74, s47, v86
	global_load_dword v89, v[8:9], off
	v_lshl_add_u64 v[8:9], v[80:81], 2, v[2:3]
	v_lshl_add_u64 v[10:11], v[10:11], 2, v[2:3]
	;; [unrolled: 1-line block ×3, first 2 shown]
	v_ashrrev_i32_e32 v13, 31, v12
	v_ashrrev_i32_e32 v77, 31, v76
	v_add_u32_e32 v18, s48, v86
	v_add_u32_e32 v72, s49, v86
	global_load_dword v80, v[8:9], off
	global_load_dword v79, v[10:11], off
	;; [unrolled: 1-line block ×3, first 2 shown]
	v_lshl_add_u64 v[12:13], v[12:13], 2, v[2:3]
	v_lshl_add_u64 v[90:91], v[76:77], 2, v[2:3]
	v_ashrrev_i32_e32 v15, 31, v14
	v_ashrrev_i32_e32 v75, 31, v74
	v_add_u32_e32 v40, s50, v86
	v_add_u32_e32 v70, s51, v86
	global_load_dword v77, v[12:13], off
	global_load_dword v76, v[90:91], off
	v_lshl_add_u64 v[14:15], v[14:15], 2, v[2:3]
	v_lshl_add_u64 v[90:91], v[74:75], 2, v[2:3]
	v_ashrrev_i32_e32 v19, 31, v18
	v_ashrrev_i32_e32 v73, 31, v72
	v_add_u32_e32 v44, s52, v86
	v_add_u32_e32 v68, s53, v86
	global_load_dword v75, v[14:15], off
	global_load_dword v74, v[90:91], off
	;; [unrolled: 8-line block ×10, first 2 shown]
	v_lshl_add_u64 v[42:43], v[42:43], 2, v[2:3]
	v_lshl_add_u64 v[90:91], v[46:47], 2, v[2:3]
	v_ashrrev_i32_e32 v31, 31, v30
	v_ashrrev_i32_e32 v39, 31, v38
	v_add_u32_e32 v16, s70, v86
	v_add_u32_e32 v32, s71, v86
	;; [unrolled: 1-line block ×8, first 2 shown]
	global_load_dword v46, v[42:43], off
	global_load_dword v47, v[90:91], off
	v_lshl_add_u64 v[30:31], v[30:31], 2, v[2:3]
	v_lshl_add_u64 v[90:91], v[38:39], 2, v[2:3]
	v_ashrrev_i32_e32 v21, 31, v20
	v_ashrrev_i32_e32 v29, 31, v28
	v_add_u32_e32 v36, s28, v86
	v_add_u32_e32 v12, s75, v86
	;; [unrolled: 1-line block ×3, first 2 shown]
	global_load_dword v38, v[30:31], off
	global_load_dword v39, v[90:91], off
	v_lshl_add_u64 v[20:21], v[20:21], 2, v[2:3]
	v_lshl_add_u64 v[90:91], v[28:29], 2, v[2:3]
	v_ashrrev_i32_e32 v17, 31, v16
	v_ashrrev_i32_e32 v33, 31, v32
	;; [unrolled: 1-line block ×8, first 2 shown]
	v_add_u32_e32 v18, s26, v86
	v_add_u32_e32 v40, s27, v86
	global_load_dword v28, v[20:21], off
	global_load_dword v29, v[90:91], off
	v_lshl_add_u64 v[16:17], v[16:17], 2, v[2:3]
	v_lshl_add_u64 v[90:91], v[32:33], 2, v[2:3]
	;; [unrolled: 1-line block ×4, first 2 shown]
	v_ashrrev_i32_e32 v37, 31, v36
	v_lshl_add_u64 v[24:25], v[24:25], 2, v[2:3]
	v_lshl_add_u64 v[26:27], v[26:27], 2, v[2:3]
	;; [unrolled: 1-line block ×4, first 2 shown]
	v_ashrrev_i32_e32 v13, 31, v12
	v_ashrrev_i32_e32 v15, 31, v14
	v_add_u32_e32 v44, s77, v86
	v_add_u32_e32 v52, s78, v86
	global_load_dword v32, v[16:17], off
	global_load_dword v69, v[90:91], off
	;; [unrolled: 1-line block ×3, first 2 shown]
	s_nop 0
	global_load_dword v90, v[34:35], off
	v_lshl_add_u64 v[34:35], v[36:37], 2, v[2:3]
	global_load_dword v91, v[24:25], off
	global_load_dword v92, v[34:35], off
	s_nop 0
	global_load_dword v26, v[26:27], off
	s_nop 0
	global_load_dword v33, v[4:5], off
	global_load_dword v27, v[8:9], off
	;; [unrolled: 1-line block ×3, first 2 shown]
	s_nop 0
	global_load_dwordx2 v[8:9], v[6:7], off
	v_lshl_add_u64 v[10:11], v[12:13], 2, v[2:3]
	v_lshl_add_u64 v[12:13], v[14:15], 2, v[2:3]
	v_ashrrev_i32_e32 v19, 31, v18
	v_ashrrev_i32_e32 v41, 31, v40
	v_add_u32_e32 v56, s79, v86
	v_add_u32_e32 v60, s80, v86
	global_load_dword v94, v[10:11], off
	global_load_dword v95, v[12:13], off
	v_lshl_add_u64 v[12:13], v[18:19], 2, v[2:3]
	v_lshl_add_u64 v[14:15], v[40:41], 2, v[2:3]
	v_ashrrev_i32_e32 v45, 31, v44
	v_ashrrev_i32_e32 v53, 31, v52
	v_add_u32_e32 v54, s81, v86
	v_add_u32_e32 v48, s82, v86
	global_load_dword v96, v[12:13], off
	global_load_dword v97, v[14:15], off
	v_lshl_add_u64 v[14:15], v[44:45], 2, v[2:3]
	v_lshl_add_u64 v[18:19], v[52:53], 2, v[2:3]
	v_ashrrev_i32_e32 v57, 31, v56
	v_ashrrev_i32_e32 v61, 31, v60
	v_add_u32_e32 v42, s83, v86
	v_add_u32_e32 v30, s84, v86
	;; [unrolled: 1-line block ×4, first 2 shown]
	global_load_dword v44, v[14:15], off
	global_load_dword v45, v[18:19], off
	v_lshl_add_u64 v[18:19], v[56:57], 2, v[2:3]
	v_lshl_add_u64 v[34:35], v[60:61], 2, v[2:3]
	v_ashrrev_i32_e32 v55, 31, v54
	v_ashrrev_i32_e32 v49, 31, v48
	v_add_u32_e32 v22, s87, v86
	v_add_u32_e32 v10, s89, v86
	v_add_u32_e32 v12, s90, v86
	global_load_dword v52, v[18:19], off
	global_load_dword v53, v[34:35], off
	v_lshl_add_u64 v[34:35], v[54:55], 2, v[2:3]
	v_lshl_add_u64 v[36:37], v[48:49], 2, v[2:3]
	v_ashrrev_i32_e32 v43, 31, v42
	v_ashrrev_i32_e32 v31, 31, v30
	;; [unrolled: 1-line block ×4, first 2 shown]
	v_add_u32_e32 v24, s88, v86
	v_add_u32_e32 v14, s91, v86
	;; [unrolled: 1-line block ×3, first 2 shown]
	global_load_dword v56, v[34:35], off
	global_load_dword v57, v[36:37], off
	v_lshl_add_u64 v[36:37], v[42:43], 2, v[2:3]
	v_lshl_add_u64 v[30:31], v[30:31], 2, v[2:3]
	;; [unrolled: 1-line block ×4, first 2 shown]
	v_ashrrev_i32_e32 v23, 31, v22
	v_ashrrev_i32_e32 v11, 31, v10
	;; [unrolled: 1-line block ×3, first 2 shown]
	v_add_u32_e32 v34, s93, v86
	global_load_dword v42, v[36:37], off
	global_load_dword v43, v[30:31], off
	v_add_u32_e32 v30, s94, v86
	global_load_dword v98, v[20:21], off
	global_load_dword v99, v[16:17], off
	v_add_u32_e32 v16, s95, v86
	v_ashrrev_i32_e32 v25, 31, v24
	v_lshl_add_u64 v[20:21], v[22:23], 2, v[2:3]
	v_lshl_add_u64 v[10:11], v[10:11], 2, v[2:3]
	;; [unrolled: 1-line block ×3, first 2 shown]
	v_ashrrev_i32_e32 v15, 31, v14
	v_ashrrev_i32_e32 v19, 31, v18
	v_lshl_add_u64 v[22:23], v[24:25], 2, v[2:3]
	global_load_dword v100, v[20:21], off
	global_load_dword v101, v[22:23], off
	v_add_u32_e32 v20, s96, v86
	global_load_dword v102, v[10:11], off
	global_load_dword v103, v[12:13], off
	v_lshl_add_u64 v[12:13], v[14:15], 2, v[2:3]
	v_lshl_add_u64 v[14:15], v[18:19], 2, v[2:3]
	v_ashrrev_i32_e32 v35, 31, v34
	v_ashrrev_i32_e32 v31, 31, v30
	;; [unrolled: 1-line block ×3, first 2 shown]
	v_lshl_add_u64 v[10:11], v[6:7], 0, s[12:13]
	global_load_dword v104, v[12:13], off
	global_load_dword v105, v[14:15], off
	v_lshl_add_u64 v[14:15], v[34:35], 2, v[2:3]
	v_lshl_add_u64 v[18:19], v[30:31], 2, v[2:3]
	v_ashrrev_i32_e32 v21, 31, v20
	v_lshl_add_u64 v[16:17], v[16:17], 2, v[2:3]
	global_load_dword v106, v[14:15], off
	global_load_dword v107, v[18:19], off
	v_lshl_add_u64 v[18:19], v[20:21], 2, v[2:3]
	global_load_dword v108, v[16:17], off
	global_load_dword v109, v[18:19], off
	v_add_u32_e32 v12, s14, v86
	global_load_dwordx2 v[10:11], v[10:11], off
	v_add_u32_e32 v14, s19, v86
	v_add_u32_e32 v16, s33, v86
	s_waitcnt vmcnt(25)
	v_cvt_pk_bf16_f32 v110, v8, v9
	v_add_u32_e32 v8, s34, v86
	ds_write_b32 v87, v89 offset:264
	v_add_u32_e32 v18, s36, v86
	v_add_u32_e32 v20, s37, v86
	;; [unrolled: 1-line block ×6, first 2 shown]
	v_ashrrev_i32_e32 v13, 31, v12
	v_ashrrev_i32_e32 v15, 31, v14
	;; [unrolled: 1-line block ×10, first 2 shown]
	ds_write_b32 v87, v33
	ds_write_b32 v87, v80 offset:528
	ds_write_b32 v87, v79 offset:792
	;; [unrolled: 1-line block ×12, first 2 shown]
	v_lshl_add_u64 v[12:13], v[12:13], 3, s[0:1]
	v_lshl_add_u64 v[14:15], v[14:15], 3, s[0:1]
	v_lshl_add_u64 v[16:17], v[16:17], 3, s[0:1]
	v_lshl_add_u64 v[8:9], v[8:9], 3, s[0:1]
	v_lshl_add_u64 v[18:19], v[18:19], 3, s[0:1]
	v_lshl_add_u64 v[20:21], v[20:21], 3, s[0:1]
	v_lshl_add_u64 v[22:23], v[22:23], 3, s[0:1]
	v_lshl_add_u64 v[24:25], v[24:25], 3, s[0:1]
	v_lshl_add_u64 v[30:31], v[30:31], 3, s[0:1]
	v_lshl_add_u64 v[34:35], v[34:35], 3, s[0:1]
	v_accvgpr_mov_b32 a17, a3
	v_accvgpr_mov_b32 a16, a2
	v_lshl_add_u64 v[4:5], v[4:5], 0, s[20:21]
	v_lshl_add_u64 v[6:7], v[6:7], 0, s[22:23]
	s_waitcnt vmcnt(0)
	v_cvt_pk_bf16_f32 v89, v10, v11
	v_add_u32_e32 v10, s35, v86
	v_ashrrev_i32_e32 v11, 31, v10
	v_lshl_add_u64 v[10:11], v[10:11], 3, s[0:1]
	global_load_dwordx2 v[12:13], v[12:13], off
	s_nop 0
	global_load_dwordx2 v[14:15], v[14:15], off
	s_nop 0
	;; [unrolled: 2-line block ×10, first 2 shown]
	global_load_dwordx2 v[34:35], v[34:35], off
	ds_write_b32 v87, v0 offset:3696
	ds_write_b32 v87, v67 offset:3960
	v_add_u32_e32 v86, 0x80, v86
	v_cmp_le_i32_e32 vcc, s5, v86
	s_or_b64 s[16:17], vcc, s[16:17]
	s_waitcnt vmcnt(10)
	v_cvt_pk_bf16_f32 v0, v12, v13
	s_waitcnt vmcnt(9)
	v_cvt_pk_bf16_f32 v72, v14, v15
	;; [unrolled: 2-line block ×9, first 2 shown]
	ds_read_b64 v[54:55], v88
	ds_read_b64 v[40:41], v88 offset:32
	ds_read_b64 v[36:37], v88 offset:64
	;; [unrolled: 1-line block ×7, first 2 shown]
	ds_write_b32 v87, v66
	ds_write_b32 v87, v64 offset:264
	ds_write_b32 v87, v65 offset:528
	ds_write_b32 v87, v62 offset:792
	ds_write_b32 v87, v63 offset:1056
	ds_write_b32 v87, v58 offset:1320
	ds_write_b32 v87, v59 offset:1584
	ds_write_b32 v87, v50 offset:1848
	ds_write_b32 v87, v51 offset:2112
	ds_write_b32 v87, v46 offset:2376
	ds_write_b32 v87, v47 offset:2640
	ds_write_b32 v87, v38 offset:2904
	ds_write_b32 v87, v39 offset:3168
	ds_write_b32 v87, v28 offset:3432
	ds_write_b32 v87, v29 offset:3696
	ds_write_b32 v87, v32 offset:3960
	s_waitcnt vmcnt(0)
	v_cvt_pk_bf16_f32 v111, v34, v35
	ds_read_b64 v[62:63], v88
	ds_read_b64 v[50:51], v88 offset:32
	ds_read_b64 v[48:49], v88 offset:64
	;; [unrolled: 1-line block ×7, first 2 shown]
	ds_write_b32 v87, v69
	ds_write_b32 v87, v81 offset:264
	ds_write_b32 v87, v90 offset:528
	;; [unrolled: 1-line block ×15, first 2 shown]
	v_cvt_pk_bf16_f32 v80, v30, v31
	ds_read_b64 v[68:69], v88
	ds_read_b64 v[60:61], v88 offset:32
	ds_read_b64 v[58:59], v88 offset:64
	;; [unrolled: 1-line block ×7, first 2 shown]
	ds_write_b32 v87, v56
	ds_write_b32 v87, v57 offset:264
	ds_write_b32 v87, v42 offset:528
	;; [unrolled: 1-line block ×15, first 2 shown]
	ds_read_b64 v[70:71], v88
	ds_read_b64 v[66:67], v88 offset:32
	ds_read_b64 v[64:65], v88 offset:64
	;; [unrolled: 1-line block ×7, first 2 shown]
	ds_write_b32 v87, v110
	ds_write_b32 v87, v89 offset:264
	ds_write_b32 v87, v0 offset:528
	;; [unrolled: 1-line block ×15, first 2 shown]
	ds_read_b64 v[72:73], v88
	v_accvgpr_read_b32 v91, a9
	v_accvgpr_read_b32 v90, a8
	v_accvgpr_read_b32 v97, a7
	v_accvgpr_read_b32 v96, a6
	v_accvgpr_mov_b32 a6, a12
	v_accvgpr_mov_b32 a7, a13
	;; [unrolled: 1-line block ×4, first 2 shown]
	v_accvgpr_read_b32 v94, a4
	v_accvgpr_read_b32 v95, a5
	s_waitcnt lgkmcnt(0)
	v_mfma_f32_16x16x16_bf16 a[6:9], v[54:55], v[72:73], a[6:9]
	ds_read_b64 v[54:55], v88 offset:32
	v_accvgpr_write_b32 a2, v94
	v_accvgpr_read_b32 v93, a11
	v_accvgpr_read_b32 v92, a10
	v_accvgpr_write_b32 a10, v90
	v_accvgpr_write_b32 a3, v95
	;; [unrolled: 1-line block ×4, first 2 shown]
	s_waitcnt lgkmcnt(0)
	v_mfma_f32_16x16x16_bf16 a[6:9], v[40:41], v[54:55], a[6:9]
	ds_read_b64 v[40:41], v88 offset:64
	v_accvgpr_write_b32 a11, v91
	v_accvgpr_write_b32 a12, v92
	;; [unrolled: 1-line block ×3, first 2 shown]
	v_mfma_f32_16x16x16_bf16 a[2:5], v[68:69], v[72:73], a[2:5]
	v_accvgpr_mov_b32 a15, a1
	v_accvgpr_mov_b32 a14, a0
	v_mfma_f32_16x16x16_bf16 a[10:13], v[62:63], v[72:73], a[10:13]
	s_nop 0
	v_mfma_f32_16x16x16_bf16 a[14:17], v[70:71], v[72:73], a[14:17]
	v_mfma_f32_16x16x16_bf16 a[0:3], v[60:61], v[54:55], a[2:5]
	s_waitcnt lgkmcnt(0)
	v_mfma_f32_16x16x16_bf16 a[4:7], v[36:37], v[40:41], a[6:9]
	ds_read_b64 v[36:37], v88 offset:96
	v_mfma_f32_16x16x16_bf16 a[10:13], v[50:51], v[54:55], a[10:13]
	v_mfma_f32_16x16x16_bf16 a[14:17], v[66:67], v[54:55], a[14:17]
	;; [unrolled: 1-line block ×5, first 2 shown]
	s_waitcnt lgkmcnt(0)
	v_mfma_f32_16x16x16_bf16 a[4:7], v[24:25], v[36:37], a[4:7]
	ds_read_b64 v[24:25], v88 offset:128
	v_mfma_f32_16x16x16_bf16 a[8:11], v[34:35], v[36:37], a[8:11]
	v_mfma_f32_16x16x16_bf16 a[0:3], v[46:47], v[36:37], a[0:3]
	v_mfma_f32_16x16x16_bf16 a[12:15], v[56:57], v[36:37], a[12:15]
	s_waitcnt lgkmcnt(0)
	v_mfma_f32_16x16x16_bf16 a[4:7], v[22:23], v[24:25], a[4:7]
	ds_read_b64 v[22:23], v88 offset:160
	v_mfma_f32_16x16x16_bf16 a[8:11], v[32:33], v[24:25], a[8:11]
	v_mfma_f32_16x16x16_bf16 a[0:3], v[44:45], v[24:25], a[0:3]
	v_mfma_f32_16x16x16_bf16 a[12:15], v[52:53], v[24:25], a[12:15]
	;; [unrolled: 6-line block ×4, first 2 shown]
	s_waitcnt lgkmcnt(0)
	v_mfma_f32_16x16x16_bf16 a[12:15], v[8:9], v[10:11], a[4:7]
	v_mfma_f32_16x16x16_bf16 a[8:11], v[12:13], v[10:11], a[8:11]
	;; [unrolled: 1-line block ×4, first 2 shown]
	s_andn2_b64 exec, exec, s[16:17]
	s_cbranch_execnz .LBB128_4
; %bb.5:
	s_or_b64 exec, exec, s[16:17]
.LBB128_6:
	s_or_b64 exec, exec, s[24:25]
	v_lshl_add_u32 v0, v84, 2, 0
	v_mul_u32_u24_e32 v1, 0x208, v85
	v_and_b32_e32 v2, 0x3f0, v83
	v_add3_u32 v0, v0, v1, v2
	v_accvgpr_read_b32 v1, a13
	v_accvgpr_read_b32 v2, a12
	s_waitcnt lgkmcnt(0)
	s_barrier
	ds_write2_b32 v0, v2, v1 offset1:1
	v_accvgpr_read_b32 v1, a15
	v_accvgpr_read_b32 v2, a14
	ds_write2_b32 v0, v2, v1 offset0:2 offset1:3
	v_accvgpr_read_b32 v1, a9
	v_accvgpr_read_b32 v2, a8
	ds_write2_b32 v0, v2, v1 offset0:16 offset1:17
	;; [unrolled: 3-line block ×4, first 2 shown]
	v_accvgpr_read_b32 v1, a7
	v_accvgpr_read_b32 v2, a6
	s_mul_hi_i32 s1, s15, s4
	s_mul_i32 s0, s15, s4
	ds_write2_b32 v0, v2, v1 offset0:34 offset1:35
	v_accvgpr_read_b32 v1, a1
	v_accvgpr_read_b32 v2, a0
	s_lshl_b64 s[0:1], s[0:1], 2
	ds_write2_b32 v0, v2, v1 offset0:48 offset1:49
	v_accvgpr_read_b32 v1, a3
	v_accvgpr_read_b32 v2, a2
	s_mul_i32 s4, s11, s3
	s_add_u32 s3, s6, s0
	s_movk_i32 s0, 0x208
	ds_write2_b32 v0, v2, v1 offset0:50 offset1:51
	v_lshl_add_u32 v1, v83, 2, 0
	v_mad_u32_u24 v8, v82, s0, v1
	s_waitcnt lgkmcnt(0)
	s_barrier
	ds_read2st64_b32 v[2:3], v8 offset1:1
	s_addc_u32 s6, s7, s1
	s_ashr_i32 s5, s4, 31
	s_lshl_b64 s[0:1], s[4:5], 2
	v_add_u32_e32 v0, s2, v83
	s_waitcnt lgkmcnt(0)
	v_add_f32_e32 v2, 0, v2
	v_add_f32_e32 v9, v2, v3
	v_add_u32_e32 v2, 16, v8
	ds_read2st64_b32 v[4:5], v2 offset0:4 offset1:5
	s_add_u32 s0, s3, s0
	v_mad_u64_u32 v[2:3], s[2:3], v82, s18, v[0:1]
	s_addc_u32 s1, s6, s1
	v_mov_b32_e32 v3, 0
	v_lshl_add_u64 v[6:7], v[2:3], 2, s[0:1]
	s_waitcnt lgkmcnt(0)
	v_add_f32_e32 v4, 0, v4
	s_lshl_b32 s2, s18, 1
	global_store_dword v[6:7], v9, off
	v_add_f32_e32 v9, v4, v5
	v_add_u32_e32 v4, 32, v8
	v_add_u32_e32 v2, s2, v2
	ds_read2st64_b32 v[4:5], v4 offset0:8 offset1:9
	v_lshl_add_u64 v[6:7], v[2:3], 2, s[0:1]
	global_store_dword v[6:7], v9, off
	v_add_u32_e32 v6, 48, v8
	ds_read2st64_b32 v[6:7], v6 offset0:12 offset1:13
	s_waitcnt lgkmcnt(1)
	v_add_f32_e32 v4, 0, v4
	v_add_u32_e32 v2, s2, v2
	v_add_f32_e32 v9, v4, v5
	v_lshl_add_u64 v[4:5], v[2:3], 2, s[0:1]
	global_store_dword v[4:5], v9, off
	s_waitcnt lgkmcnt(0)
	v_add_f32_e32 v6, 0, v6
	v_add_u32_e32 v4, 64, v8
	v_add_u32_e32 v2, s2, v2
	ds_read2st64_b32 v[4:5], v4 offset0:16 offset1:17
	v_add_f32_e32 v9, v6, v7
	v_lshl_add_u64 v[6:7], v[2:3], 2, s[0:1]
	global_store_dword v[6:7], v9, off
	v_add_u32_e32 v6, 0x50, v8
	ds_read2st64_b32 v[6:7], v6 offset0:20 offset1:21
	s_waitcnt lgkmcnt(1)
	v_add_f32_e32 v4, 0, v4
	v_add_u32_e32 v2, s2, v2
	v_add_f32_e32 v8, v4, v5
	v_lshl_add_u64 v[4:5], v[2:3], 2, s[0:1]
	global_store_dword v[4:5], v8, off
	s_waitcnt lgkmcnt(0)
	v_add_f32_e32 v4, 0, v6
	v_add_u32_e32 v2, s2, v2
	v_add_f32_e32 v6, v4, v7
	v_lshl_add_u64 v[4:5], v[2:3], 2, s[0:1]
	v_cmp_eq_u32_e32 vcc, 0, v82
	global_store_dword v[4:5], v6, off
	s_and_saveexec_b64 s[2:3], vcc
	s_cbranch_execz .LBB128_8
; %bb.7:
	v_add_u32_e32 v1, 0x60, v1
	ds_read2st64_b32 v[4:5], v1 offset0:24 offset1:25
	v_mad_u64_u32 v[0:1], s[2:3], s18, 12, v[0:1]
	v_mov_b32_e32 v1, v3
	v_lshl_add_u64 v[0:1], v[0:1], 2, s[0:1]
	s_waitcnt lgkmcnt(0)
	v_add_f32_e32 v2, 0, v4
	v_add_f32_e32 v2, v2, v5
	global_store_dword v[0:1], v2, off
.LBB128_8:
	s_endpgm
	.section	.rodata,"a",@progbits
	.p2align	6, 0x0
	.amdhsa_kernel _ZL9mul_mat_fI15__hip_bfloat162Li64ELi13ELi2ELb0EEvPKT_PKfPKiPfiiiiiiiiiiiiiiii
		.amdhsa_group_segment_fixed_size 0
		.amdhsa_private_segment_fixed_size 0
		.amdhsa_kernarg_size 96
		.amdhsa_user_sgpr_count 2
		.amdhsa_user_sgpr_dispatch_ptr 0
		.amdhsa_user_sgpr_queue_ptr 0
		.amdhsa_user_sgpr_kernarg_segment_ptr 1
		.amdhsa_user_sgpr_dispatch_id 0
		.amdhsa_user_sgpr_kernarg_preload_length 0
		.amdhsa_user_sgpr_kernarg_preload_offset 0
		.amdhsa_user_sgpr_private_segment_size 0
		.amdhsa_uses_dynamic_stack 0
		.amdhsa_enable_private_segment 0
		.amdhsa_system_sgpr_workgroup_id_x 1
		.amdhsa_system_sgpr_workgroup_id_y 1
		.amdhsa_system_sgpr_workgroup_id_z 1
		.amdhsa_system_sgpr_workgroup_info 0
		.amdhsa_system_vgpr_workitem_id 1
		.amdhsa_next_free_vgpr 132
		.amdhsa_next_free_sgpr 97
		.amdhsa_accum_offset 112
		.amdhsa_reserve_vcc 1
		.amdhsa_float_round_mode_32 0
		.amdhsa_float_round_mode_16_64 0
		.amdhsa_float_denorm_mode_32 3
		.amdhsa_float_denorm_mode_16_64 3
		.amdhsa_dx10_clamp 1
		.amdhsa_ieee_mode 1
		.amdhsa_fp16_overflow 0
		.amdhsa_tg_split 0
		.amdhsa_exception_fp_ieee_invalid_op 0
		.amdhsa_exception_fp_denorm_src 0
		.amdhsa_exception_fp_ieee_div_zero 0
		.amdhsa_exception_fp_ieee_overflow 0
		.amdhsa_exception_fp_ieee_underflow 0
		.amdhsa_exception_fp_ieee_inexact 0
		.amdhsa_exception_int_div_zero 0
	.end_amdhsa_kernel
	.section	.text._ZL9mul_mat_fI15__hip_bfloat162Li64ELi13ELi2ELb0EEvPKT_PKfPKiPfiiiiiiiiiiiiiiii,"axG",@progbits,_ZL9mul_mat_fI15__hip_bfloat162Li64ELi13ELi2ELb0EEvPKT_PKfPKiPfiiiiiiiiiiiiiiii,comdat
.Lfunc_end128:
	.size	_ZL9mul_mat_fI15__hip_bfloat162Li64ELi13ELi2ELb0EEvPKT_PKfPKiPfiiiiiiiiiiiiiiii, .Lfunc_end128-_ZL9mul_mat_fI15__hip_bfloat162Li64ELi13ELi2ELb0EEvPKT_PKfPKiPfiiiiiiiiiiiiiiii
                                        ; -- End function
	.set _ZL9mul_mat_fI15__hip_bfloat162Li64ELi13ELi2ELb0EEvPKT_PKfPKiPfiiiiiiiiiiiiiiii.num_vgpr, 112
	.set _ZL9mul_mat_fI15__hip_bfloat162Li64ELi13ELi2ELb0EEvPKT_PKfPKiPfiiiiiiiiiiiiiiii.num_agpr, 20
	.set _ZL9mul_mat_fI15__hip_bfloat162Li64ELi13ELi2ELb0EEvPKT_PKfPKiPfiiiiiiiiiiiiiiii.numbered_sgpr, 97
	.set _ZL9mul_mat_fI15__hip_bfloat162Li64ELi13ELi2ELb0EEvPKT_PKfPKiPfiiiiiiiiiiiiiiii.num_named_barrier, 0
	.set _ZL9mul_mat_fI15__hip_bfloat162Li64ELi13ELi2ELb0EEvPKT_PKfPKiPfiiiiiiiiiiiiiiii.private_seg_size, 0
	.set _ZL9mul_mat_fI15__hip_bfloat162Li64ELi13ELi2ELb0EEvPKT_PKfPKiPfiiiiiiiiiiiiiiii.uses_vcc, 1
	.set _ZL9mul_mat_fI15__hip_bfloat162Li64ELi13ELi2ELb0EEvPKT_PKfPKiPfiiiiiiiiiiiiiiii.uses_flat_scratch, 0
	.set _ZL9mul_mat_fI15__hip_bfloat162Li64ELi13ELi2ELb0EEvPKT_PKfPKiPfiiiiiiiiiiiiiiii.has_dyn_sized_stack, 0
	.set _ZL9mul_mat_fI15__hip_bfloat162Li64ELi13ELi2ELb0EEvPKT_PKfPKiPfiiiiiiiiiiiiiiii.has_recursion, 0
	.set _ZL9mul_mat_fI15__hip_bfloat162Li64ELi13ELi2ELb0EEvPKT_PKfPKiPfiiiiiiiiiiiiiiii.has_indirect_call, 0
	.section	.AMDGPU.csdata,"",@progbits
; Kernel info:
; codeLenInByte = 5332
; TotalNumSgprs: 103
; NumVgprs: 112
; NumAgprs: 20
; TotalNumVgprs: 132
; ScratchSize: 0
; MemoryBound: 0
; FloatMode: 240
; IeeeMode: 1
; LDSByteSize: 0 bytes/workgroup (compile time only)
; SGPRBlocks: 12
; VGPRBlocks: 16
; NumSGPRsForWavesPerEU: 103
; NumVGPRsForWavesPerEU: 132
; AccumOffset: 112
; Occupancy: 3
; WaveLimiterHint : 0
; COMPUTE_PGM_RSRC2:SCRATCH_EN: 0
; COMPUTE_PGM_RSRC2:USER_SGPR: 2
; COMPUTE_PGM_RSRC2:TRAP_HANDLER: 0
; COMPUTE_PGM_RSRC2:TGID_X_EN: 1
; COMPUTE_PGM_RSRC2:TGID_Y_EN: 1
; COMPUTE_PGM_RSRC2:TGID_Z_EN: 1
; COMPUTE_PGM_RSRC2:TIDIG_COMP_CNT: 1
; COMPUTE_PGM_RSRC3_GFX90A:ACCUM_OFFSET: 27
; COMPUTE_PGM_RSRC3_GFX90A:TG_SPLIT: 0
	.section	.text._ZL13mul_mat_f_idsI15__hip_bfloat162Li64ELi13ELi3EEvPKT_PKfPKiS7_S7_Pfiiiiiiiiiiiiii15HIP_vector_typeIjLj3EESA_,"axG",@progbits,_ZL13mul_mat_f_idsI15__hip_bfloat162Li64ELi13ELi3EEvPKT_PKfPKiS7_S7_Pfiiiiiiiiiiiiii15HIP_vector_typeIjLj3EESA_,comdat
	.globl	_ZL13mul_mat_f_idsI15__hip_bfloat162Li64ELi13ELi3EEvPKT_PKfPKiS7_S7_Pfiiiiiiiiiiiiii15HIP_vector_typeIjLj3EESA_ ; -- Begin function _ZL13mul_mat_f_idsI15__hip_bfloat162Li64ELi13ELi3EEvPKT_PKfPKiS7_S7_Pfiiiiiiiiiiiiii15HIP_vector_typeIjLj3EESA_
	.p2align	8
	.type	_ZL13mul_mat_f_idsI15__hip_bfloat162Li64ELi13ELi3EEvPKT_PKfPKiS7_S7_Pfiiiiiiiiiiiiii15HIP_vector_typeIjLj3EESA_,@function
_ZL13mul_mat_f_idsI15__hip_bfloat162Li64ELi13ELi3EEvPKT_PKfPKiS7_S7_Pfiiiiiiiiiiiiii15HIP_vector_typeIjLj3EESA_: ; @_ZL13mul_mat_f_idsI15__hip_bfloat162Li64ELi13ELi3EEvPKT_PKfPKiS7_S7_Pfiiiiiiiiiiiiii15HIP_vector_typeIjLj3EESA_
; %bb.0:
	s_load_dwordx2 s[6:7], s[0:1], 0x20
	s_mov_b32 s34, s3
	s_ashr_i32 s35, s3, 31
	s_lshl_b64 s[8:9], s[34:35], 2
	s_waitcnt lgkmcnt(0)
	s_add_u32 s6, s6, s8
	s_addc_u32 s7, s7, s9
	s_load_dwordx2 s[30:31], s[6:7], 0x0
	s_waitcnt lgkmcnt(0)
	s_sub_i32 s26, s31, s30
	s_add_i32 s3, s26, 12
	s_mul_hi_i32 s3, s3, 0x4ec4ec4f
	s_lshr_b32 s5, s3, 31
	s_ashr_i32 s3, s3, 2
	s_add_i32 s3, s3, s5
	s_cmp_ge_i32 s4, s3
	s_cbranch_scc1 .LBB129_62
; %bb.1:
	v_bfe_u32 v2, v0, 10, 10
	v_lshlrev_b32_e32 v70, 6, v2
	v_and_b32_e32 v3, 0x3ff, v0
	s_load_dwordx4 s[12:15], s[0:1], 0x30
	s_load_dwordx2 s[20:21], s[0:1], 0x40
	s_load_dwordx4 s[8:11], s[0:1], 0x4c
	s_load_dwordx4 s[16:19], s[0:1], 0x68
	s_load_dwordx2 s[24:25], s[0:1], 0x78
	v_add_u32_e32 v72, v70, v3
	s_ashr_i32 s31, s30, 31
	s_waitcnt lgkmcnt(0)
	v_cmp_le_i32_e32 vcc, s12, v72
	v_and_b32_e32 v71, 15, v3
	s_and_saveexec_b64 s[6:7], vcc
	s_xor_b64 s[6:7], exec, s[6:7]
; %bb.2:
	v_and_b32_e32 v71, 15, v3
                                        ; implicit-def: $vgpr72
; %bb.3:
	s_or_saveexec_b64 s[36:37], s[6:7]
	s_load_dwordx2 s[22:23], s[0:1], 0x18
	s_load_dwordx2 s[6:7], s[0:1], 0x28
                                        ; implicit-def: $vgpr102 : SGPR spill to VGPR lane
	s_lshl_b32 s11, s2, 6
	s_mul_i32 s28, s4, 13
	v_mov_b32_e32 v1, 0
	v_accvgpr_write_b32 a4, 0
	s_waitcnt lgkmcnt(0)
	v_writelane_b32 v102, s6, 0
	v_accvgpr_write_b32 a5, 0
	v_accvgpr_write_b32 a6, 0
	;; [unrolled: 1-line block ×15, first 2 shown]
	v_writelane_b32 v102, s7, 1
	s_xor_b64 exec, exec, s[36:37]
	s_cbranch_execz .LBB129_46
; %bb.4:
	s_load_dwordx4 s[4:7], s[0:1], 0x0
	s_load_dwordx2 s[2:3], s[0:1], 0x10
	v_writelane_b32 v102, s36, 2
	s_mul_i32 s0, s8, s34
	s_ashr_i32 s1, s0, 31
	v_writelane_b32 v102, s37, 3
	v_writelane_b32 v102, s22, 4
	s_lshl_b64 s[64:65], s[0:1], 2
	s_waitcnt lgkmcnt(0)
	s_add_u32 s0, s4, s64
	v_writelane_b32 v102, s23, 5
	s_mul_i32 s22, s15, s11
	v_writelane_b32 v102, s24, 6
	s_addc_u32 s1, s5, s65
	s_ashr_i32 s23, s22, 31
	v_writelane_b32 v102, s25, 7
	s_lshl_b64 s[66:67], s[22:23], 2
	v_writelane_b32 v102, s11, 8
	s_add_u32 s0, s0, s66
	s_addc_u32 s1, s1, s67
	v_writelane_b32 v102, s30, 9
	s_lshl_b64 s[22:23], s[30:31], 2
	s_add_u32 s8, s2, s22
	s_addc_u32 s11, s3, s23
	s_movk_i32 s2, 0x1080
	s_cmp_lt_i32 s28, s26
	v_writelane_b32 v102, s31, 10
	v_mad_u32_u24 v0, v2, s2, 0
	s_cselect_b64 s[2:3], -1, 0
	v_writelane_b32 v102, s2, 11
	s_ashr_i32 s29, s28, 31
	s_mov_b32 s22, s15
	v_writelane_b32 v102, s3, 12
	s_lshl_b64 s[2:3], s[28:29], 2
	s_add_u32 s36, s8, s2
	s_addc_u32 s37, s11, s3
	s_add_i32 s2, s28, 1
	s_cmp_lt_i32 s2, s26
	s_cselect_b64 s[2:3], -1, 0
	v_writelane_b32 v102, s2, 13
	v_lshrrev_b32_e32 v6, 1, v3
	v_lshlrev_b32_e32 v4, 2, v3
	v_writelane_b32 v102, s3, 14
	s_add_i32 s2, s28, 2
	s_cmp_lt_i32 s2, s26
	s_cselect_b64 s[2:3], -1, 0
	v_writelane_b32 v102, s2, 15
	v_mul_u32_u24_e32 v5, 0x108, v71
	v_and_b32_e32 v6, 0x1f8, v6
	v_writelane_b32 v102, s3, 16
	s_add_i32 s2, s28, 3
	s_cmp_lt_i32 s2, s26
	s_cselect_b64 s[2:3], -1, 0
	v_writelane_b32 v102, s2, 17
	v_add_u32_e32 v73, v0, v4
	v_add3_u32 v74, v0, v5, v6
	v_writelane_b32 v102, s3, 18
	s_add_i32 s2, s28, 4
	s_cmp_lt_i32 s2, s26
	s_cselect_b64 s[2:3], -1, 0
	v_writelane_b32 v102, s2, 19
	v_lshlrev_b32_e32 v0, 8, v2
	v_mov_b32_e32 v5, v1
	v_writelane_b32 v102, s3, 20
	s_add_i32 s2, s28, 5
	s_cmp_lt_i32 s2, s26
	s_cselect_b64 s[2:3], -1, 0
	v_writelane_b32 v102, s2, 21
	s_mul_i32 s8, s15, 3
	s_mul_i32 s69, s15, 5
	v_writelane_b32 v102, s3, 22
	s_add_i32 s2, s28, 6
	s_cmp_lt_i32 s2, s26
	s_cselect_b64 s[48:49], -1, 0
	s_add_i32 s2, s28, 7
	s_cmp_lt_i32 s2, s26
	s_cselect_b64 s[50:51], -1, 0
	;; [unrolled: 3-line block ×5, first 2 shown]
	s_add_i32 s2, s28, 11
	s_cmp_lt_i32 s2, s26
	s_mov_b32 s2, s28
	v_writelane_b32 v102, s2, 23
	s_cselect_b64 s[58:59], -1, 0
	s_mul_i32 s70, s15, 6
	v_writelane_b32 v102, s3, 24
	s_add_i32 s2, s28, 12
	s_cmp_lt_i32 s2, s26
	s_cselect_b64 s[60:61], -1, 0
	s_ashr_i32 s23, s15, 31
	s_add_i32 s3, s15, s15
	s_lshl_b32 s68, s15, 2
	s_lshl_b32 s72, s15, 3
	;; [unrolled: 1-line block ×4, first 2 shown]
	s_lshl_b64 s[62:63], s[22:23], 2
	s_add_u32 s22, s64, s66
	s_addc_u32 s23, s65, s67
	v_lshl_add_u64 v[6:7], s[22:23], 0, v[0:1]
	v_lshl_add_u64 v[4:5], v[6:7], 0, v[4:5]
	v_writelane_b32 v102, s26, 25
	s_mul_i32 s71, s15, 7
	s_mul_i32 s73, s15, 9
	;; [unrolled: 1-line block ×20, first 2 shown]
	v_accvgpr_write_b32 a15, 0
	v_accvgpr_write_b32 a14, 0
	v_accvgpr_write_b32 a13, 0
	v_accvgpr_write_b32 a12, 0
	v_accvgpr_write_b32 a11, 0
	v_accvgpr_write_b32 a10, 0
	v_accvgpr_write_b32 a9, 0
	v_accvgpr_write_b32 a8, 0
	v_accvgpr_write_b32 a3, 0
	v_accvgpr_write_b32 a2, 0
	v_accvgpr_write_b32 a1, 0
	v_accvgpr_write_b32 a0, 0
	v_accvgpr_write_b32 a7, 0
	v_accvgpr_write_b32 a6, 0
	v_accvgpr_write_b32 a5, 0
	v_accvgpr_write_b32 a4, 0
	v_lshl_add_u64 v[4:5], s[4:5], 0, v[4:5]
	s_mul_i32 s90, s15, 29
	s_mul_i32 s91, s15, 30
	;; [unrolled: 1-line block ×34, first 2 shown]
	s_mov_b32 s46, 0x5040100
	s_mov_b64 s[4:5], 0
	s_branch .LBB129_6
.LBB129_5:                              ;   in Loop: Header=BB129_6 Depth=1
	v_perm_b32 v0, v0, v75, s46
	v_perm_b32 v75, v77, v78, s46
	ds_write2_b32 v73, v0, v75 offset1:66
	v_perm_b32 v0, v79, v76, s46
	v_perm_b32 v75, v81, v82, s46
	ds_write2_b32 v73, v0, v75 offset0:132 offset1:198
	v_perm_b32 v0, v83, v80, s46
	v_perm_b32 v75, v85, v86, s46
	v_add_u32_e32 v76, 0x400, v73
	ds_write2_b32 v76, v0, v75 offset0:8 offset1:74
	v_perm_b32 v0, v87, v84, s46
	v_perm_b32 v75, v89, v90, s46
	ds_write2_b32 v76, v0, v75 offset0:140 offset1:206
	v_perm_b32 v0, v91, v88, s46
	v_perm_b32 v75, v93, v94, s46
	v_add_u32_e32 v76, 0x800, v73
	ds_write2_b32 v76, v0, v75 offset0:16 offset1:82
	v_perm_b32 v0, v95, v92, s46
	v_perm_b32 v75, v97, v98, s46
	ds_write2_b32 v76, v0, v75 offset0:148 offset1:214
	v_perm_b32 v0, v99, v96, s46
	v_add_u32_e32 v75, 0xc00, v73
	ds_write2_b32 v75, v0, v1 offset0:24 offset1:90
	ds_write2_b32 v75, v1, v1 offset0:156 offset1:222
	ds_read2_b64 v[76:79], v74 offset1:4
	s_waitcnt lgkmcnt(0)
	v_mfma_f32_16x16x16_bf16 a[4:7], v[12:13], v[76:77], a[4:7]
	v_add_u32_e32 v72, 0xc0, v72
	s_mov_b64 vcc, 0x300
	v_lshl_add_u64 v[4:5], v[4:5], 0, vcc
	v_mfma_f32_16x16x16_bf16 a[0:3], v[38:39], v[76:77], a[0:3]
	v_cmp_le_i32_e32 vcc, s12, v72
	s_or_b64 s[4:5], vcc, s[4:5]
	v_mfma_f32_16x16x16_bf16 a[8:11], v[52:53], v[76:77], a[8:11]
	v_mfma_f32_16x16x16_bf16 a[12:15], v[68:69], v[76:77], a[12:15]
	v_mfma_f32_16x16x16_bf16 a[4:7], v[10:11], v[78:79], a[4:7]
	ds_read2_b64 v[10:13], v74 offset0:8 offset1:12
	v_mfma_f32_16x16x16_bf16 a[0:3], v[36:37], v[78:79], a[0:3]
	v_mfma_f32_16x16x16_bf16 a[8:11], v[50:51], v[78:79], a[8:11]
	v_mfma_f32_16x16x16_bf16 a[12:15], v[66:67], v[78:79], a[12:15]
	s_waitcnt lgkmcnt(0)
	v_mfma_f32_16x16x16_bf16 a[4:7], v[8:9], v[10:11], a[4:7]
	v_mfma_f32_16x16x16_bf16 a[0:3], v[32:33], v[10:11], a[0:3]
	v_mfma_f32_16x16x16_bf16 a[8:11], v[48:49], v[10:11], a[8:11]
	v_mfma_f32_16x16x16_bf16 a[12:15], v[62:63], v[10:11], a[12:15]
	v_mfma_f32_16x16x16_bf16 a[4:7], v[6:7], v[12:13], a[4:7]
	ds_read2_b64 v[6:9], v74 offset0:16 offset1:20
	v_mfma_f32_16x16x16_bf16 a[0:3], v[30:31], v[12:13], a[0:3]
	v_mfma_f32_16x16x16_bf16 a[8:11], v[46:47], v[12:13], a[8:11]
	;; [unrolled: 1-line block ×3, first 2 shown]
	s_waitcnt lgkmcnt(0)
	v_mfma_f32_16x16x16_bf16 a[4:7], v[20:21], v[6:7], a[4:7]
	v_mfma_f32_16x16x16_bf16 a[0:3], v[28:29], v[6:7], a[0:3]
	;; [unrolled: 1-line block ×8, first 2 shown]
	ds_read2_b64 v[6:9], v74 offset0:24 offset1:28
	s_waitcnt lgkmcnt(0)
	v_mfma_f32_16x16x16_bf16 a[4:7], v[16:17], v[6:7], a[4:7]
	v_mfma_f32_16x16x16_bf16 a[0:3], v[24:25], v[6:7], a[0:3]
	;; [unrolled: 1-line block ×8, first 2 shown]
	s_andn2_b64 exec, exec, s[4:5]
	s_cbranch_execz .LBB129_45
.LBB129_6:                              ; =>This Inner Loop Header: Depth=1
	v_lshl_add_u64 v[6:7], v[4:5], 0, s[62:63]
	global_load_dword v0, v[4:5], off
	global_load_dword v22, v[6:7], off
	v_add_u32_e32 v6, s3, v72
	v_add_u32_e32 v10, s68, v72
	;; [unrolled: 1-line block ×4, first 2 shown]
	v_ashrrev_i32_e32 v7, 31, v6
	v_add_u32_e32 v8, s8, v72
	v_ashrrev_i32_e32 v11, 31, v10
	v_ashrrev_i32_e32 v13, 31, v12
	v_add_u32_e32 v14, s70, v72
	v_add_u32_e32 v16, s71, v72
	v_ashrrev_i32_e32 v19, 31, v18
	v_add_u32_e32 v20, s73, v72
	v_lshl_add_u64 v[6:7], v[6:7], 2, s[0:1]
	v_ashrrev_i32_e32 v9, 31, v8
	v_lshl_add_u64 v[10:11], v[10:11], 2, s[0:1]
	v_lshl_add_u64 v[12:13], v[12:13], 2, s[0:1]
	v_ashrrev_i32_e32 v15, 31, v14
	v_ashrrev_i32_e32 v17, 31, v16
	v_lshl_add_u64 v[18:19], v[18:19], 2, s[0:1]
	v_ashrrev_i32_e32 v21, 31, v20
	v_lshl_add_u64 v[8:9], v[8:9], 2, s[0:1]
	v_lshl_add_u64 v[14:15], v[14:15], 2, s[0:1]
	;; [unrolled: 1-line block ×4, first 2 shown]
	global_load_dword v23, v[6:7], off
	global_load_dword v24, v[8:9], off
	;; [unrolled: 1-line block ×6, first 2 shown]
	s_nop 0
	global_load_dword v18, v[18:19], off
	s_nop 0
	global_load_dword v19, v[20:21], off
	v_add_u32_e32 v6, s74, v72
	v_add_u32_e32 v10, s76, v72
	;; [unrolled: 1-line block ×3, first 2 shown]
	v_ashrrev_i32_e32 v7, 31, v6
	v_add_u32_e32 v8, s75, v72
	v_ashrrev_i32_e32 v11, 31, v10
	v_ashrrev_i32_e32 v13, 31, v12
	v_add_u32_e32 v14, s78, v72
	v_add_u32_e32 v16, s79, v72
	v_lshl_add_u64 v[6:7], v[6:7], 2, s[0:1]
	v_ashrrev_i32_e32 v9, 31, v8
	v_lshl_add_u64 v[10:11], v[10:11], 2, s[0:1]
	v_lshl_add_u64 v[12:13], v[12:13], 2, s[0:1]
	v_ashrrev_i32_e32 v15, 31, v14
	v_ashrrev_i32_e32 v17, 31, v16
	v_lshl_add_u64 v[8:9], v[8:9], 2, s[0:1]
	v_lshl_add_u64 v[14:15], v[14:15], 2, s[0:1]
	;; [unrolled: 1-line block ×3, first 2 shown]
	global_load_dword v20, v[6:7], off
	global_load_dword v21, v[8:9], off
	s_nop 0
	global_load_dword v10, v[10:11], off
	s_nop 0
	;; [unrolled: 2-line block ×3, first 2 shown]
	global_load_dword v12, v[14:15], off
	global_load_dword v13, v[16:17], off
	v_add_u32_e32 v6, s80, v72
	v_add_u32_e32 v8, s81, v72
	v_ashrrev_i32_e32 v7, 31, v6
	v_ashrrev_i32_e32 v9, 31, v8
	v_lshl_add_u64 v[6:7], v[6:7], 2, s[0:1]
	v_add_u32_e32 v14, s82, v72
	v_lshl_add_u64 v[8:9], v[8:9], 2, s[0:1]
	global_load_dword v30, v[6:7], off
	global_load_dword v31, v[8:9], off
	v_ashrrev_i32_e32 v15, 31, v14
	v_add_u32_e32 v16, s83, v72
	v_lshl_add_u64 v[14:15], v[14:15], 2, s[0:1]
	v_ashrrev_i32_e32 v17, 31, v16
	v_lshl_add_u64 v[16:17], v[16:17], 2, s[0:1]
	v_readlane_b32 vcc_lo, v102, 11
	v_readlane_b32 vcc_hi, v102, 12
	s_andn2_b64 vcc, exec, vcc
	s_waitcnt vmcnt(17)
	ds_write_b32 v73, v0
	s_waitcnt vmcnt(16)
	ds_write_b32 v73, v22 offset:264
	s_waitcnt vmcnt(15)
	ds_write_b32 v73, v23 offset:528
	;; [unrolled: 2-line block ×15, first 2 shown]
	v_add_u32_e32 v18, s84, v72
	v_add_u32_e32 v20, s64, v72
	v_add_u32_e32 v22, s65, v72
	v_add_u32_e32 v24, s66, v72
	v_add_u32_e32 v26, s67, v72
	v_add_u32_e32 v28, s86, v72
	v_ashrrev_i32_e32 v19, 31, v18
	v_ashrrev_i32_e32 v21, 31, v20
	;; [unrolled: 1-line block ×6, first 2 shown]
	ds_read_b64 v[12:13], v74
	ds_read_b64 v[10:11], v74 offset:32
	ds_read_b64 v[8:9], v74 offset:64
	;; [unrolled: 1-line block ×3, first 2 shown]
	v_lshl_add_u64 v[18:19], v[18:19], 2, s[0:1]
	v_lshl_add_u64 v[20:21], v[20:21], 2, s[0:1]
	v_lshl_add_u64 v[22:23], v[22:23], 2, s[0:1]
	v_lshl_add_u64 v[24:25], v[24:25], 2, s[0:1]
	v_lshl_add_u64 v[26:27], v[26:27], 2, s[0:1]
	v_lshl_add_u64 v[28:29], v[28:29], 2, s[0:1]
	global_load_dword v0, v[14:15], off
	global_load_dword v32, v[16:17], off
	global_load_dword v33, v[18:19], off
	global_load_dword v34, v[20:21], off
	global_load_dword v35, v[22:23], off
	global_load_dword v36, v[24:25], off
	global_load_dword v37, v[26:27], off
	global_load_dword v38, v[28:29], off
	v_add_u32_e32 v14, s87, v72
	v_ashrrev_i32_e32 v15, 31, v14
	v_add_u32_e32 v16, s88, v72
	v_add_u32_e32 v18, s89, v72
	v_add_u32_e32 v20, s90, v72
	v_add_u32_e32 v22, s91, v72
	v_add_u32_e32 v24, s92, v72
	v_add_u32_e32 v26, s85, v72
	v_add_u32_e32 v28, s93, v72
	v_lshl_add_u64 v[14:15], v[14:15], 2, s[0:1]
	v_ashrrev_i32_e32 v17, 31, v16
	v_ashrrev_i32_e32 v19, 31, v18
	v_ashrrev_i32_e32 v21, 31, v20
	v_ashrrev_i32_e32 v23, 31, v22
	v_ashrrev_i32_e32 v25, 31, v24
	v_ashrrev_i32_e32 v27, 31, v26
	v_ashrrev_i32_e32 v29, 31, v28
	v_lshl_add_u64 v[16:17], v[16:17], 2, s[0:1]
	v_lshl_add_u64 v[18:19], v[18:19], 2, s[0:1]
	v_lshl_add_u64 v[20:21], v[20:21], 2, s[0:1]
	v_lshl_add_u64 v[22:23], v[22:23], 2, s[0:1]
	v_lshl_add_u64 v[24:25], v[24:25], 2, s[0:1]
	v_lshl_add_u64 v[26:27], v[26:27], 2, s[0:1]
	v_lshl_add_u64 v[28:29], v[28:29], 2, s[0:1]
	global_load_dword v39, v[14:15], off
	global_load_dword v40, v[16:17], off
	global_load_dword v41, v[18:19], off
	global_load_dword v42, v[20:21], off
	global_load_dword v43, v[22:23], off
	global_load_dword v44, v[24:25], off
	global_load_dword v45, v[26:27], off
	global_load_dword v46, v[28:29], off
	v_add_u32_e32 v14, s94, v72
	v_ashrrev_i32_e32 v15, 31, v14
	v_add_u32_e32 v16, s95, v72
	v_add_u32_e32 v18, s96, v72
	v_add_u32_e32 v20, s97, v72
	v_add_u32_e32 v22, s98, v72
	v_add_u32_e32 v24, s99, v72
	v_add_u32_e32 v26, s24, v72
	v_add_u32_e32 v28, s25, v72
	v_lshl_add_u64 v[14:15], v[14:15], 2, s[0:1]
	v_ashrrev_i32_e32 v17, 31, v16
	v_ashrrev_i32_e32 v19, 31, v18
	v_ashrrev_i32_e32 v21, 31, v20
	v_ashrrev_i32_e32 v23, 31, v22
	v_ashrrev_i32_e32 v25, 31, v24
	v_ashrrev_i32_e32 v27, 31, v26
	v_ashrrev_i32_e32 v29, 31, v28
	v_lshl_add_u64 v[16:17], v[16:17], 2, s[0:1]
	;; [unrolled: 32-line block ×4, first 2 shown]
	v_lshl_add_u64 v[18:19], v[18:19], 2, s[0:1]
	v_lshl_add_u64 v[20:21], v[20:21], 2, s[0:1]
	;; [unrolled: 1-line block ×6, first 2 shown]
	global_load_dword v63, v[14:15], off
	global_load_dword v64, v[16:17], off
	;; [unrolled: 1-line block ×8, first 2 shown]
	v_add_u32_e32 v14, s41, v72
	v_ashrrev_i32_e32 v15, 31, v14
	v_add_u32_e32 v16, s42, v72
	v_add_u32_e32 v18, s43, v72
	;; [unrolled: 1-line block ×5, first 2 shown]
	v_lshl_add_u64 v[14:15], v[14:15], 2, s[0:1]
	v_ashrrev_i32_e32 v17, 31, v16
	v_ashrrev_i32_e32 v19, 31, v18
	;; [unrolled: 1-line block ×5, first 2 shown]
	v_lshl_add_u64 v[16:17], v[16:17], 2, s[0:1]
	v_lshl_add_u64 v[18:19], v[18:19], 2, s[0:1]
	;; [unrolled: 1-line block ×5, first 2 shown]
	global_load_dword v76, v[14:15], off
	global_load_dword v77, v[16:17], off
	;; [unrolled: 1-line block ×6, first 2 shown]
	ds_read_b64 v[20:21], v74 offset:128
	ds_read_b64 v[18:19], v74 offset:160
	ds_read_b64 v[16:17], v74 offset:192
	ds_read_b64 v[14:15], v74 offset:224
	s_waitcnt vmcnt(47)
	ds_write_b32 v73, v30
	s_waitcnt vmcnt(46)
	ds_write_b32 v73, v31 offset:264
	s_waitcnt vmcnt(45)
	ds_write_b32 v73, v0 offset:528
	s_waitcnt vmcnt(44)
	ds_write_b32 v73, v32 offset:792
	s_waitcnt vmcnt(43)
	ds_write_b32 v73, v33 offset:1056
	s_waitcnt vmcnt(42)
	ds_write_b32 v73, v34 offset:1320
	s_waitcnt vmcnt(41)
	ds_write_b32 v73, v35 offset:1584
	s_waitcnt vmcnt(40)
	ds_write_b32 v73, v36 offset:1848
	s_waitcnt vmcnt(39)
	ds_write_b32 v73, v37 offset:2112
	s_waitcnt vmcnt(38)
	ds_write_b32 v73, v38 offset:2376
	s_waitcnt vmcnt(37)
	ds_write_b32 v73, v39 offset:2640
	s_waitcnt vmcnt(36)
	ds_write_b32 v73, v40 offset:2904
	s_waitcnt vmcnt(35)
	ds_write_b32 v73, v41 offset:3168
	s_waitcnt vmcnt(34)
	ds_write_b32 v73, v42 offset:3432
	s_waitcnt vmcnt(33)
	ds_write_b32 v73, v43 offset:3696
	s_waitcnt vmcnt(32)
	ds_write_b32 v73, v44 offset:3960
	ds_read_b64 v[38:39], v74
	ds_read_b64 v[36:37], v74 offset:32
	ds_read_b64 v[32:33], v74 offset:64
	ds_read_b64 v[30:31], v74 offset:96
	ds_read_b64 v[28:29], v74 offset:128
	ds_read_b64 v[26:27], v74 offset:160
	ds_read_b64 v[24:25], v74 offset:192
	ds_read_b64 v[22:23], v74 offset:224
	s_waitcnt vmcnt(31)
	ds_write_b32 v73, v45
	s_waitcnt vmcnt(30)
	ds_write_b32 v73, v46 offset:264
	s_waitcnt vmcnt(29)
	ds_write_b32 v73, v47 offset:528
	s_waitcnt vmcnt(28)
	ds_write_b32 v73, v48 offset:792
	s_waitcnt vmcnt(27)
	ds_write_b32 v73, v49 offset:1056
	s_waitcnt vmcnt(26)
	ds_write_b32 v73, v50 offset:1320
	s_waitcnt vmcnt(25)
	ds_write_b32 v73, v51 offset:1584
	s_waitcnt vmcnt(24)
	ds_write_b32 v73, v52 offset:1848
	s_waitcnt vmcnt(23)
	ds_write_b32 v73, v53 offset:2112
	s_waitcnt vmcnt(22)
	ds_write_b32 v73, v54 offset:2376
	s_waitcnt vmcnt(21)
	ds_write_b32 v73, v55 offset:2640
	s_waitcnt vmcnt(20)
	ds_write_b32 v73, v56 offset:2904
	s_waitcnt vmcnt(19)
	ds_write_b32 v73, v57 offset:3168
	s_waitcnt vmcnt(18)
	ds_write_b32 v73, v58 offset:3432
	s_waitcnt vmcnt(17)
	ds_write_b32 v73, v59 offset:3696
	s_waitcnt vmcnt(16)
	ds_write_b32 v73, v60 offset:3960
	ds_read_b64 v[52:53], v74
	ds_read_b64 v[50:51], v74 offset:32
	ds_read_b64 v[48:49], v74 offset:64
	ds_read_b64 v[46:47], v74 offset:96
	;; [unrolled: 40-line block ×3, first 2 shown]
	ds_read_b64 v[64:65], v74 offset:128
	ds_read_b64 v[60:61], v74 offset:160
	;; [unrolled: 1-line block ×4, first 2 shown]
	v_mov_b32_e32 v75, 0
	v_mov_b32_e32 v0, 0
	s_cbranch_vccnz .LBB129_9
; %bb.7:                                ;   in Loop: Header=BB129_6 Depth=1
	s_load_dword s47, s[36:37], 0x0
	v_mov_b32_e32 v0, 0
	v_mov_b32_e32 v75, 0
	s_waitcnt lgkmcnt(0)
	s_mul_hi_u32 vcc_lo, s47, s16
	s_add_i32 vcc_lo, s47, vcc_lo
	s_lshr_b32 vcc_lo, vcc_lo, s17
	s_cmp_ge_i32 vcc_lo, s13
	s_cbranch_scc1 .LBB129_9
; %bb.8:                                ;   in Loop: Header=BB129_6 Depth=1
	s_mul_i32 vcc_hi, vcc_lo, s18
	s_sub_i32 s47, s47, vcc_hi
	s_mul_i32 vcc_lo, vcc_lo, s20
	s_mul_i32 s47, s47, s9
	v_add_u32_e32 v0, vcc_lo, v72
	v_lshl_add_u32 v76, v0, 1, s47
	v_ashrrev_i32_e32 v77, 31, v76
	v_lshl_add_u64 v[76:77], v[76:77], 2, s[6:7]
	global_load_dwordx2 v[76:77], v[76:77], off
	s_waitcnt vmcnt(0)
	v_cvt_pk_bf16_f32 v75, v76, s0
	v_cvt_pk_bf16_f32 v0, v77, s0
.LBB129_9:                              ;   in Loop: Header=BB129_6 Depth=1
	v_readlane_b32 vcc_lo, v102, 13
	v_readlane_b32 vcc_hi, v102, 14
	v_mov_b32_e32 v76, 0
	s_andn2_b64 vcc, exec, vcc
	v_mov_b32_e32 v78, 0
	v_mov_b32_e32 v77, 0
	s_cbranch_vccnz .LBB129_12
; %bb.10:                               ;   in Loop: Header=BB129_6 Depth=1
	s_load_dword s47, s[36:37], 0x4
	v_mov_b32_e32 v77, 0
	v_mov_b32_e32 v78, 0
	s_waitcnt lgkmcnt(0)
	s_mul_hi_u32 vcc_lo, s47, s16
	s_add_i32 vcc_lo, s47, vcc_lo
	s_lshr_b32 vcc_lo, vcc_lo, s17
	s_cmp_ge_i32 vcc_lo, s13
	s_cbranch_scc1 .LBB129_12
; %bb.11:                               ;   in Loop: Header=BB129_6 Depth=1
	s_mul_i32 vcc_hi, vcc_lo, s18
	s_sub_i32 s47, s47, vcc_hi
	s_mul_i32 vcc_lo, vcc_lo, s20
	s_mul_i32 s47, s47, s9
	v_add_u32_e32 v77, vcc_lo, v72
	v_lshl_add_u32 v78, v77, 1, s47
	v_ashrrev_i32_e32 v79, 31, v78
	v_lshl_add_u64 v[78:79], v[78:79], 2, s[6:7]
	global_load_dwordx2 v[78:79], v[78:79], off
	s_waitcnt vmcnt(0)
	v_cvt_pk_bf16_f32 v78, v78, s0
	v_cvt_pk_bf16_f32 v77, v79, s0
.LBB129_12:                             ;   in Loop: Header=BB129_6 Depth=1
	v_readlane_b32 vcc_lo, v102, 15
	v_readlane_b32 vcc_hi, v102, 16
	s_andn2_b64 vcc, exec, vcc
	v_mov_b32_e32 v79, 0
	s_cbranch_vccnz .LBB129_15
; %bb.13:                               ;   in Loop: Header=BB129_6 Depth=1
	s_load_dword s47, s[36:37], 0x8
	v_mov_b32_e32 v79, 0
	v_mov_b32_e32 v76, 0
	s_waitcnt lgkmcnt(0)
	s_mul_hi_u32 vcc_lo, s47, s16
	s_add_i32 vcc_lo, s47, vcc_lo
	s_lshr_b32 vcc_lo, vcc_lo, s17
	s_cmp_ge_i32 vcc_lo, s13
	s_cbranch_scc1 .LBB129_15
; %bb.14:                               ;   in Loop: Header=BB129_6 Depth=1
	s_mul_i32 vcc_hi, vcc_lo, s18
	s_sub_i32 s47, s47, vcc_hi
	s_mul_i32 vcc_lo, vcc_lo, s20
	s_mul_i32 s47, s47, s9
	v_add_u32_e32 v76, vcc_lo, v72
	v_lshl_add_u32 v80, v76, 1, s47
	v_ashrrev_i32_e32 v81, 31, v80
	v_lshl_add_u64 v[80:81], v[80:81], 2, s[6:7]
	global_load_dwordx2 v[80:81], v[80:81], off
	s_waitcnt vmcnt(0)
	v_cvt_pk_bf16_f32 v76, v80, s0
	v_cvt_pk_bf16_f32 v79, v81, s0
.LBB129_15:                             ;   in Loop: Header=BB129_6 Depth=1
	v_readlane_b32 vcc_lo, v102, 17
	v_readlane_b32 vcc_hi, v102, 18
	v_mov_b32_e32 v80, 0
	s_andn2_b64 vcc, exec, vcc
	v_mov_b32_e32 v82, 0
	v_mov_b32_e32 v81, 0
	s_cbranch_vccnz .LBB129_18
; %bb.16:                               ;   in Loop: Header=BB129_6 Depth=1
	s_load_dword s47, s[36:37], 0xc
	v_mov_b32_e32 v81, 0
	v_mov_b32_e32 v82, 0
	s_waitcnt lgkmcnt(0)
	s_mul_hi_u32 vcc_lo, s47, s16
	s_add_i32 vcc_lo, s47, vcc_lo
	s_lshr_b32 vcc_lo, vcc_lo, s17
	s_cmp_ge_i32 vcc_lo, s13
	s_cbranch_scc1 .LBB129_18
; %bb.17:                               ;   in Loop: Header=BB129_6 Depth=1
	s_mul_i32 vcc_hi, vcc_lo, s18
	s_sub_i32 s47, s47, vcc_hi
	s_mul_i32 vcc_lo, vcc_lo, s20
	s_mul_i32 s47, s47, s9
	v_add_u32_e32 v81, vcc_lo, v72
	v_lshl_add_u32 v82, v81, 1, s47
	v_ashrrev_i32_e32 v83, 31, v82
	v_lshl_add_u64 v[82:83], v[82:83], 2, s[6:7]
	global_load_dwordx2 v[82:83], v[82:83], off
	s_waitcnt vmcnt(0)
	v_cvt_pk_bf16_f32 v82, v82, s0
	v_cvt_pk_bf16_f32 v81, v83, s0
.LBB129_18:                             ;   in Loop: Header=BB129_6 Depth=1
	v_readlane_b32 vcc_lo, v102, 19
	v_readlane_b32 vcc_hi, v102, 20
	s_andn2_b64 vcc, exec, vcc
	v_mov_b32_e32 v83, 0
	s_cbranch_vccnz .LBB129_21
; %bb.19:                               ;   in Loop: Header=BB129_6 Depth=1
	s_load_dword s47, s[36:37], 0x10
	v_mov_b32_e32 v83, 0
	v_mov_b32_e32 v80, 0
	s_waitcnt lgkmcnt(0)
	s_mul_hi_u32 vcc_lo, s47, s16
	s_add_i32 vcc_lo, s47, vcc_lo
	s_lshr_b32 vcc_lo, vcc_lo, s17
	s_cmp_ge_i32 vcc_lo, s13
	s_cbranch_scc1 .LBB129_21
; %bb.20:                               ;   in Loop: Header=BB129_6 Depth=1
	s_mul_i32 vcc_hi, vcc_lo, s18
	s_sub_i32 s47, s47, vcc_hi
	s_mul_i32 vcc_lo, vcc_lo, s20
	s_mul_i32 s47, s47, s9
	v_add_u32_e32 v80, vcc_lo, v72
	v_lshl_add_u32 v84, v80, 1, s47
	v_ashrrev_i32_e32 v85, 31, v84
	v_lshl_add_u64 v[84:85], v[84:85], 2, s[6:7]
	global_load_dwordx2 v[84:85], v[84:85], off
	s_waitcnt vmcnt(0)
	v_cvt_pk_bf16_f32 v80, v84, s0
	v_cvt_pk_bf16_f32 v83, v85, s0
.LBB129_21:                             ;   in Loop: Header=BB129_6 Depth=1
	v_readlane_b32 vcc_lo, v102, 21
	v_readlane_b32 vcc_hi, v102, 22
	v_mov_b32_e32 v84, 0
	s_andn2_b64 vcc, exec, vcc
	v_mov_b32_e32 v86, 0
	v_mov_b32_e32 v85, 0
	s_cbranch_vccnz .LBB129_24
; %bb.22:                               ;   in Loop: Header=BB129_6 Depth=1
	s_load_dword s47, s[36:37], 0x14
	v_mov_b32_e32 v85, 0
	v_mov_b32_e32 v86, 0
	s_waitcnt lgkmcnt(0)
	s_mul_hi_u32 vcc_lo, s47, s16
	s_add_i32 vcc_lo, s47, vcc_lo
	s_lshr_b32 vcc_lo, vcc_lo, s17
	s_cmp_ge_i32 vcc_lo, s13
	s_cbranch_scc1 .LBB129_24
; %bb.23:                               ;   in Loop: Header=BB129_6 Depth=1
	s_mul_i32 vcc_hi, vcc_lo, s18
	s_sub_i32 s47, s47, vcc_hi
	s_mul_i32 vcc_lo, vcc_lo, s20
	s_mul_i32 s47, s47, s9
	v_add_u32_e32 v85, vcc_lo, v72
	v_lshl_add_u32 v86, v85, 1, s47
	v_ashrrev_i32_e32 v87, 31, v86
	v_lshl_add_u64 v[86:87], v[86:87], 2, s[6:7]
	global_load_dwordx2 v[86:87], v[86:87], off
	s_waitcnt vmcnt(0)
	v_cvt_pk_bf16_f32 v86, v86, s0
	v_cvt_pk_bf16_f32 v85, v87, s0
.LBB129_24:                             ;   in Loop: Header=BB129_6 Depth=1
	s_andn2_b64 vcc, exec, s[48:49]
	v_mov_b32_e32 v87, 0
	s_cbranch_vccnz .LBB129_27
; %bb.25:                               ;   in Loop: Header=BB129_6 Depth=1
	s_load_dword s47, s[36:37], 0x18
	v_mov_b32_e32 v87, 0
	v_mov_b32_e32 v84, 0
	s_waitcnt lgkmcnt(0)
	s_mul_hi_u32 vcc_lo, s47, s16
	s_add_i32 vcc_lo, s47, vcc_lo
	s_lshr_b32 vcc_lo, vcc_lo, s17
	s_cmp_ge_i32 vcc_lo, s13
	s_cbranch_scc1 .LBB129_27
; %bb.26:                               ;   in Loop: Header=BB129_6 Depth=1
	s_mul_i32 vcc_hi, vcc_lo, s18
	s_sub_i32 s47, s47, vcc_hi
	s_mul_i32 vcc_lo, vcc_lo, s20
	s_mul_i32 s47, s47, s9
	v_add_u32_e32 v84, vcc_lo, v72
	v_lshl_add_u32 v88, v84, 1, s47
	v_ashrrev_i32_e32 v89, 31, v88
	v_lshl_add_u64 v[88:89], v[88:89], 2, s[6:7]
	global_load_dwordx2 v[88:89], v[88:89], off
	s_waitcnt vmcnt(0)
	v_cvt_pk_bf16_f32 v84, v88, s0
	v_cvt_pk_bf16_f32 v87, v89, s0
.LBB129_27:                             ;   in Loop: Header=BB129_6 Depth=1
	v_mov_b32_e32 v88, 0
	s_andn2_b64 vcc, exec, s[50:51]
	v_mov_b32_e32 v90, 0
	v_mov_b32_e32 v89, 0
	s_cbranch_vccnz .LBB129_30
; %bb.28:                               ;   in Loop: Header=BB129_6 Depth=1
	s_load_dword s47, s[36:37], 0x1c
	v_mov_b32_e32 v89, 0
	v_mov_b32_e32 v90, 0
	s_waitcnt lgkmcnt(0)
	s_mul_hi_u32 vcc_lo, s47, s16
	s_add_i32 vcc_lo, s47, vcc_lo
	s_lshr_b32 vcc_lo, vcc_lo, s17
	s_cmp_ge_i32 vcc_lo, s13
	s_cbranch_scc1 .LBB129_30
; %bb.29:                               ;   in Loop: Header=BB129_6 Depth=1
	s_mul_i32 vcc_hi, vcc_lo, s18
	s_sub_i32 s47, s47, vcc_hi
	s_mul_i32 vcc_lo, vcc_lo, s20
	s_mul_i32 s47, s47, s9
	v_add_u32_e32 v89, vcc_lo, v72
	v_lshl_add_u32 v90, v89, 1, s47
	v_ashrrev_i32_e32 v91, 31, v90
	v_lshl_add_u64 v[90:91], v[90:91], 2, s[6:7]
	global_load_dwordx2 v[90:91], v[90:91], off
	s_waitcnt vmcnt(0)
	v_cvt_pk_bf16_f32 v90, v90, s0
	v_cvt_pk_bf16_f32 v89, v91, s0
.LBB129_30:                             ;   in Loop: Header=BB129_6 Depth=1
	s_andn2_b64 vcc, exec, s[52:53]
	v_mov_b32_e32 v91, 0
	s_cbranch_vccnz .LBB129_33
; %bb.31:                               ;   in Loop: Header=BB129_6 Depth=1
	s_load_dword s47, s[36:37], 0x20
	v_mov_b32_e32 v91, 0
	v_mov_b32_e32 v88, 0
	s_waitcnt lgkmcnt(0)
	s_mul_hi_u32 vcc_lo, s47, s16
	s_add_i32 vcc_lo, s47, vcc_lo
	s_lshr_b32 vcc_lo, vcc_lo, s17
	s_cmp_ge_i32 vcc_lo, s13
	s_cbranch_scc1 .LBB129_33
; %bb.32:                               ;   in Loop: Header=BB129_6 Depth=1
	s_mul_i32 vcc_hi, vcc_lo, s18
	s_sub_i32 s47, s47, vcc_hi
	s_mul_i32 vcc_lo, vcc_lo, s20
	s_mul_i32 s47, s47, s9
	v_add_u32_e32 v88, vcc_lo, v72
	v_lshl_add_u32 v92, v88, 1, s47
	v_ashrrev_i32_e32 v93, 31, v92
	v_lshl_add_u64 v[92:93], v[92:93], 2, s[6:7]
	global_load_dwordx2 v[92:93], v[92:93], off
	s_waitcnt vmcnt(0)
	v_cvt_pk_bf16_f32 v88, v92, s0
	v_cvt_pk_bf16_f32 v91, v93, s0
.LBB129_33:                             ;   in Loop: Header=BB129_6 Depth=1
	v_mov_b32_e32 v92, 0
	s_andn2_b64 vcc, exec, s[54:55]
	;; [unrolled: 56-line block ×3, first 2 shown]
	v_mov_b32_e32 v98, 0
	v_mov_b32_e32 v97, 0
	s_cbranch_vccnz .LBB129_42
; %bb.40:                               ;   in Loop: Header=BB129_6 Depth=1
	s_load_dword s47, s[36:37], 0x2c
	v_mov_b32_e32 v97, 0
	v_mov_b32_e32 v98, 0
	s_waitcnt lgkmcnt(0)
	s_mul_hi_u32 vcc_lo, s47, s16
	s_add_i32 vcc_lo, s47, vcc_lo
	s_lshr_b32 vcc_lo, vcc_lo, s17
	s_cmp_ge_i32 vcc_lo, s13
	s_cbranch_scc1 .LBB129_42
; %bb.41:                               ;   in Loop: Header=BB129_6 Depth=1
	s_mul_i32 vcc_hi, vcc_lo, s18
	s_sub_i32 s47, s47, vcc_hi
	s_mul_i32 vcc_lo, vcc_lo, s20
	s_mul_i32 s47, s47, s9
	v_add_u32_e32 v97, vcc_lo, v72
	v_lshl_add_u32 v98, v97, 1, s47
	v_ashrrev_i32_e32 v99, 31, v98
	v_lshl_add_u64 v[98:99], v[98:99], 2, s[6:7]
	global_load_dwordx2 v[98:99], v[98:99], off
	s_waitcnt vmcnt(0)
	v_cvt_pk_bf16_f32 v98, v98, s0
	v_cvt_pk_bf16_f32 v97, v99, s0
.LBB129_42:                             ;   in Loop: Header=BB129_6 Depth=1
	s_andn2_b64 vcc, exec, s[60:61]
	v_mov_b32_e32 v99, 0
	s_cbranch_vccnz .LBB129_5
; %bb.43:                               ;   in Loop: Header=BB129_6 Depth=1
	s_load_dword s47, s[36:37], 0x30
	v_mov_b32_e32 v99, 0
	v_mov_b32_e32 v96, 0
	s_waitcnt lgkmcnt(0)
	s_mul_hi_u32 vcc_lo, s47, s16
	s_add_i32 vcc_lo, s47, vcc_lo
	s_lshr_b32 vcc_lo, vcc_lo, s17
	s_cmp_ge_i32 vcc_lo, s13
	s_cbranch_scc1 .LBB129_5
; %bb.44:                               ;   in Loop: Header=BB129_6 Depth=1
	s_mul_i32 vcc_hi, vcc_lo, s18
	s_sub_i32 s47, s47, vcc_hi
	s_mul_i32 vcc_lo, vcc_lo, s20
	s_mul_i32 s47, s47, s9
	v_add_u32_e32 v96, vcc_lo, v72
	v_lshl_add_u32 v100, v96, 1, s47
	v_ashrrev_i32_e32 v101, 31, v100
	v_lshl_add_u64 v[100:101], v[100:101], 2, s[6:7]
	global_load_dwordx2 v[100:101], v[100:101], off
	s_waitcnt vmcnt(0)
	v_cvt_pk_bf16_f32 v96, v100, s0
	v_cvt_pk_bf16_f32 v99, v101, s0
	s_branch .LBB129_5
.LBB129_45:
	s_or_b64 exec, exec, s[4:5]
	v_readlane_b32 s24, v102, 6
	v_readlane_b32 s30, v102, 9
	;; [unrolled: 1-line block ×12, first 2 shown]
.LBB129_46:
	s_or_b64 exec, exec, s[36:37]
	v_lshl_add_u32 v0, v70, 2, 0
	v_mul_u32_u24_e32 v1, 0x308, v71
	v_and_b32_e32 v4, 0x3f0, v3
	v_add3_u32 v0, v0, v1, v4
	v_accvgpr_read_b32 v1, a5
	v_accvgpr_read_b32 v4, a4
	s_barrier
	ds_write2_b32 v0, v4, v1 offset1:1
	v_accvgpr_read_b32 v1, a7
	v_accvgpr_read_b32 v4, a6
	ds_write2_b32 v0, v4, v1 offset0:2 offset1:3
	v_accvgpr_read_b32 v1, a1
	v_accvgpr_read_b32 v4, a0
	ds_write2_b32 v0, v4, v1 offset0:16 offset1:17
	;; [unrolled: 3-line block ×3, first 2 shown]
	v_accvgpr_read_b32 v1, a9
	v_accvgpr_read_b32 v4, a8
	s_lshl_b64 s[0:1], s[30:31], 2
	ds_write2_b32 v0, v4, v1 offset0:32 offset1:33
	v_accvgpr_read_b32 v1, a11
	v_accvgpr_read_b32 v4, a10
	s_add_u32 s4, s22, s0
	ds_write2_b32 v0, v4, v1 offset0:34 offset1:35
	v_accvgpr_read_b32 v1, a13
	v_accvgpr_read_b32 v4, a12
	s_addc_u32 s5, s23, s1
	ds_write2_b32 v0, v4, v1 offset0:48 offset1:49
	v_accvgpr_read_b32 v1, a15
	v_accvgpr_read_b32 v4, a14
	ds_write2_b32 v0, v4, v1 offset0:50 offset1:51
	s_cmp_gt_i32 s14, 0
	v_add_u32_e32 v0, s28, v2
	s_cselect_b64 s[6:7], -1, 0
	v_cmp_gt_i32_e64 s[0:1], s26, v0
	v_cmp_gt_u32_e32 vcc, 13, v2
	s_and_b64 s[0:1], s[6:7], s[0:1]
	v_lshl_add_u32 v5, v3, 2, 0
	v_add_u32_e32 v4, s11, v3
	v_mul_u32_u24_e32 v6, 0x308, v2
	s_and_b64 s[2:3], vcc, s[0:1]
	s_waitcnt lgkmcnt(0)
	s_barrier
	s_and_saveexec_b64 s[0:1], s[2:3]
	v_readlane_b32 s8, v102, 0
	v_readlane_b32 s9, v102, 1
	s_cbranch_execz .LBB129_49
; %bb.47:
	v_ashrrev_i32_e32 v1, 31, v0
	v_lshl_add_u64 v[8:9], v[0:1], 2, s[4:5]
	global_load_dword v3, v[8:9], off
	s_waitcnt vmcnt(0)
	v_mul_hi_u32 v1, v3, s19
	v_add_u32_e32 v1, v3, v1
	v_lshrrev_b32_e32 v1, s24, v1
	v_cmp_gt_i32_e32 vcc, s13, v1
	s_and_b64 exec, exec, vcc
	s_cbranch_execz .LBB129_49
; %bb.48:
	v_add_u32_e32 v7, v5, v6
	ds_read2st64_b32 v[8:9], v7 offset1:1
	ds_read_b32 v7, v7 offset:512
	v_mul_lo_u32 v10, v1, s25
	v_sub_u32_e32 v3, v3, v10
	v_mul_lo_u32 v3, v3, s10
	s_waitcnt lgkmcnt(1)
	v_add_f32_e32 v8, 0, v8
	v_add_f32_e32 v8, v8, v9
	v_mul_lo_u32 v1, v1, s21
	s_waitcnt lgkmcnt(0)
	v_add_f32_e32 v7, v8, v7
	v_add3_u32 v8, v4, v1, v3
	v_mov_b32_e32 v9, 0
	v_lshl_add_u64 v[8:9], v[8:9], 2, s[8:9]
	global_store_dword v[8:9], v7, off
.LBB129_49:
	s_or_b64 exec, exec, s[0:1]
	v_add_u32_e32 v1, 3, v0
	v_cmp_gt_i32_e64 s[0:1], s26, v1
	v_cmp_gt_u32_e32 vcc, 10, v2
	s_and_b64 s[0:1], s[6:7], s[0:1]
	s_and_b64 s[2:3], vcc, s[0:1]
	s_and_saveexec_b64 s[0:1], s[2:3]
	s_cbranch_execz .LBB129_52
; %bb.50:
	s_ashr_i32 s29, s28, 31
	v_mov_b32_e32 v3, 0
	v_lshl_add_u64 v[8:9], v[2:3], 0, s[28:29]
	v_lshl_add_u64 v[8:9], v[8:9], 2, s[4:5]
	global_load_dword v7, v[8:9], off offset:12
	s_waitcnt vmcnt(0)
	v_mul_hi_u32 v1, v7, s19
	v_add_u32_e32 v1, v7, v1
	v_lshrrev_b32_e32 v1, s24, v1
	v_cmp_gt_i32_e32 vcc, s13, v1
	s_and_b64 exec, exec, vcc
	s_cbranch_execz .LBB129_52
; %bb.51:
	v_add_u32_e32 v10, v6, v5
	v_add_u32_e32 v8, 24, v10
	ds_read2st64_b32 v[8:9], v8 offset0:9 offset1:10
	ds_read_b32 v10, v10 offset:2840
	v_mul_lo_u32 v11, v1, s25
	v_sub_u32_e32 v7, v7, v11
	v_mul_lo_u32 v7, v7, s10
	s_waitcnt lgkmcnt(1)
	v_add_f32_e32 v8, 0, v8
	v_add_f32_e32 v8, v8, v9
	v_mul_lo_u32 v1, v1, s21
	s_waitcnt lgkmcnt(0)
	v_add_f32_e32 v10, v8, v10
	v_add3_u32 v8, v4, v1, v7
	v_mov_b32_e32 v9, v3
	v_lshl_add_u64 v[8:9], v[8:9], 2, s[8:9]
	global_store_dword v[8:9], v10, off
.LBB129_52:
	s_or_b64 exec, exec, s[0:1]
	v_add_u32_e32 v1, 6, v0
	v_cmp_gt_i32_e64 s[0:1], s26, v1
	v_cmp_gt_u32_e32 vcc, 7, v2
	s_and_b64 s[0:1], s[6:7], s[0:1]
	s_and_b64 s[2:3], vcc, s[0:1]
	s_and_saveexec_b64 s[0:1], s[2:3]
	s_cbranch_execz .LBB129_55
; %bb.53:
	s_ashr_i32 s29, s28, 31
	v_mov_b32_e32 v3, 0
	v_lshl_add_u64 v[8:9], v[2:3], 0, s[28:29]
	v_lshl_add_u64 v[8:9], v[8:9], 2, s[4:5]
	global_load_dword v7, v[8:9], off offset:24
	s_waitcnt vmcnt(0)
	v_mul_hi_u32 v1, v7, s19
	v_add_u32_e32 v1, v7, v1
	v_lshrrev_b32_e32 v1, s24, v1
	v_cmp_gt_i32_e32 vcc, s13, v1
	s_and_b64 exec, exec, vcc
	s_cbranch_execz .LBB129_55
; %bb.54:
	v_add_u32_e32 v10, v5, v6
	v_add_u32_e32 v8, 48, v10
	ds_read2st64_b32 v[8:9], v8 offset0:18 offset1:19
	ds_read_b32 v10, v10 offset:5168
	v_mul_lo_u32 v11, v1, s25
	v_sub_u32_e32 v7, v7, v11
	v_mul_lo_u32 v7, v7, s10
	s_waitcnt lgkmcnt(1)
	v_add_f32_e32 v8, 0, v8
	v_add_f32_e32 v8, v8, v9
	v_mul_lo_u32 v1, v1, s21
	s_waitcnt lgkmcnt(0)
	v_add_f32_e32 v10, v8, v10
	v_add3_u32 v8, v4, v1, v7
	v_mov_b32_e32 v9, v3
	v_lshl_add_u64 v[8:9], v[8:9], 2, s[8:9]
	global_store_dword v[8:9], v10, off
.LBB129_55:
	s_or_b64 exec, exec, s[0:1]
	v_add_u32_e32 v0, 9, v0
	v_cmp_gt_i32_e64 s[0:1], s26, v0
	v_cmp_gt_u32_e32 vcc, 4, v2
	s_and_b64 s[0:1], s[6:7], s[0:1]
	s_and_b64 s[2:3], vcc, s[0:1]
	s_and_saveexec_b64 s[0:1], s[2:3]
	s_cbranch_execz .LBB129_58
; %bb.56:
	s_ashr_i32 s29, s28, 31
	v_mov_b32_e32 v3, 0
	v_lshl_add_u64 v[0:1], v[2:3], 0, s[28:29]
	v_lshl_add_u64 v[0:1], v[0:1], 2, s[4:5]
	global_load_dword v1, v[0:1], off offset:36
	s_waitcnt vmcnt(0)
	v_mul_hi_u32 v0, v1, s19
	v_add_u32_e32 v0, v1, v0
	v_lshrrev_b32_e32 v0, s24, v0
	v_cmp_gt_i32_e32 vcc, s13, v0
	s_and_b64 exec, exec, vcc
	s_cbranch_execz .LBB129_58
; %bb.57:
	v_add_u32_e32 v8, v5, v6
	v_add_u32_e32 v6, 0x48, v8
	ds_read2st64_b32 v[6:7], v6 offset0:27 offset1:28
	ds_read_b32 v8, v8 offset:7496
	v_mul_lo_u32 v9, v0, s25
	v_sub_u32_e32 v1, v1, v9
	v_mul_lo_u32 v1, v1, s10
	s_waitcnt lgkmcnt(1)
	v_add_f32_e32 v6, 0, v6
	v_mul_lo_u32 v0, v0, s21
	v_add_f32_e32 v6, v6, v7
	v_add3_u32 v0, v4, v0, v1
	v_mov_b32_e32 v1, v3
	s_waitcnt lgkmcnt(0)
	v_add_f32_e32 v6, v6, v8
	v_lshl_add_u64 v[0:1], v[0:1], 2, s[8:9]
	global_store_dword v[0:1], v6, off
.LBB129_58:
	s_or_b64 exec, exec, s[0:1]
	v_cmp_eq_u32_e32 vcc, 0, v2
	s_and_saveexec_b64 s[0:1], vcc
	s_cbranch_execz .LBB129_62
; %bb.59:
	s_add_i32 s0, s28, 12
	s_cmp_ge_i32 s0, s26
	s_cselect_b64 s[0:1], -1, 0
	s_xor_b64 s[2:3], s[6:7], -1
	s_or_b64 s[0:1], s[2:3], s[0:1]
	s_and_b64 vcc, exec, s[0:1]
	s_cbranch_vccnz .LBB129_62
; %bb.60:
	s_ashr_i32 s29, s28, 31
	s_lshl_b64 s[0:1], s[28:29], 2
	s_add_u32 s0, s4, s0
	s_addc_u32 s1, s5, s1
	s_load_dword s1, s[0:1], 0x30
	s_waitcnt lgkmcnt(0)
	s_mul_hi_u32 s0, s1, s19
	s_add_i32 s0, s1, s0
	s_lshr_b32 s0, s0, s24
	s_cmp_ge_i32 s0, s13
	s_cbranch_scc1 .LBB129_62
; %bb.61:
	v_add_u32_e32 v0, 0x60, v5
	ds_read2st64_b32 v[0:1], v0 offset0:36 offset1:37
	ds_read_b32 v2, v5 offset:9824
	s_mul_i32 s2, s0, s25
	s_sub_i32 s1, s1, s2
	s_mul_i32 s1, s1, s10
	s_waitcnt lgkmcnt(1)
	v_add_f32_e32 v0, 0, v0
	s_mul_i32 s0, s0, s21
	v_add_f32_e32 v0, v0, v1
	s_add_i32 s1, s1, s0
	s_waitcnt lgkmcnt(0)
	v_add_f32_e32 v2, v0, v2
	v_add_u32_e32 v0, s1, v4
	v_mov_b32_e32 v1, 0
	v_lshl_add_u64 v[0:1], v[0:1], 2, s[8:9]
	global_store_dword v[0:1], v2, off
.LBB129_62:
	s_endpgm
	.section	.rodata,"a",@progbits
	.p2align	6, 0x0
	.amdhsa_kernel _ZL13mul_mat_f_idsI15__hip_bfloat162Li64ELi13ELi3EEvPKT_PKfPKiS7_S7_Pfiiiiiiiiiiiiii15HIP_vector_typeIjLj3EESA_
		.amdhsa_group_segment_fixed_size 0
		.amdhsa_private_segment_fixed_size 0
		.amdhsa_kernarg_size 128
		.amdhsa_user_sgpr_count 2
		.amdhsa_user_sgpr_dispatch_ptr 0
		.amdhsa_user_sgpr_queue_ptr 0
		.amdhsa_user_sgpr_kernarg_segment_ptr 1
		.amdhsa_user_sgpr_dispatch_id 0
		.amdhsa_user_sgpr_kernarg_preload_length 0
		.amdhsa_user_sgpr_kernarg_preload_offset 0
		.amdhsa_user_sgpr_private_segment_size 0
		.amdhsa_uses_dynamic_stack 0
		.amdhsa_enable_private_segment 0
		.amdhsa_system_sgpr_workgroup_id_x 1
		.amdhsa_system_sgpr_workgroup_id_y 1
		.amdhsa_system_sgpr_workgroup_id_z 1
		.amdhsa_system_sgpr_workgroup_info 0
		.amdhsa_system_vgpr_workitem_id 1
		.amdhsa_next_free_vgpr 120
		.amdhsa_next_free_sgpr 100
		.amdhsa_accum_offset 104
		.amdhsa_reserve_vcc 1
		.amdhsa_float_round_mode_32 0
		.amdhsa_float_round_mode_16_64 0
		.amdhsa_float_denorm_mode_32 3
		.amdhsa_float_denorm_mode_16_64 3
		.amdhsa_dx10_clamp 1
		.amdhsa_ieee_mode 1
		.amdhsa_fp16_overflow 0
		.amdhsa_tg_split 0
		.amdhsa_exception_fp_ieee_invalid_op 0
		.amdhsa_exception_fp_denorm_src 0
		.amdhsa_exception_fp_ieee_div_zero 0
		.amdhsa_exception_fp_ieee_overflow 0
		.amdhsa_exception_fp_ieee_underflow 0
		.amdhsa_exception_fp_ieee_inexact 0
		.amdhsa_exception_int_div_zero 0
	.end_amdhsa_kernel
	.section	.text._ZL13mul_mat_f_idsI15__hip_bfloat162Li64ELi13ELi3EEvPKT_PKfPKiS7_S7_Pfiiiiiiiiiiiiii15HIP_vector_typeIjLj3EESA_,"axG",@progbits,_ZL13mul_mat_f_idsI15__hip_bfloat162Li64ELi13ELi3EEvPKT_PKfPKiS7_S7_Pfiiiiiiiiiiiiii15HIP_vector_typeIjLj3EESA_,comdat
.Lfunc_end129:
	.size	_ZL13mul_mat_f_idsI15__hip_bfloat162Li64ELi13ELi3EEvPKT_PKfPKiS7_S7_Pfiiiiiiiiiiiiii15HIP_vector_typeIjLj3EESA_, .Lfunc_end129-_ZL13mul_mat_f_idsI15__hip_bfloat162Li64ELi13ELi3EEvPKT_PKfPKiS7_S7_Pfiiiiiiiiiiiiii15HIP_vector_typeIjLj3EESA_
                                        ; -- End function
	.set _ZL13mul_mat_f_idsI15__hip_bfloat162Li64ELi13ELi3EEvPKT_PKfPKiS7_S7_Pfiiiiiiiiiiiiii15HIP_vector_typeIjLj3EESA_.num_vgpr, 103
	.set _ZL13mul_mat_f_idsI15__hip_bfloat162Li64ELi13ELi3EEvPKT_PKfPKiS7_S7_Pfiiiiiiiiiiiiii15HIP_vector_typeIjLj3EESA_.num_agpr, 16
	.set _ZL13mul_mat_f_idsI15__hip_bfloat162Li64ELi13ELi3EEvPKT_PKfPKiS7_S7_Pfiiiiiiiiiiiiii15HIP_vector_typeIjLj3EESA_.numbered_sgpr, 100
	.set _ZL13mul_mat_f_idsI15__hip_bfloat162Li64ELi13ELi3EEvPKT_PKfPKiS7_S7_Pfiiiiiiiiiiiiii15HIP_vector_typeIjLj3EESA_.num_named_barrier, 0
	.set _ZL13mul_mat_f_idsI15__hip_bfloat162Li64ELi13ELi3EEvPKT_PKfPKiS7_S7_Pfiiiiiiiiiiiiii15HIP_vector_typeIjLj3EESA_.private_seg_size, 0
	.set _ZL13mul_mat_f_idsI15__hip_bfloat162Li64ELi13ELi3EEvPKT_PKfPKiS7_S7_Pfiiiiiiiiiiiiii15HIP_vector_typeIjLj3EESA_.uses_vcc, 1
	.set _ZL13mul_mat_f_idsI15__hip_bfloat162Li64ELi13ELi3EEvPKT_PKfPKiS7_S7_Pfiiiiiiiiiiiiii15HIP_vector_typeIjLj3EESA_.uses_flat_scratch, 0
	.set _ZL13mul_mat_f_idsI15__hip_bfloat162Li64ELi13ELi3EEvPKT_PKfPKiS7_S7_Pfiiiiiiiiiiiiii15HIP_vector_typeIjLj3EESA_.has_dyn_sized_stack, 0
	.set _ZL13mul_mat_f_idsI15__hip_bfloat162Li64ELi13ELi3EEvPKT_PKfPKiS7_S7_Pfiiiiiiiiiiiiii15HIP_vector_typeIjLj3EESA_.has_recursion, 0
	.set _ZL13mul_mat_f_idsI15__hip_bfloat162Li64ELi13ELi3EEvPKT_PKfPKiS7_S7_Pfiiiiiiiiiiiiii15HIP_vector_typeIjLj3EESA_.has_indirect_call, 0
	.section	.AMDGPU.csdata,"",@progbits
; Kernel info:
; codeLenInByte = 7456
; TotalNumSgprs: 106
; NumVgprs: 103
; NumAgprs: 16
; TotalNumVgprs: 120
; ScratchSize: 0
; MemoryBound: 0
; FloatMode: 240
; IeeeMode: 1
; LDSByteSize: 0 bytes/workgroup (compile time only)
; SGPRBlocks: 13
; VGPRBlocks: 14
; NumSGPRsForWavesPerEU: 106
; NumVGPRsForWavesPerEU: 120
; AccumOffset: 104
; Occupancy: 4
; WaveLimiterHint : 1
; COMPUTE_PGM_RSRC2:SCRATCH_EN: 0
; COMPUTE_PGM_RSRC2:USER_SGPR: 2
; COMPUTE_PGM_RSRC2:TRAP_HANDLER: 0
; COMPUTE_PGM_RSRC2:TGID_X_EN: 1
; COMPUTE_PGM_RSRC2:TGID_Y_EN: 1
; COMPUTE_PGM_RSRC2:TGID_Z_EN: 1
; COMPUTE_PGM_RSRC2:TIDIG_COMP_CNT: 1
; COMPUTE_PGM_RSRC3_GFX90A:ACCUM_OFFSET: 25
; COMPUTE_PGM_RSRC3_GFX90A:TG_SPLIT: 0
	.section	.text._ZL9mul_mat_fI15__hip_bfloat162Li64ELi13ELi3ELb1EEvPKT_PKfPKiPfiiiiiiiiiiiiiiii,"axG",@progbits,_ZL9mul_mat_fI15__hip_bfloat162Li64ELi13ELi3ELb1EEvPKT_PKfPKiPfiiiiiiiiiiiiiiii,comdat
	.globl	_ZL9mul_mat_fI15__hip_bfloat162Li64ELi13ELi3ELb1EEvPKT_PKfPKiPfiiiiiiiiiiiiiiii ; -- Begin function _ZL9mul_mat_fI15__hip_bfloat162Li64ELi13ELi3ELb1EEvPKT_PKfPKiPfiiiiiiiiiiiiiiii
	.p2align	8
	.type	_ZL9mul_mat_fI15__hip_bfloat162Li64ELi13ELi3ELb1EEvPKT_PKfPKiPfiiiiiiiiiiiiiiii,@function
_ZL9mul_mat_fI15__hip_bfloat162Li64ELi13ELi3ELb1EEvPKT_PKfPKiPfiiiiiiiiiiiiiiii: ; @_ZL9mul_mat_fI15__hip_bfloat162Li64ELi13ELi3ELb1EEvPKT_PKfPKiPfiiiiiiiiiiiiiiii
; %bb.0:
	s_load_dwordx8 s[44:51], s[0:1], 0x20
	s_mov_b32 s24, s4
	v_bfe_u32 v80, v0, 10, 10
	s_waitcnt lgkmcnt(0)
	s_add_i32 s4, s45, 12
	s_mul_hi_i32 s4, s4, 0x4ec4ec4f
	s_lshr_b32 s5, s4, 31
	s_ashr_i32 s4, s4, 2
	s_add_i32 s4, s4, s5
	v_cvt_f32_u32_e32 v1, s4
	s_load_dword s5, s[0:1], 0x64
	s_add_u32 s14, s0, 0x60
	s_addc_u32 s15, s1, 0
	v_rcp_iflag_f32_e32 v1, v1
	s_sub_i32 s6, 0, s4
	s_load_dwordx4 s[52:55], s[0:1], 0x44
	s_load_dwordx2 s[8:9], s[0:1], 0x10
	v_mul_f32_e32 v1, 0x4f7ffffe, v1
	v_cvt_u32_f32_e32 v1, v1
	v_mul_lo_u32 v2, s6, v1
	v_mul_hi_u32 v2, v1, v2
	v_add_u32_e32 v1, v1, v2
	s_waitcnt lgkmcnt(0)
	v_mul_hi_u32 v1, s5, v1
	v_mul_lo_u32 v2, v1, s4
	v_sub_u32_e32 v2, s5, v2
	v_add_u32_e32 v3, 1, v1
	v_subrev_u32_e32 v4, s4, v2
	v_cmp_le_u32_e32 vcc, s4, v2
	s_nop 1
	v_cndmask_b32_e32 v1, v1, v3, vcc
	v_cndmask_b32_e32 v2, v2, v4, vcc
	v_add_u32_e32 v3, 1, v1
	v_cmp_le_u32_e32 vcc, s4, v2
	s_nop 1
	v_cndmask_b32_e32 v1, v1, v3, vcc
	v_cvt_f32_u32_e32 v2, v1
	v_sub_u32_e32 v4, 0, v1
	v_rcp_iflag_f32_e32 v2, v2
	s_nop 0
	v_mul_f32_e32 v2, 0x4f7ffffe, v2
	v_cvt_u32_f32_e32 v3, v2
	v_and_b32_e32 v2, 0x3ff, v0
	v_cmp_eq_u32_e32 vcc, 0, v2
	v_mul_lo_u32 v4, v4, v3
	v_mul_hi_u32 v4, v3, v4
	v_add_u32_e32 v3, v3, v4
	v_mul_hi_u32 v3, s3, v3
	s_and_saveexec_b64 s[6:7], vcc
; %bb.1:
	v_mov_b32_e32 v4, 0x100
	v_lshl_add_u32 v4, v80, 2, v4
	v_mov_b32_e32 v5, -1
	ds_write_b32 v4, v5
; %bb.2:
	s_or_b64 exec, exec, s[6:7]
	v_mul_lo_u32 v4, v3, v1
	v_sub_u32_e32 v4, s3, v4
	v_add_u32_e32 v5, 1, v3
	v_sub_u32_e32 v6, v4, v1
	v_cmp_ge_u32_e64 s[6:7], v4, v1
	v_cmp_gt_i32_e64 s[10:11], s46, v2
	s_nop 0
	v_cndmask_b32_e64 v3, v3, v5, s[6:7]
	v_cndmask_b32_e64 v4, v4, v6, s[6:7]
	v_add_u32_e32 v5, 1, v3
	v_cmp_ge_u32_e64 s[6:7], v4, v1
	s_nop 1
	v_cndmask_b32_e64 v3, v3, v5, s[6:7]
	v_mul_lo_u32 v1, v3, v1
	v_mul_lo_u32 v3, v3, 13
	v_mul_hi_i32 v5, v3, s51
	v_mul_lo_u32 v4, v3, s51
	v_sub_u32_e32 v10, s3, v1
	v_lshlrev_b64 v[4:5], 2, v[4:5]
	v_add_u32_e32 v1, v80, v3
	v_lshl_add_u64 v[4:5], s[8:9], 0, v[4:5]
	v_cmp_gt_i32_e64 s[26:27], s45, v1
	v_mov_b32_e32 v1, 0
	s_and_saveexec_b64 s[12:13], s[26:27]
	s_cbranch_execz .LBB130_10
; %bb.3:
	v_mov_b32_e32 v1, 0
	s_and_saveexec_b64 s[16:17], s[10:11]
	s_cbranch_execz .LBB130_9
; %bb.4:
	v_mul_lo_u32 v6, v80, s51
	v_ashrrev_i32_e32 v7, 31, v6
	v_mov_b32_e32 v1, 0x100
	v_lshl_add_u64 v[6:7], v[6:7], 2, v[4:5]
	v_lshl_add_u32 v11, v80, 2, v1
	v_mul_lo_u32 v8, v2, s50
	s_lshl_b32 s3, s50, 6
	v_mov_b32_e32 v1, 0
	s_mov_b64 s[18:19], 0
	v_mov_b32_e32 v12, v2
	s_branch .LBB130_6
.LBB130_5:                              ;   in Loop: Header=BB130_6 Depth=1
	s_or_b64 exec, exec, s[20:21]
	v_add_u32_e32 v12, 64, v12
	v_cmp_le_i32_e64 s[8:9], s46, v12
	s_xor_b64 s[4:5], s[6:7], -1
	s_or_b64 s[4:5], s[4:5], s[8:9]
	s_and_b64 s[4:5], exec, s[4:5]
	s_or_b64 s[18:19], s[4:5], s[18:19]
	v_add_u32_e32 v8, s3, v8
	s_andn2_b64 exec, exec, s[18:19]
	s_cbranch_execz .LBB130_8
.LBB130_6:                              ; =>This Inner Loop Header: Depth=1
	v_ashrrev_i32_e32 v9, 31, v8
	v_lshl_add_u64 v[14:15], v[8:9], 2, v[6:7]
	global_load_dword v9, v[14:15], off
	s_waitcnt vmcnt(0)
	v_cmp_ne_u32_e64 s[6:7], v9, v10
	v_cmp_eq_u32_e64 s[8:9], v9, v10
	s_and_saveexec_b64 s[20:21], s[8:9]
	s_cbranch_execz .LBB130_5
; %bb.7:                                ;   in Loop: Header=BB130_6 Depth=1
	v_mov_b32_e32 v1, 1
	ds_write_b32 v11, v12
	s_branch .LBB130_5
.LBB130_8:
	s_or_b64 exec, exec, s[18:19]
.LBB130_9:
	s_or_b64 exec, exec, s[16:17]
.LBB130_10:
	s_or_b64 exec, exec, s[12:13]
	s_abs_i32 s3, s55
	s_and_saveexec_b64 s[6:7], vcc
; %bb.11:
	v_mov_b32_e32 v6, 0x100
	v_lshl_add_u32 v6, v80, 2, v6
	v_mov_b32_e32 v7, -1
	ds_write_b32 v6, v7 offset:12
; %bb.12:
	s_or_b64 exec, exec, s[6:7]
	v_cvt_f32_u32_e32 v11, s3
	v_add_u32_e32 v81, 3, v80
	v_add_u32_e32 v6, v81, v3
	v_cmp_gt_i32_e64 s[4:5], s45, v6
	s_mov_b64 s[12:13], exec
                                        ; implicit-def: $vgpr92 : SGPR spill to VGPR lane
	s_nop 0
	v_writelane_b32 v92, s4, 0
	s_nop 1
	v_writelane_b32 v92, s5, 1
	s_and_b64 s[4:5], s[12:13], s[4:5]
	s_mov_b64 exec, s[4:5]
	s_cbranch_execz .LBB130_20
; %bb.13:
	s_and_saveexec_b64 s[16:17], s[10:11]
	s_cbranch_execz .LBB130_19
; %bb.14:
	v_mul_lo_u32 v6, v81, s51
	v_ashrrev_i32_e32 v7, 31, v6
	v_mov_b32_e32 v8, 0x100
	v_lshl_add_u64 v[6:7], v[6:7], 2, v[4:5]
	v_lshl_add_u32 v12, v80, 2, v8
	v_mul_lo_u32 v8, v2, s50
	s_lshl_b32 s4, s50, 6
	s_mov_b64 s[18:19], 0
	v_mov_b32_e32 v13, v2
	s_branch .LBB130_16
.LBB130_15:                             ;   in Loop: Header=BB130_16 Depth=1
	s_or_b64 exec, exec, s[20:21]
	v_add_u32_e32 v13, 64, v13
	v_cmp_le_i32_e64 s[8:9], s46, v13
	s_xor_b64 s[6:7], s[6:7], -1
	s_or_b64 s[6:7], s[6:7], s[8:9]
	s_and_b64 s[6:7], exec, s[6:7]
	s_or_b64 s[18:19], s[6:7], s[18:19]
	v_add_u32_e32 v8, s4, v8
	s_andn2_b64 exec, exec, s[18:19]
	s_cbranch_execz .LBB130_18
.LBB130_16:                             ; =>This Inner Loop Header: Depth=1
	v_ashrrev_i32_e32 v9, 31, v8
	v_lshl_add_u64 v[14:15], v[8:9], 2, v[6:7]
	global_load_dword v9, v[14:15], off
	s_waitcnt vmcnt(0)
	v_cmp_ne_u32_e64 s[6:7], v9, v10
	v_cmp_eq_u32_e64 s[8:9], v9, v10
	s_and_saveexec_b64 s[20:21], s[8:9]
	s_cbranch_execz .LBB130_15
; %bb.17:                               ;   in Loop: Header=BB130_16 Depth=1
	v_mov_b32_e32 v1, 1
	ds_write_b32 v12, v13 offset:12
	s_branch .LBB130_15
.LBB130_18:
	s_or_b64 exec, exec, s[18:19]
.LBB130_19:
	s_or_b64 exec, exec, s[16:17]
.LBB130_20:
	s_or_b64 exec, exec, s[12:13]
	v_rcp_iflag_f32_e32 v6, v11
	s_and_saveexec_b64 s[6:7], vcc
; %bb.21:
	v_mov_b32_e32 v7, 0x100
	v_lshl_add_u32 v7, v80, 2, v7
	v_mov_b32_e32 v8, -1
	ds_write_b32 v7, v8 offset:24
; %bb.22:
	s_or_b64 exec, exec, s[6:7]
	v_add_u32_e32 v82, 6, v80
	v_mul_f32_e32 v11, 0x4f7ffffe, v6
	v_add_u32_e32 v6, v82, v3
	v_cmp_gt_i32_e64 s[4:5], s45, v6
	s_mov_b64 s[12:13], exec
	s_nop 0
	v_writelane_b32 v92, s4, 2
	s_nop 1
	v_writelane_b32 v92, s5, 3
	s_and_b64 s[4:5], s[12:13], s[4:5]
	s_mov_b64 exec, s[4:5]
	s_cbranch_execz .LBB130_30
; %bb.23:
	s_and_saveexec_b64 s[16:17], s[10:11]
	s_cbranch_execz .LBB130_29
; %bb.24:
	v_mul_lo_u32 v6, v82, s51
	v_ashrrev_i32_e32 v7, 31, v6
	v_mov_b32_e32 v8, 0x100
	v_lshl_add_u64 v[6:7], v[6:7], 2, v[4:5]
	v_lshl_add_u32 v12, v80, 2, v8
	v_mul_lo_u32 v8, v2, s50
	s_lshl_b32 s4, s50, 6
	s_mov_b64 s[18:19], 0
	v_mov_b32_e32 v13, v2
	s_branch .LBB130_26
.LBB130_25:                             ;   in Loop: Header=BB130_26 Depth=1
	s_or_b64 exec, exec, s[20:21]
	v_add_u32_e32 v13, 64, v13
	v_cmp_le_i32_e64 s[8:9], s46, v13
	s_xor_b64 s[6:7], s[6:7], -1
	s_or_b64 s[6:7], s[6:7], s[8:9]
	s_and_b64 s[6:7], exec, s[6:7]
	s_or_b64 s[18:19], s[6:7], s[18:19]
	v_add_u32_e32 v8, s4, v8
	s_andn2_b64 exec, exec, s[18:19]
	s_cbranch_execz .LBB130_28
.LBB130_26:                             ; =>This Inner Loop Header: Depth=1
	v_ashrrev_i32_e32 v9, 31, v8
	v_lshl_add_u64 v[14:15], v[8:9], 2, v[6:7]
	global_load_dword v9, v[14:15], off
	s_waitcnt vmcnt(0)
	v_cmp_ne_u32_e64 s[6:7], v9, v10
	v_cmp_eq_u32_e64 s[8:9], v9, v10
	s_and_saveexec_b64 s[20:21], s[8:9]
	s_cbranch_execz .LBB130_25
; %bb.27:                               ;   in Loop: Header=BB130_26 Depth=1
	v_mov_b32_e32 v1, 1
	ds_write_b32 v12, v13 offset:24
	s_branch .LBB130_25
.LBB130_28:
	s_or_b64 exec, exec, s[18:19]
.LBB130_29:
	s_or_b64 exec, exec, s[16:17]
.LBB130_30:
	s_or_b64 exec, exec, s[12:13]
	v_cvt_u32_f32_e32 v11, v11
	s_sub_i32 s4, 0, s3
	s_and_saveexec_b64 s[6:7], vcc
; %bb.31:
	v_mov_b32_e32 v6, 0x100
	v_lshl_add_u32 v6, v80, 2, v6
	v_mov_b32_e32 v7, -1
	ds_write_b32 v6, v7 offset:36
; %bb.32:
	s_or_b64 exec, exec, s[6:7]
	v_add_u32_e32 v83, 9, v80
	v_mul_lo_u32 v12, s4, v11
	v_add_u32_e32 v6, v83, v3
	v_cmp_gt_i32_e64 s[4:5], s45, v6
	s_mov_b64 s[16:17], exec
	s_nop 0
	v_writelane_b32 v92, s4, 4
	s_nop 1
	v_writelane_b32 v92, s5, 5
	s_and_b64 s[4:5], s[16:17], s[4:5]
	s_mov_b64 exec, s[4:5]
	s_cbranch_execz .LBB130_40
; %bb.33:
	s_and_saveexec_b64 s[18:19], s[10:11]
	s_cbranch_execz .LBB130_39
; %bb.34:
	v_mul_lo_u32 v6, v83, s51
	v_ashrrev_i32_e32 v7, 31, v6
	v_mov_b32_e32 v8, 0x100
	v_lshl_add_u64 v[6:7], v[6:7], 2, v[4:5]
	v_lshl_add_u32 v13, v80, 2, v8
	v_mul_lo_u32 v8, v2, s50
	s_lshl_b32 s4, s50, 6
	s_mov_b64 s[20:21], 0
	v_mov_b32_e32 v14, v2
	s_branch .LBB130_36
.LBB130_35:                             ;   in Loop: Header=BB130_36 Depth=1
	s_or_b64 exec, exec, s[22:23]
	v_add_u32_e32 v14, 64, v14
	v_cmp_le_i32_e64 s[12:13], s46, v14
	s_xor_b64 s[6:7], s[8:9], -1
	s_or_b64 s[6:7], s[6:7], s[12:13]
	s_and_b64 s[6:7], exec, s[6:7]
	s_or_b64 s[20:21], s[6:7], s[20:21]
	v_add_u32_e32 v8, s4, v8
	s_andn2_b64 exec, exec, s[20:21]
	s_cbranch_execz .LBB130_38
.LBB130_36:                             ; =>This Inner Loop Header: Depth=1
	v_ashrrev_i32_e32 v9, 31, v8
	v_lshl_add_u64 v[16:17], v[8:9], 2, v[6:7]
	global_load_dword v9, v[16:17], off
	s_waitcnt vmcnt(0)
	v_cmp_ne_u32_e64 s[8:9], v9, v10
	v_cmp_eq_u32_e64 s[12:13], v9, v10
	s_and_saveexec_b64 s[22:23], s[12:13]
	s_cbranch_execz .LBB130_35
; %bb.37:                               ;   in Loop: Header=BB130_36 Depth=1
	v_mov_b32_e32 v1, 1
	ds_write_b32 v13, v14 offset:36
	s_branch .LBB130_35
.LBB130_38:
	s_or_b64 exec, exec, s[20:21]
.LBB130_39:
	s_or_b64 exec, exec, s[18:19]
.LBB130_40:
	s_or_b64 exec, exec, s[16:17]
	v_mul_hi_u32 v6, v11, v12
	s_and_saveexec_b64 s[8:9], vcc
; %bb.41:
	v_mov_b32_e32 v7, 0x100
	v_lshl_add_u32 v7, v80, 2, v7
	v_mov_b32_e32 v8, -1
	ds_write_b32 v7, v8 offset:48
; %bb.42:
	s_or_b64 exec, exec, s[8:9]
	s_load_dwordx4 s[28:31], s[0:1], 0x54
	v_add_u32_e32 v8, v11, v6
	v_add_u32_e32 v6, 12, v80
	s_abs_i32 s4, s24
	v_add_u32_e32 v7, v6, v3
	v_cmp_gt_i32_e64 s[6:7], s45, v7
	s_mov_b64 s[12:13], exec
	s_nop 0
	v_writelane_b32 v92, s6, 6
	s_nop 1
	v_writelane_b32 v92, s7, 7
	s_and_b64 s[6:7], s[12:13], s[6:7]
	s_mov_b64 exec, s[6:7]
	s_cbranch_execz .LBB130_50
; %bb.43:
	s_and_saveexec_b64 s[16:17], s[10:11]
	s_cbranch_execz .LBB130_49
; %bb.44:
	v_mul_lo_u32 v6, v6, s51
	v_ashrrev_i32_e32 v7, 31, v6
	v_lshl_add_u64 v[4:5], v[6:7], 2, v[4:5]
	v_mov_b32_e32 v6, 0x100
	v_lshl_add_u32 v9, v80, 2, v6
	v_mul_lo_u32 v6, v2, s50
	s_lshl_b32 s5, s50, 6
	s_mov_b64 s[18:19], 0
	v_mov_b32_e32 v11, v2
	s_branch .LBB130_46
.LBB130_45:                             ;   in Loop: Header=BB130_46 Depth=1
	s_or_b64 exec, exec, s[20:21]
	v_add_u32_e32 v11, 64, v11
	v_cmp_le_i32_e64 s[10:11], s46, v11
	s_xor_b64 s[6:7], vcc, -1
	s_or_b64 s[6:7], s[6:7], s[10:11]
	s_and_b64 s[6:7], exec, s[6:7]
	s_or_b64 s[18:19], s[6:7], s[18:19]
	v_add_u32_e32 v6, s5, v6
	s_andn2_b64 exec, exec, s[18:19]
	s_cbranch_execz .LBB130_48
.LBB130_46:                             ; =>This Inner Loop Header: Depth=1
	v_ashrrev_i32_e32 v7, 31, v6
	v_lshl_add_u64 v[12:13], v[6:7], 2, v[4:5]
	global_load_dword v7, v[12:13], off
	s_waitcnt vmcnt(0)
	v_cmp_ne_u32_e32 vcc, v7, v10
	v_cmp_eq_u32_e64 s[10:11], v7, v10
	s_and_saveexec_b64 s[20:21], s[10:11]
	s_cbranch_execz .LBB130_45
; %bb.47:                               ;   in Loop: Header=BB130_46 Depth=1
	v_mov_b32_e32 v1, 1
	ds_write_b32 v9, v11 offset:48
	s_branch .LBB130_45
.LBB130_48:
	s_or_b64 exec, exec, s[18:19]
.LBB130_49:
	s_or_b64 exec, exec, s[16:17]
.LBB130_50:
	s_or_b64 exec, exec, s[12:13]
	s_load_dwordx2 s[6:7], s[14:15], 0xc
	s_load_dwordx2 s[12:13], s[0:1], 0x8
	;; [unrolled: 1-line block ×3, first 2 shown]
	v_or_b32_dpp v1, v1, v1 row_shl:1 row_mask:0xf bank_mask:0xf bound_ctrl:1
	v_mul_hi_u32 v4, s4, v8
	s_waitcnt lgkmcnt(0)
	s_and_b32 s5, s7, 0xffff
	s_lshr_b32 s7, s6, 16
	v_writelane_b32 v92, s8, 8
	s_and_b32 s6, s6, 0xffff
	v_or_b32_dpp v1, v1, v1 row_shl:2 row_mask:0xf bank_mask:0xf bound_ctrl:1
	v_writelane_b32 v92, s9, 9
	s_mul_i32 s8, s7, s6
	v_or_b32_dpp v1, v1, v1 row_shl:4 row_mask:0xf bank_mask:0xf bound_ctrl:1
	s_bfe_i32 s8, s8, 0x180000
	s_mul_i32 s5, s8, s5
	v_or_b32_dpp v1, v1, v1 row_shl:8 row_mask:0xf bank_mask:0xf bound_ctrl:1
	s_add_i32 s8, s5, 63
	s_bitcmp1_b32 exec_hi, 0
	v_mov_b32_dpp v5, v1 wave_shl:1 row_mask:0xf bank_mask:0xf bound_ctrl:1
                                        ; kill: killed $sgpr14 killed $sgpr15
	s_nop 1
	v_or_b32_dpp v1, v5, v1 row_mirror row_mask:0xf bank_mask:0xf bound_ctrl:1
	s_nop 0
	v_readlane_b32 s5, v1, 32
	s_cselect_b32 s5, s5, 0
	v_readlane_b32 s9, v1, 0
	s_or_b32 s5, s5, s9
	s_andn2_b32 s8, s8, 63
	s_cmp_lg_u32 s8, 64
	v_mov_b32_e32 v1, s5
	s_cbranch_scc0 .LBB130_57
; %bb.51:
	v_bfe_u32 v0, v0, 20, 10
	v_mbcnt_lo_u32_b32 v1, -1, 0
	v_mad_u32_u24 v0, v0, s7, v80
	v_mbcnt_hi_u32_b32 v5, -1, v1
	v_mad_u64_u32 v[0:1], s[6:7], v0, s6, v[2:3]
	v_lshrrev_b32_e32 v1, 6, v0
	v_or_b32_e32 v1, v5, v1
	v_cmp_eq_u32_e32 vcc, 0, v1
	s_and_saveexec_b64 s[10:11], vcc
; %bb.52:
	v_mov_b32_e32 v1, 0
	v_mov_b32_e32 v6, s5
	ds_write_b32 v1, v6
; %bb.53:
	s_or_b64 exec, exec, s[10:11]
	v_cmp_eq_u32_e32 vcc, 0, v5
	v_cmp_lt_u32_e64 s[10:11], 63, v0
	s_and_b64 s[6:7], s[10:11], vcc
	s_waitcnt lgkmcnt(0)
	s_barrier
	s_and_saveexec_b64 s[10:11], s[6:7]
	s_cbranch_execz .LBB130_56
; %bb.54:
	v_mbcnt_lo_u32_b32 v0, exec_lo, 0
	v_mbcnt_hi_u32_b32 v0, exec_hi, v0
	v_cmp_eq_u32_e32 vcc, 0, v0
	s_and_b64 exec, exec, vcc
; %bb.55:
	v_mov_b32_e32 v0, 0
	v_mov_b32_e32 v1, s5
	ds_or_b32 v0, v1
.LBB130_56:
	s_or_b64 exec, exec, s[10:11]
	v_mov_b32_e32 v0, 0
	s_waitcnt lgkmcnt(0)
	s_barrier
	ds_read_b32 v1, v0
	s_waitcnt lgkmcnt(0)
	s_barrier
.LBB130_57:
	s_load_dwordx2 s[10:11], s[0:1], 0x0
	v_cmp_ne_u32_e32 vcc, 0, v1
	s_ashr_i32 s5, s24, 31
	s_ashr_i32 s6, s55, 31
	s_cbranch_vccz .LBB130_135
; %bb.58:
	v_lshlrev_b32_e32 v84, 6, v80
	v_add_u32_e32 v86, v84, v2
	v_cmp_le_i32_e32 vcc, s44, v86
	v_and_b32_e32 v85, 15, v2
	s_and_saveexec_b64 s[0:1], vcc
	s_xor_b64 s[0:1], exec, s[0:1]
; %bb.59:
	v_and_b32_e32 v85, 15, v2
                                        ; implicit-def: $vgpr86
                                        ; implicit-def: $vgpr4
                                        ; implicit-def: $vgpr10
; %bb.60:
	s_or_saveexec_b64 s[0:1], s[0:1]
	s_lshl_b32 s7, s2, 6
	v_mov_b32_e32 v1, 0
	v_accvgpr_write_b32 a0, 0
	v_accvgpr_write_b32 a1, 0
	;; [unrolled: 1-line block ×16, first 2 shown]
	v_writelane_b32 v92, s0, 10
	s_nop 1
	v_writelane_b32 v92, s1, 11
	s_xor_b64 exec, exec, s[0:1]
	s_cbranch_execz .LBB130_116
; %bb.61:
	v_mul_lo_u32 v0, v4, s3
	v_sub_u32_e32 v0, s4, v0
	v_add_u32_e32 v5, 1, v4
	v_subrev_u32_e32 v6, s3, v0
	v_cmp_le_u32_e32 vcc, s3, v0
	s_xor_b32 s0, s5, s6
	v_writelane_b32 v92, s26, 12
	v_cndmask_b32_e32 v4, v4, v5, vcc
	v_cndmask_b32_e32 v0, v0, v6, vcc
	v_add_u32_e32 v5, 1, v4
	v_cmp_le_u32_e32 vcc, s3, v0
	v_writelane_b32 v92, s27, 13
	v_writelane_b32 v92, s7, 14
	v_cndmask_b32_e32 v0, v4, v5, vcc
	v_xor_b32_e32 v0, s0, v0
	v_subrev_u32_e32 v0, s0, v0
	s_mul_i32 s0, s47, s7
	s_ashr_i32 s1, s0, 31
	s_lshl_b64 s[2:3], s[0:1], 2
	s_movk_i32 s0, 0x1080
	v_mov_b32_e32 v87, 0x100
	v_writelane_b32 v92, s24, 15
	v_mul_hi_i32 v5, v0, s28
	v_mul_lo_u32 v4, v0, s28
	v_mul_lo_u32 v6, v10, s52
	v_mad_u32_u24 v0, v80, s0, v87
	s_mul_hi_i32 s1, s29, s24
	v_writelane_b32 v92, s28, 16
	s_mul_i32 s0, s29, s24
	v_ashrrev_i32_e32 v7, 31, v6
	s_lshl_b64 s[0:1], s[0:1], 2
	v_lshlrev_b64 v[10:11], 2, v[6:7]
	v_writelane_b32 v92, s29, 17
	v_mul_hi_i32 v7, s48, v3
	v_mul_lo_u32 v6, s48, v3
	s_add_u32 s0, s12, s0
	v_writelane_b32 v92, s30, 18
	v_lshlrev_b64 v[6:7], 3, v[6:7]
	s_addc_u32 s1, s13, s1
	v_writelane_b32 v92, s31, 19
	v_lshl_add_u64 v[6:7], s[0:1], 0, v[6:7]
	s_lshl_b32 s0, s48, 3
	v_writelane_b32 v92, s0, 20
	s_mul_i32 s0, s48, 6
	v_lshlrev_b64 v[8:9], 2, v[4:5]
	v_writelane_b32 v92, s0, 21
	s_lshl_b32 s0, s48, 4
	s_waitcnt lgkmcnt(0)
	v_lshl_add_u64 v[4:5], s[10:11], 0, v[8:9]
	v_writelane_b32 v92, s0, 22
	s_mul_i32 s0, s48, 10
	v_lshl_add_u64 v[4:5], v[4:5], 0, v[10:11]
	v_writelane_b32 v92, s0, 23
	s_mul_i32 s0, s48, 12
	s_ashr_i32 s13, s47, 31
	s_mov_b32 s12, s47
	v_lshl_add_u64 v[4:5], v[4:5], 0, s[2:3]
	v_lshrrev_b32_e32 v13, 1, v2
	v_writelane_b32 v92, s0, 24
	v_lshl_add_u64 v[8:9], v[8:9], 0, s[2:3]
	s_lshl_b64 s[2:3], s[12:13], 2
	s_mul_i32 s12, s48, 24
	v_mul_u32_u24_e32 v12, 0x108, v85
	v_and_b32_e32 v13, 0x1f8, v13
	v_writelane_b32 v92, s12, 25
	s_mul_i32 s12, s48, 22
	v_lshl_add_u32 v88, v2, 2, v0
	v_add3_u32 v89, v0, v12, v13
	v_lshl_add_u64 v[8:9], v[8:9], 0, v[10:11]
	v_lshlrev_b32_e32 v0, 1, v2
	v_writelane_b32 v92, s12, 26
	s_mul_i32 s12, s48, 20
	v_add_u32_e32 v12, 1, v3
	v_add_u32_e32 v13, 2, v3
	s_lshl_b32 s46, s48, 2
	v_add_u32_e32 v14, 3, v3
	v_add_u32_e32 v15, 4, v3
	v_add_u32_e32 v16, 5, v3
	v_add_u32_e32 v17, 6, v3
	v_add_u32_e32 v18, 7, v3
	v_add_u32_e32 v19, 8, v3
	v_add_u32_e32 v20, 9, v3
	v_add_u32_e32 v21, 10, v3
	v_add_u32_e32 v22, 11, v3
	v_add_u32_e32 v23, 12, v3
	v_lshl_add_u64 v[8:9], s[10:11], 0, v[8:9]
	v_lshl_add_u32 v90, v80, 7, v0
	v_lshlrev_b32_e32 v0, 2, v86
	v_writelane_b32 v92, s12, 27
	s_mul_i32 s12, s48, 18
	s_add_i32 s60, s47, s47
	s_mul_i32 s61, s47, 3
	s_lshl_b32 s62, s47, 2
	s_mul_i32 s63, s47, 5
	s_mul_i32 s64, s47, 6
	;; [unrolled: 1-line block ×3, first 2 shown]
	s_lshl_b32 s66, s47, 3
	s_mul_i32 s67, s47, 9
	s_mul_i32 s68, s47, 10
	;; [unrolled: 1-line block ×7, first 2 shown]
	s_lshl_b32 s74, s47, 4
	s_mul_i32 s75, s47, 17
	s_mul_i32 s76, s47, 18
	;; [unrolled: 1-line block ×15, first 2 shown]
	s_lshl_b32 s90, s47, 5
	s_mul_i32 s91, s47, 33
	s_mul_i32 s92, s47, 34
	;; [unrolled: 1-line block ×17, first 2 shown]
	v_cmp_gt_i32_e64 s[10:11], s45, v3
	s_mul_i32 s43, s47, 50
	s_mul_i32 s40, s47, 51
	v_accvgpr_write_b32 a15, 0
	v_accvgpr_write_b32 a14, 0
	;; [unrolled: 1-line block ×16, first 2 shown]
	v_lshl_add_u64 v[8:9], v[8:9], 0, v[0:1]
	s_mul_i32 s41, s47, 52
	s_mul_i32 s6, s47, 53
	;; [unrolled: 1-line block ×12, first 2 shown]
	v_writelane_b32 v92, s12, 28
	s_mul_i32 s59, s48, 14
	s_lshl_b32 s48, s48, 1
	v_cmp_gt_i32_e64 s[12:13], s45, v12
	v_cmp_gt_i32_e64 s[14:15], s45, v13
	;; [unrolled: 1-line block ×12, first 2 shown]
	s_mov_b32 s45, s46
	s_mov_b64 s[46:47], 0
	s_branch .LBB130_64
.LBB130_62:                             ;   in Loop: Header=BB130_64 Depth=1
	v_mul_lo_u32 v0, v0, s53
	v_readlane_b32 vcc_lo, v92, 25
	s_nop 1
	v_add_u32_e32 v0, vcc_lo, v0
	v_add_u32_e32 v74, v0, v90
	v_ashrrev_i32_e32 v75, 31, v74
	v_lshl_add_u64 v[74:75], v[74:75], 2, v[6:7]
	global_load_dwordx2 v[74:75], v[74:75], off
.LBB130_63:                             ;   in Loop: Header=BB130_64 Depth=1
	s_waitcnt vmcnt(0)
	v_cvt_pk_bf16_f32 v0, v74, v75
	v_add_u32_e32 v74, 0xc00, v88
	ds_write2_b32 v74, v0, v1 offset0:40 offset1:106
	ds_write2_b32 v74, v1, v1 offset0:172 offset1:238
	ds_read2_b64 v[74:77], v89 offset0:8 offset1:12
	v_add_u32_e32 v86, 0xc0, v86
	s_mov_b64 vcc, 0x300
	v_lshl_add_u64 v[8:9], v[8:9], 0, vcc
	s_waitcnt lgkmcnt(0)
	v_mfma_f32_16x16x16_bf16 a[12:15], v[16:17], v[74:75], a[12:15]
	v_cmp_le_i32_e32 vcc, s44, v86
	v_add_u32_e32 v90, 0x180, v90
	s_or_b64 s[46:47], vcc, s[46:47]
	v_mfma_f32_16x16x16_bf16 a[8:11], v[42:43], v[74:75], a[8:11]
	v_mfma_f32_16x16x16_bf16 a[4:7], v[56:57], v[74:75], a[4:7]
	;; [unrolled: 1-line block ×4, first 2 shown]
	ds_read2_b64 v[14:17], v89 offset0:16 offset1:20
	v_mfma_f32_16x16x16_bf16 a[8:11], v[40:41], v[76:77], a[8:11]
	v_mfma_f32_16x16x16_bf16 a[4:7], v[54:55], v[76:77], a[4:7]
	;; [unrolled: 1-line block ×3, first 2 shown]
	s_waitcnt lgkmcnt(0)
	v_mfma_f32_16x16x16_bf16 a[12:15], v[12:13], v[14:15], a[12:15]
	v_mfma_f32_16x16x16_bf16 a[8:11], v[36:37], v[14:15], a[8:11]
	;; [unrolled: 1-line block ×5, first 2 shown]
	ds_read2_b64 v[10:13], v89 offset0:24 offset1:28
	v_mfma_f32_16x16x16_bf16 a[8:11], v[34:35], v[16:17], a[8:11]
	v_mfma_f32_16x16x16_bf16 a[4:7], v[50:51], v[16:17], a[4:7]
	;; [unrolled: 1-line block ×3, first 2 shown]
	s_waitcnt lgkmcnt(0)
	v_mfma_f32_16x16x16_bf16 a[12:15], v[24:25], v[10:11], a[12:15]
	v_mfma_f32_16x16x16_bf16 a[8:11], v[32:33], v[10:11], a[8:11]
	;; [unrolled: 1-line block ×8, first 2 shown]
	ds_read2_b64 v[10:13], v89 offset0:32 offset1:36
	s_waitcnt lgkmcnt(0)
	v_mfma_f32_16x16x16_bf16 a[12:15], v[20:21], v[10:11], a[12:15]
	v_mfma_f32_16x16x16_bf16 a[8:11], v[28:29], v[10:11], a[8:11]
	;; [unrolled: 1-line block ×8, first 2 shown]
	s_andn2_b64 exec, exec, s[46:47]
	s_cbranch_execz .LBB130_115
.LBB130_64:                             ; =>This Inner Loop Header: Depth=1
	v_lshl_add_u64 v[10:11], v[8:9], 0, s[2:3]
	global_load_dword v0, v[8:9], off
	global_load_dword v26, v[10:11], off
	v_add_u32_e32 v10, s60, v86
	v_add_u32_e32 v14, s62, v86
	;; [unrolled: 1-line block ×4, first 2 shown]
	v_ashrrev_i32_e32 v11, 31, v10
	v_add_u32_e32 v12, s61, v86
	v_ashrrev_i32_e32 v15, 31, v14
	v_ashrrev_i32_e32 v17, 31, v16
	v_add_u32_e32 v18, s64, v86
	v_add_u32_e32 v20, s65, v86
	v_ashrrev_i32_e32 v23, 31, v22
	v_add_u32_e32 v24, s67, v86
	v_lshl_add_u64 v[10:11], v[10:11], 2, v[4:5]
	v_ashrrev_i32_e32 v13, 31, v12
	v_lshl_add_u64 v[14:15], v[14:15], 2, v[4:5]
	v_lshl_add_u64 v[16:17], v[16:17], 2, v[4:5]
	v_ashrrev_i32_e32 v19, 31, v18
	v_ashrrev_i32_e32 v21, 31, v20
	v_lshl_add_u64 v[22:23], v[22:23], 2, v[4:5]
	v_ashrrev_i32_e32 v25, 31, v24
	v_lshl_add_u64 v[12:13], v[12:13], 2, v[4:5]
	v_lshl_add_u64 v[18:19], v[18:19], 2, v[4:5]
	;; [unrolled: 1-line block ×4, first 2 shown]
	global_load_dword v27, v[10:11], off
	global_load_dword v28, v[12:13], off
	;; [unrolled: 1-line block ×6, first 2 shown]
	s_nop 0
	global_load_dword v22, v[22:23], off
	s_nop 0
	global_load_dword v23, v[24:25], off
	v_add_u32_e32 v10, s68, v86
	v_add_u32_e32 v14, s70, v86
	;; [unrolled: 1-line block ×3, first 2 shown]
	v_ashrrev_i32_e32 v11, 31, v10
	v_add_u32_e32 v12, s69, v86
	v_ashrrev_i32_e32 v15, 31, v14
	v_ashrrev_i32_e32 v17, 31, v16
	v_add_u32_e32 v18, s72, v86
	v_add_u32_e32 v20, s73, v86
	v_lshl_add_u64 v[10:11], v[10:11], 2, v[4:5]
	v_ashrrev_i32_e32 v13, 31, v12
	v_lshl_add_u64 v[14:15], v[14:15], 2, v[4:5]
	v_lshl_add_u64 v[16:17], v[16:17], 2, v[4:5]
	v_ashrrev_i32_e32 v19, 31, v18
	v_ashrrev_i32_e32 v21, 31, v20
	v_lshl_add_u64 v[12:13], v[12:13], 2, v[4:5]
	v_lshl_add_u64 v[18:19], v[18:19], 2, v[4:5]
	;; [unrolled: 1-line block ×3, first 2 shown]
	global_load_dword v24, v[10:11], off
	global_load_dword v25, v[12:13], off
	s_nop 0
	global_load_dword v14, v[14:15], off
	s_nop 0
	;; [unrolled: 2-line block ×3, first 2 shown]
	global_load_dword v16, v[18:19], off
	global_load_dword v17, v[20:21], off
	v_add_u32_e32 v10, s74, v86
	v_add_u32_e32 v12, s75, v86
	v_ashrrev_i32_e32 v11, 31, v10
	v_ashrrev_i32_e32 v13, 31, v12
	v_lshl_add_u64 v[10:11], v[10:11], 2, v[4:5]
	v_add_u32_e32 v18, s76, v86
	v_lshl_add_u64 v[12:13], v[12:13], 2, v[4:5]
	global_load_dword v34, v[10:11], off
	global_load_dword v35, v[12:13], off
	v_ashrrev_i32_e32 v19, 31, v18
	v_add_u32_e32 v20, s77, v86
	v_lshl_add_u64 v[18:19], v[18:19], 2, v[4:5]
	v_ashrrev_i32_e32 v21, 31, v20
	v_lshl_add_u64 v[20:21], v[20:21], 2, v[4:5]
	s_andn2_b64 vcc, exec, s[10:11]
	s_waitcnt vmcnt(17)
	ds_write_b32 v88, v0 offset:64
	s_waitcnt vmcnt(16)
	ds_write_b32 v88, v26 offset:328
	;; [unrolled: 2-line block ×16, first 2 shown]
	v_add_u32_e32 v22, s78, v86
	v_add_u32_e32 v24, s79, v86
	;; [unrolled: 1-line block ×6, first 2 shown]
	v_ashrrev_i32_e32 v23, 31, v22
	v_ashrrev_i32_e32 v25, 31, v24
	;; [unrolled: 1-line block ×6, first 2 shown]
	ds_read_b64 v[16:17], v89 offset:64
	ds_read_b64 v[14:15], v89 offset:96
	;; [unrolled: 1-line block ×4, first 2 shown]
	v_lshl_add_u64 v[22:23], v[22:23], 2, v[4:5]
	v_lshl_add_u64 v[24:25], v[24:25], 2, v[4:5]
	v_lshl_add_u64 v[26:27], v[26:27], 2, v[4:5]
	v_lshl_add_u64 v[28:29], v[28:29], 2, v[4:5]
	v_lshl_add_u64 v[30:31], v[30:31], 2, v[4:5]
	v_lshl_add_u64 v[32:33], v[32:33], 2, v[4:5]
	global_load_dword v0, v[18:19], off
	global_load_dword v36, v[20:21], off
	global_load_dword v37, v[22:23], off
	global_load_dword v38, v[24:25], off
	global_load_dword v39, v[26:27], off
	global_load_dword v40, v[28:29], off
	global_load_dword v41, v[30:31], off
	global_load_dword v42, v[32:33], off
	v_add_u32_e32 v18, s84, v86
	v_ashrrev_i32_e32 v19, 31, v18
	v_add_u32_e32 v20, s85, v86
	v_add_u32_e32 v22, s86, v86
	v_add_u32_e32 v24, s87, v86
	v_add_u32_e32 v26, s88, v86
	v_add_u32_e32 v28, s89, v86
	v_add_u32_e32 v30, s90, v86
	v_add_u32_e32 v32, s91, v86
	v_lshl_add_u64 v[18:19], v[18:19], 2, v[4:5]
	v_ashrrev_i32_e32 v21, 31, v20
	v_ashrrev_i32_e32 v23, 31, v22
	v_ashrrev_i32_e32 v25, 31, v24
	v_ashrrev_i32_e32 v27, 31, v26
	v_ashrrev_i32_e32 v29, 31, v28
	v_ashrrev_i32_e32 v31, 31, v30
	v_ashrrev_i32_e32 v33, 31, v32
	v_lshl_add_u64 v[20:21], v[20:21], 2, v[4:5]
	v_lshl_add_u64 v[22:23], v[22:23], 2, v[4:5]
	v_lshl_add_u64 v[24:25], v[24:25], 2, v[4:5]
	v_lshl_add_u64 v[26:27], v[26:27], 2, v[4:5]
	v_lshl_add_u64 v[28:29], v[28:29], 2, v[4:5]
	v_lshl_add_u64 v[30:31], v[30:31], 2, v[4:5]
	v_lshl_add_u64 v[32:33], v[32:33], 2, v[4:5]
	global_load_dword v43, v[18:19], off
	global_load_dword v44, v[20:21], off
	global_load_dword v45, v[22:23], off
	global_load_dword v46, v[24:25], off
	global_load_dword v47, v[26:27], off
	global_load_dword v48, v[28:29], off
	global_load_dword v49, v[30:31], off
	global_load_dword v50, v[32:33], off
	v_add_u32_e32 v18, s92, v86
	v_ashrrev_i32_e32 v19, 31, v18
	v_add_u32_e32 v20, s93, v86
	v_add_u32_e32 v22, s94, v86
	v_add_u32_e32 v24, s95, v86
	v_add_u32_e32 v26, s96, v86
	v_add_u32_e32 v28, s97, v86
	v_add_u32_e32 v30, s98, v86
	v_add_u32_e32 v32, s99, v86
	v_lshl_add_u64 v[18:19], v[18:19], 2, v[4:5]
	v_ashrrev_i32_e32 v21, 31, v20
	v_ashrrev_i32_e32 v23, 31, v22
	v_ashrrev_i32_e32 v25, 31, v24
	v_ashrrev_i32_e32 v27, 31, v26
	v_ashrrev_i32_e32 v29, 31, v28
	v_ashrrev_i32_e32 v31, 31, v30
	v_ashrrev_i32_e32 v33, 31, v32
	v_lshl_add_u64 v[20:21], v[20:21], 2, v[4:5]
	;; [unrolled: 32-line block ×4, first 2 shown]
	v_lshl_add_u64 v[22:23], v[22:23], 2, v[4:5]
	v_lshl_add_u64 v[24:25], v[24:25], 2, v[4:5]
	;; [unrolled: 1-line block ×6, first 2 shown]
	global_load_dword v67, v[18:19], off
	global_load_dword v68, v[20:21], off
	;; [unrolled: 1-line block ×8, first 2 shown]
	v_add_u32_e32 v18, s33, v86
	v_ashrrev_i32_e32 v19, 31, v18
	v_add_u32_e32 v20, s4, v86
	v_add_u32_e32 v22, s52, v86
	;; [unrolled: 1-line block ×5, first 2 shown]
	v_lshl_add_u64 v[18:19], v[18:19], 2, v[4:5]
	v_ashrrev_i32_e32 v21, 31, v20
	v_ashrrev_i32_e32 v23, 31, v22
	;; [unrolled: 1-line block ×5, first 2 shown]
	v_lshl_add_u64 v[20:21], v[20:21], 2, v[4:5]
	v_lshl_add_u64 v[22:23], v[22:23], 2, v[4:5]
	;; [unrolled: 1-line block ×5, first 2 shown]
	global_load_dword v75, v[18:19], off
	global_load_dword v76, v[20:21], off
	;; [unrolled: 1-line block ×6, first 2 shown]
	ds_read_b64 v[24:25], v89 offset:192
	ds_read_b64 v[22:23], v89 offset:224
	ds_read_b64 v[20:21], v89 offset:256
	ds_read_b64 v[18:19], v89 offset:288
	s_waitcnt vmcnt(47)
	ds_write_b32 v88, v34 offset:64
	s_waitcnt vmcnt(46)
	ds_write_b32 v88, v35 offset:328
	s_waitcnt vmcnt(45)
	ds_write_b32 v88, v0 offset:592
	s_waitcnt vmcnt(44)
	ds_write_b32 v88, v36 offset:856
	s_waitcnt vmcnt(43)
	ds_write_b32 v88, v37 offset:1120
	s_waitcnt vmcnt(42)
	ds_write_b32 v88, v38 offset:1384
	s_waitcnt vmcnt(41)
	ds_write_b32 v88, v39 offset:1648
	s_waitcnt vmcnt(40)
	ds_write_b32 v88, v40 offset:1912
	s_waitcnt vmcnt(39)
	ds_write_b32 v88, v41 offset:2176
	s_waitcnt vmcnt(38)
	ds_write_b32 v88, v42 offset:2440
	s_waitcnt vmcnt(37)
	ds_write_b32 v88, v43 offset:2704
	s_waitcnt vmcnt(36)
	ds_write_b32 v88, v44 offset:2968
	s_waitcnt vmcnt(35)
	ds_write_b32 v88, v45 offset:3232
	s_waitcnt vmcnt(34)
	ds_write_b32 v88, v46 offset:3496
	s_waitcnt vmcnt(33)
	ds_write_b32 v88, v47 offset:3760
	s_waitcnt vmcnt(32)
	ds_write_b32 v88, v48 offset:4024
	ds_read_b64 v[42:43], v89 offset:64
	ds_read_b64 v[40:41], v89 offset:96
	ds_read_b64 v[36:37], v89 offset:128
	ds_read_b64 v[34:35], v89 offset:160
	ds_read_b64 v[32:33], v89 offset:192
	ds_read_b64 v[30:31], v89 offset:224
	ds_read_b64 v[28:29], v89 offset:256
	ds_read_b64 v[26:27], v89 offset:288
	s_waitcnt vmcnt(31)
	ds_write_b32 v88, v49 offset:64
	s_waitcnt vmcnt(30)
	ds_write_b32 v88, v50 offset:328
	s_waitcnt vmcnt(29)
	ds_write_b32 v88, v51 offset:592
	s_waitcnt vmcnt(28)
	ds_write_b32 v88, v52 offset:856
	s_waitcnt vmcnt(27)
	ds_write_b32 v88, v53 offset:1120
	s_waitcnt vmcnt(26)
	ds_write_b32 v88, v54 offset:1384
	s_waitcnt vmcnt(25)
	ds_write_b32 v88, v55 offset:1648
	s_waitcnt vmcnt(24)
	ds_write_b32 v88, v56 offset:1912
	s_waitcnt vmcnt(23)
	ds_write_b32 v88, v57 offset:2176
	s_waitcnt vmcnt(22)
	ds_write_b32 v88, v58 offset:2440
	s_waitcnt vmcnt(21)
	ds_write_b32 v88, v59 offset:2704
	s_waitcnt vmcnt(20)
	ds_write_b32 v88, v60 offset:2968
	s_waitcnt vmcnt(19)
	ds_write_b32 v88, v61 offset:3232
	s_waitcnt vmcnt(18)
	ds_write_b32 v88, v62 offset:3496
	s_waitcnt vmcnt(17)
	ds_write_b32 v88, v63 offset:3760
	s_waitcnt vmcnt(16)
	ds_write_b32 v88, v64 offset:4024
	ds_read_b64 v[56:57], v89 offset:64
	ds_read_b64 v[54:55], v89 offset:96
	ds_read_b64 v[52:53], v89 offset:128
	ds_read_b64 v[50:51], v89 offset:160
	;; [unrolled: 40-line block ×3, first 2 shown]
	ds_read_b64 v[68:69], v89 offset:192
	ds_read_b64 v[64:65], v89 offset:224
	;; [unrolled: 1-line block ×4, first 2 shown]
	v_mov_b32_e32 v76, 0
	v_mov_b32_e32 v77, 0
	;; [unrolled: 1-line block ×3, first 2 shown]
	s_cbranch_vccnz .LBB130_68
; %bb.65:                               ;   in Loop: Header=BB130_64 Depth=1
	ds_read_b32 v0, v87
	s_waitcnt lgkmcnt(0)
	v_cmp_gt_i32_e32 vcc, 0, v0
	s_cbranch_vccnz .LBB130_67
; %bb.66:                               ;   in Loop: Header=BB130_64 Depth=1
	v_mul_lo_u32 v0, v0, s53
	v_add_u32_e32 v76, v90, v0
	v_ashrrev_i32_e32 v77, 31, v76
	v_lshl_add_u64 v[76:77], v[76:77], 2, v[6:7]
	global_load_dwordx2 v[76:77], v[76:77], off
	s_branch .LBB130_68
.LBB130_67:                             ;   in Loop: Header=BB130_64 Depth=1
	v_mov_b32_e32 v76, 0
	v_mov_b32_e32 v77, 0
.LBB130_68:                             ;   in Loop: Header=BB130_64 Depth=1
	s_waitcnt vmcnt(0)
	v_cvt_pk_bf16_f32 v0, v76, v77
	s_andn2_b64 vcc, exec, s[12:13]
	v_mov_b32_e32 v76, 0
	v_mov_b32_e32 v77, 0
	ds_write_b32 v88, v0 offset:64
	s_cbranch_vccnz .LBB130_72
; %bb.69:                               ;   in Loop: Header=BB130_64 Depth=1
	ds_read_b32 v0, v87 offset:4
	s_waitcnt lgkmcnt(0)
	v_cmp_gt_i32_e32 vcc, 0, v0
	s_cbranch_vccnz .LBB130_71
; %bb.70:                               ;   in Loop: Header=BB130_64 Depth=1
	v_mul_lo_u32 v0, v0, s53
	v_add_u32_e32 v0, s48, v0
	v_add_u32_e32 v76, v0, v90
	v_ashrrev_i32_e32 v77, 31, v76
	v_lshl_add_u64 v[76:77], v[76:77], 2, v[6:7]
	global_load_dwordx2 v[76:77], v[76:77], off
	s_branch .LBB130_72
.LBB130_71:                             ;   in Loop: Header=BB130_64 Depth=1
	v_mov_b32_e32 v76, 0
	v_mov_b32_e32 v77, 0
.LBB130_72:                             ;   in Loop: Header=BB130_64 Depth=1
	s_waitcnt vmcnt(0)
	v_cvt_pk_bf16_f32 v0, v76, v77
	v_mov_b32_e32 v76, 0
	s_andn2_b64 vcc, exec, s[14:15]
	v_mov_b32_e32 v75, 0
	ds_write_b32 v88, v0 offset:328
	s_cbranch_vccnz .LBB130_76
; %bb.73:                               ;   in Loop: Header=BB130_64 Depth=1
	ds_read_b32 v0, v87 offset:8
	s_waitcnt lgkmcnt(0)
	v_cmp_gt_i32_e32 vcc, 0, v0
	s_cbranch_vccnz .LBB130_75
; %bb.74:                               ;   in Loop: Header=BB130_64 Depth=1
	v_mul_lo_u32 v0, v0, s53
	v_add_u32_e32 v0, s45, v0
	v_add_u32_e32 v74, v0, v90
	v_ashrrev_i32_e32 v75, 31, v74
	v_lshl_add_u64 v[74:75], v[74:75], 2, v[6:7]
	global_load_dwordx2 v[74:75], v[74:75], off
	s_branch .LBB130_76
.LBB130_75:                             ;   in Loop: Header=BB130_64 Depth=1
	v_mov_b32_e32 v74, 0
	v_mov_b32_e32 v75, 0
.LBB130_76:                             ;   in Loop: Header=BB130_64 Depth=1
	s_waitcnt vmcnt(0)
	v_cvt_pk_bf16_f32 v0, v74, v75
	s_andn2_b64 vcc, exec, s[16:17]
	v_mov_b32_e32 v74, 0
	v_mov_b32_e32 v75, 0
	ds_write_b32 v88, v0 offset:592
	s_cbranch_vccnz .LBB130_80
; %bb.77:                               ;   in Loop: Header=BB130_64 Depth=1
	ds_read_b32 v0, v87 offset:12
	s_waitcnt lgkmcnt(0)
	v_cmp_gt_i32_e32 vcc, 0, v0
	s_cbranch_vccnz .LBB130_79
; %bb.78:                               ;   in Loop: Header=BB130_64 Depth=1
	v_mul_lo_u32 v0, v0, s53
	v_readlane_b32 vcc_lo, v92, 21
	s_nop 1
	v_add_u32_e32 v0, vcc_lo, v0
	v_add_u32_e32 v74, v0, v90
	v_ashrrev_i32_e32 v75, 31, v74
	v_lshl_add_u64 v[74:75], v[74:75], 2, v[6:7]
	global_load_dwordx2 v[74:75], v[74:75], off
	s_branch .LBB130_80
.LBB130_79:                             ;   in Loop: Header=BB130_64 Depth=1
	v_mov_b32_e32 v74, 0
	v_mov_b32_e32 v75, 0
.LBB130_80:                             ;   in Loop: Header=BB130_64 Depth=1
	s_waitcnt vmcnt(0)
	v_cvt_pk_bf16_f32 v0, v74, v75
	v_mov_b32_e32 v74, 0
	s_andn2_b64 vcc, exec, s[18:19]
	v_mov_b32_e32 v77, 0
	ds_write_b32 v88, v0 offset:856
	s_cbranch_vccnz .LBB130_84
; %bb.81:                               ;   in Loop: Header=BB130_64 Depth=1
	ds_read_b32 v0, v87 offset:16
	s_waitcnt lgkmcnt(0)
	v_cmp_gt_i32_e32 vcc, 0, v0
	s_cbranch_vccnz .LBB130_83
; %bb.82:                               ;   in Loop: Header=BB130_64 Depth=1
	v_mul_lo_u32 v0, v0, s53
	v_readlane_b32 vcc_lo, v92, 20
	s_nop 1
	v_add_u32_e32 v0, vcc_lo, v0
	v_add_u32_e32 v76, v0, v90
	v_ashrrev_i32_e32 v77, 31, v76
	v_lshl_add_u64 v[76:77], v[76:77], 2, v[6:7]
	global_load_dwordx2 v[76:77], v[76:77], off
	s_branch .LBB130_84
.LBB130_83:                             ;   in Loop: Header=BB130_64 Depth=1
	v_mov_b32_e32 v76, 0
	v_mov_b32_e32 v77, 0
.LBB130_84:                             ;   in Loop: Header=BB130_64 Depth=1
	s_waitcnt vmcnt(0)
	v_cvt_pk_bf16_f32 v0, v76, v77
	s_andn2_b64 vcc, exec, s[20:21]
	v_mov_b32_e32 v76, 0
	v_mov_b32_e32 v77, 0
	ds_write_b32 v88, v0 offset:1120
	s_cbranch_vccnz .LBB130_88
; %bb.85:                               ;   in Loop: Header=BB130_64 Depth=1
	ds_read_b32 v0, v87 offset:20
	s_waitcnt lgkmcnt(0)
	v_cmp_gt_i32_e32 vcc, 0, v0
	s_cbranch_vccnz .LBB130_87
; %bb.86:                               ;   in Loop: Header=BB130_64 Depth=1
	v_mul_lo_u32 v0, v0, s53
	v_readlane_b32 vcc_lo, v92, 23
	s_nop 1
	v_add_u32_e32 v0, vcc_lo, v0
	v_add_u32_e32 v76, v0, v90
	v_ashrrev_i32_e32 v77, 31, v76
	v_lshl_add_u64 v[76:77], v[76:77], 2, v[6:7]
	global_load_dwordx2 v[76:77], v[76:77], off
	s_branch .LBB130_88
.LBB130_87:                             ;   in Loop: Header=BB130_64 Depth=1
	v_mov_b32_e32 v76, 0
	v_mov_b32_e32 v77, 0
.LBB130_88:                             ;   in Loop: Header=BB130_64 Depth=1
	s_waitcnt vmcnt(0)
	v_cvt_pk_bf16_f32 v0, v76, v77
	v_mov_b32_e32 v78, 0
	s_andn2_b64 vcc, exec, s[22:23]
	v_mov_b32_e32 v75, 0
	ds_write_b32 v88, v0 offset:1384
	s_cbranch_vccnz .LBB130_92
; %bb.89:                               ;   in Loop: Header=BB130_64 Depth=1
	ds_read_b32 v0, v87 offset:24
	s_waitcnt lgkmcnt(0)
	v_cmp_gt_i32_e32 vcc, 0, v0
	s_cbranch_vccnz .LBB130_91
; %bb.90:                               ;   in Loop: Header=BB130_64 Depth=1
	v_mul_lo_u32 v0, v0, s53
	v_readlane_b32 vcc_lo, v92, 24
	s_nop 1
	v_add_u32_e32 v0, vcc_lo, v0
	v_add_u32_e32 v74, v0, v90
	v_ashrrev_i32_e32 v75, 31, v74
	v_lshl_add_u64 v[74:75], v[74:75], 2, v[6:7]
	global_load_dwordx2 v[74:75], v[74:75], off
	s_branch .LBB130_92
.LBB130_91:                             ;   in Loop: Header=BB130_64 Depth=1
	v_mov_b32_e32 v74, 0
	v_mov_b32_e32 v75, 0
.LBB130_92:                             ;   in Loop: Header=BB130_64 Depth=1
	s_waitcnt vmcnt(0)
	v_cvt_pk_bf16_f32 v0, v74, v75
	s_andn2_b64 vcc, exec, s[24:25]
	v_mov_b32_e32 v74, 0
	v_mov_b32_e32 v75, 0
	ds_write_b32 v88, v0 offset:1648
	s_cbranch_vccnz .LBB130_96
; %bb.93:                               ;   in Loop: Header=BB130_64 Depth=1
	ds_read_b32 v0, v87 offset:28
	s_waitcnt lgkmcnt(0)
	v_cmp_gt_i32_e32 vcc, 0, v0
	s_cbranch_vccnz .LBB130_95
; %bb.94:                               ;   in Loop: Header=BB130_64 Depth=1
	v_mul_lo_u32 v0, v0, s53
	v_add_u32_e32 v0, s59, v0
	v_add_u32_e32 v74, v0, v90
	v_ashrrev_i32_e32 v75, 31, v74
	v_lshl_add_u64 v[74:75], v[74:75], 2, v[6:7]
	global_load_dwordx2 v[74:75], v[74:75], off
	s_branch .LBB130_96
.LBB130_95:                             ;   in Loop: Header=BB130_64 Depth=1
	v_mov_b32_e32 v74, 0
	v_mov_b32_e32 v75, 0
.LBB130_96:                             ;   in Loop: Header=BB130_64 Depth=1
	s_waitcnt vmcnt(0)
	v_cvt_pk_bf16_f32 v0, v74, v75
	v_mov_b32_e32 v76, 0
	s_andn2_b64 vcc, exec, s[26:27]
	v_mov_b32_e32 v79, 0
	ds_write_b32 v88, v0 offset:1912
	s_cbranch_vccnz .LBB130_100
; %bb.97:                               ;   in Loop: Header=BB130_64 Depth=1
	ds_read_b32 v0, v87 offset:32
	s_waitcnt lgkmcnt(0)
	v_cmp_gt_i32_e32 vcc, 0, v0
	s_cbranch_vccnz .LBB130_99
; %bb.98:                               ;   in Loop: Header=BB130_64 Depth=1
	v_mul_lo_u32 v0, v0, s53
	v_readlane_b32 vcc_lo, v92, 22
	s_nop 1
	v_add_u32_e32 v0, vcc_lo, v0
	v_add_u32_e32 v74, v0, v90
	v_ashrrev_i32_e32 v75, 31, v74
	v_lshl_add_u64 v[74:75], v[74:75], 2, v[6:7]
	global_load_dwordx2 v[78:79], v[74:75], off
	s_branch .LBB130_100
.LBB130_99:                             ;   in Loop: Header=BB130_64 Depth=1
	v_mov_b32_e32 v78, 0
	v_mov_b32_e32 v79, 0
.LBB130_100:                            ;   in Loop: Header=BB130_64 Depth=1
	s_waitcnt vmcnt(0)
	v_cvt_pk_bf16_f32 v0, v78, v79
	s_andn2_b64 vcc, exec, s[28:29]
	v_mov_b32_e32 v74, 0
	v_mov_b32_e32 v75, 0
	ds_write_b32 v88, v0 offset:2176
	s_cbranch_vccnz .LBB130_104
; %bb.101:                              ;   in Loop: Header=BB130_64 Depth=1
	ds_read_b32 v0, v87 offset:36
	s_waitcnt lgkmcnt(0)
	v_cmp_gt_i32_e32 vcc, 0, v0
	s_cbranch_vccnz .LBB130_103
; %bb.102:                              ;   in Loop: Header=BB130_64 Depth=1
	v_mul_lo_u32 v0, v0, s53
	v_readlane_b32 vcc_lo, v92, 28
	s_nop 1
	v_add_u32_e32 v0, vcc_lo, v0
	v_add_u32_e32 v74, v0, v90
	v_ashrrev_i32_e32 v75, 31, v74
	v_lshl_add_u64 v[74:75], v[74:75], 2, v[6:7]
	global_load_dwordx2 v[74:75], v[74:75], off
	s_branch .LBB130_104
.LBB130_103:                            ;   in Loop: Header=BB130_64 Depth=1
	v_mov_b32_e32 v74, 0
	v_mov_b32_e32 v75, 0
.LBB130_104:                            ;   in Loop: Header=BB130_64 Depth=1
	s_waitcnt vmcnt(0)
	v_cvt_pk_bf16_f32 v0, v74, v75
	v_mov_b32_e32 v74, 0
	s_andn2_b64 vcc, exec, s[30:31]
	v_mov_b32_e32 v77, 0
	ds_write_b32 v88, v0 offset:2440
	s_cbranch_vccnz .LBB130_108
; %bb.105:                              ;   in Loop: Header=BB130_64 Depth=1
	ds_read_b32 v0, v87 offset:40
	s_waitcnt lgkmcnt(0)
	v_cmp_gt_i32_e32 vcc, 0, v0
	s_cbranch_vccnz .LBB130_107
; %bb.106:                              ;   in Loop: Header=BB130_64 Depth=1
	v_mul_lo_u32 v0, v0, s53
	v_readlane_b32 vcc_lo, v92, 27
	s_nop 1
	v_add_u32_e32 v0, vcc_lo, v0
	v_add_u32_e32 v76, v0, v90
	v_ashrrev_i32_e32 v77, 31, v76
	v_lshl_add_u64 v[76:77], v[76:77], 2, v[6:7]
	global_load_dwordx2 v[76:77], v[76:77], off
	s_branch .LBB130_108
.LBB130_107:                            ;   in Loop: Header=BB130_64 Depth=1
	v_mov_b32_e32 v76, 0
	v_mov_b32_e32 v77, 0
.LBB130_108:                            ;   in Loop: Header=BB130_64 Depth=1
	s_waitcnt vmcnt(0)
	v_cvt_pk_bf16_f32 v0, v76, v77
	s_andn2_b64 vcc, exec, s[34:35]
	v_mov_b32_e32 v76, 0
	v_mov_b32_e32 v77, 0
	ds_write_b32 v88, v0 offset:2704
	s_cbranch_vccnz .LBB130_112
; %bb.109:                              ;   in Loop: Header=BB130_64 Depth=1
	ds_read_b32 v0, v87 offset:44
	s_waitcnt lgkmcnt(0)
	v_cmp_gt_i32_e32 vcc, 0, v0
	s_cbranch_vccnz .LBB130_111
; %bb.110:                              ;   in Loop: Header=BB130_64 Depth=1
	v_mul_lo_u32 v0, v0, s53
	v_readlane_b32 vcc_lo, v92, 26
	s_nop 1
	v_add_u32_e32 v0, vcc_lo, v0
	v_add_u32_e32 v76, v0, v90
	v_ashrrev_i32_e32 v77, 31, v76
	v_lshl_add_u64 v[76:77], v[76:77], 2, v[6:7]
	global_load_dwordx2 v[76:77], v[76:77], off
	s_branch .LBB130_112
.LBB130_111:                            ;   in Loop: Header=BB130_64 Depth=1
	v_mov_b32_e32 v76, 0
	v_mov_b32_e32 v77, 0
.LBB130_112:                            ;   in Loop: Header=BB130_64 Depth=1
	s_waitcnt vmcnt(0)
	v_cvt_pk_bf16_f32 v0, v76, v77
	s_andn2_b64 vcc, exec, s[36:37]
	v_mov_b32_e32 v75, 0
	ds_write_b32 v88, v0 offset:2968
	s_cbranch_vccnz .LBB130_63
; %bb.113:                              ;   in Loop: Header=BB130_64 Depth=1
	ds_read_b32 v0, v87 offset:48
	s_waitcnt lgkmcnt(0)
	v_cmp_gt_i32_e32 vcc, 0, v0
	s_cbranch_vccz .LBB130_62
; %bb.114:                              ;   in Loop: Header=BB130_64 Depth=1
	v_mov_b32_e32 v74, 0
	v_mov_b32_e32 v75, 0
	s_branch .LBB130_63
.LBB130_115:
	s_or_b64 exec, exec, s[46:47]
	v_readlane_b32 s26, v92, 12
	v_readlane_b32 s28, v92, 16
	v_readlane_b32 s24, v92, 15
	v_readlane_b32 s27, v92, 13
	v_readlane_b32 s30, v92, 18
	v_readlane_b32 s7, v92, 14
	v_readlane_b32 s29, v92, 17
	v_readlane_b32 s31, v92, 19
.LBB130_116:
	v_readlane_b32 s0, v92, 10
	v_readlane_b32 s1, v92, 11
	s_or_b64 exec, exec, s[0:1]
	v_mov_b32_e32 v1, 0x100
	v_lshl_add_u32 v0, v84, 2, v1
	v_mul_u32_u24_e32 v4, 0x308, v85
	v_and_b32_e32 v5, 0x3f0, v2
	v_add3_u32 v4, v0, v4, v5
	v_accvgpr_read_b32 v5, a13
	v_accvgpr_read_b32 v6, a12
	s_waitcnt lgkmcnt(0)
	s_barrier
	ds_write2_b32 v4, v6, v5 offset0:16 offset1:17
	v_accvgpr_read_b32 v5, a15
	v_accvgpr_read_b32 v6, a14
	ds_write2_b32 v4, v6, v5 offset0:18 offset1:19
	v_accvgpr_read_b32 v5, a9
	v_accvgpr_read_b32 v6, a8
	;; [unrolled: 3-line block ×7, first 2 shown]
	s_movk_i32 s0, 0x308
	ds_write2_b32 v4, v6, v5 offset0:66 offset1:67
	v_lshl_add_u32 v6, v2, 2, v1
	v_mad_u32_u24 v1, v80, s0, v6
	s_waitcnt lgkmcnt(0)
	s_barrier
	ds_read2_b32 v[4:5], v1 offset0:16 offset1:80
	ds_read_b32 v8, v1 offset:576
	v_cmp_gt_u32_e32 vcc, 13, v80
	v_mov_b32_e32 v9, -1
	s_and_saveexec_b64 s[0:1], vcc
; %bb.117:
	s_movk_i32 s2, 0xff04
	v_mad_i32_i24 v0, v80, s2, v0
	ds_read_b32 v9, v0
; %bb.118:
	s_or_b64 exec, exec, s[0:1]
	s_mul_hi_i32 s1, s30, s24
	s_mul_i32 s0, s30, s24
	s_lshl_b64 s[0:1], s[0:1], 2
	v_readlane_b32 s2, v92, 8
	v_mul_hi_i32 v1, v3, s49
	v_mul_lo_u32 v0, v3, s49
	v_readlane_b32 s3, v92, 9
	s_add_u32 s0, s2, s0
	s_addc_u32 s1, s3, s1
	v_lshlrev_b64 v[0:1], 2, v[0:1]
	s_waitcnt lgkmcnt(0)
	v_cmp_lt_i32_e32 vcc, -1, v9
	v_mul_u32_u24_e32 v10, 0x308, v80
	v_add_u32_e32 v7, s7, v2
	v_lshl_add_u64 v[0:1], s[0:1], 0, v[0:1]
	s_and_b64 s[2:3], vcc, s[26:27]
	s_and_saveexec_b64 s[0:1], s[2:3]
	s_cbranch_execz .LBB130_120
; %bb.119:
	v_add_f32_e32 v2, 0, v4
	v_add_f32_e32 v2, v2, v5
	;; [unrolled: 1-line block ×3, first 2 shown]
	v_mul_lo_u32 v2, v9, s54
	v_mul_lo_u32 v3, v80, s49
	v_add3_u32 v2, v7, v3, v2
	v_mov_b32_e32 v3, 0
	v_lshl_add_u64 v[2:3], v[2:3], 2, v[0:1]
	global_store_dword v[2:3], v4, off
.LBB130_120:
	s_or_b64 exec, exec, s[0:1]
	v_add_u32_e32 v4, v10, v6
	v_add_u32_e32 v2, 0x58, v4
	ds_read2st64_b32 v[2:3], v2 offset0:9 offset1:10
	ds_read_b32 v5, v4 offset:2904
	v_cmp_gt_u32_e32 vcc, 10, v80
	v_mov_b32_e32 v8, -1
	s_and_saveexec_b64 s[0:1], vcc
; %bb.121:
	v_mov_b32_e32 v8, 0x100
	v_lshl_add_u32 v8, v80, 2, v8
	ds_read_b32 v8, v8 offset:12
; %bb.122:
	s_or_b64 exec, exec, s[0:1]
	v_readlane_b32 s0, v92, 0
	s_waitcnt lgkmcnt(0)
	v_cmp_lt_i32_e32 vcc, -1, v8
	v_readlane_b32 s1, v92, 1
	s_and_b64 s[2:3], vcc, s[0:1]
	s_and_saveexec_b64 s[0:1], s[2:3]
	s_cbranch_execz .LBB130_124
; %bb.123:
	v_add_f32_e32 v2, 0, v2
	v_add_f32_e32 v2, v2, v3
	v_add_f32_e32 v5, v2, v5
	v_mul_lo_u32 v2, v8, s54
	v_mul_lo_u32 v3, v81, s49
	v_add3_u32 v2, v7, v3, v2
	v_mov_b32_e32 v3, 0
	v_lshl_add_u64 v[2:3], v[2:3], 2, v[0:1]
	global_store_dword v[2:3], v5, off
.LBB130_124:
	s_or_b64 exec, exec, s[0:1]
	v_add_u32_e32 v2, 0x70, v4
	ds_read2st64_b32 v[2:3], v2 offset0:18 offset1:19
	ds_read_b32 v5, v4 offset:5232
	v_cmp_gt_u32_e32 vcc, 7, v80
	v_mov_b32_e32 v8, -1
	s_and_saveexec_b64 s[0:1], vcc
; %bb.125:
	v_mov_b32_e32 v8, 0x100
	v_lshl_add_u32 v8, v80, 2, v8
	ds_read_b32 v8, v8 offset:24
; %bb.126:
	s_or_b64 exec, exec, s[0:1]
	v_readlane_b32 s0, v92, 2
	s_waitcnt lgkmcnt(0)
	v_cmp_lt_i32_e32 vcc, -1, v8
	v_readlane_b32 s1, v92, 3
	s_and_b64 s[2:3], vcc, s[0:1]
	s_and_saveexec_b64 s[0:1], s[2:3]
	s_cbranch_execz .LBB130_128
; %bb.127:
	v_add_f32_e32 v2, 0, v2
	v_add_f32_e32 v2, v2, v3
	v_add_f32_e32 v5, v2, v5
	v_mul_lo_u32 v2, v8, s54
	v_mul_lo_u32 v3, v82, s49
	v_add3_u32 v2, v7, v3, v2
	v_mov_b32_e32 v3, 0
	v_lshl_add_u64 v[2:3], v[2:3], 2, v[0:1]
	global_store_dword v[2:3], v5, off
.LBB130_128:
	s_or_b64 exec, exec, s[0:1]
	;; [unrolled: 31-line block ×3, first 2 shown]
	v_cmp_eq_u32_e32 vcc, 0, v80
	s_and_saveexec_b64 s[0:1], vcc
	s_cbranch_execz .LBB130_135
; %bb.133:
	v_mov_b32_e32 v2, 0x100
	ds_read_b32 v2, v2 offset:48
	v_readlane_b32 s2, v92, 6
	v_readlane_b32 s3, v92, 7
	s_waitcnt lgkmcnt(0)
	v_readfirstlane_b32 s0, v2
	s_cmp_gt_i32 s0, -1
	s_cselect_b64 s[0:1], -1, 0
	s_and_b64 s[0:1], s[0:1], s[2:3]
	s_and_b64 exec, exec, s[0:1]
	s_cbranch_execz .LBB130_135
; %bb.134:
	v_add_u32_e32 v3, 0xa0, v6
	ds_read2st64_b32 v[4:5], v3 offset0:36 offset1:37
	ds_read_b32 v3, v6 offset:9888
	v_mul_lo_u32 v2, v2, s54
	s_mul_i32 s0, s49, 12
	v_add_u32_e32 v2, s0, v2
	s_waitcnt lgkmcnt(1)
	v_add_f32_e32 v4, 0, v4
	v_add_f32_e32 v4, v4, v5
	s_waitcnt lgkmcnt(0)
	v_add_f32_e32 v4, v4, v3
	v_add_u32_e32 v2, v2, v7
	v_mov_b32_e32 v3, 0
	v_lshl_add_u64 v[0:1], v[2:3], 2, v[0:1]
	global_store_dword v[0:1], v4, off
.LBB130_135:
	s_endpgm
	.section	.rodata,"a",@progbits
	.p2align	6, 0x0
	.amdhsa_kernel _ZL9mul_mat_fI15__hip_bfloat162Li64ELi13ELi3ELb1EEvPKT_PKfPKiPfiiiiiiiiiiiiiiii
		.amdhsa_group_segment_fixed_size 256
		.amdhsa_private_segment_fixed_size 0
		.amdhsa_kernarg_size 352
		.amdhsa_user_sgpr_count 2
		.amdhsa_user_sgpr_dispatch_ptr 0
		.amdhsa_user_sgpr_queue_ptr 0
		.amdhsa_user_sgpr_kernarg_segment_ptr 1
		.amdhsa_user_sgpr_dispatch_id 0
		.amdhsa_user_sgpr_kernarg_preload_length 0
		.amdhsa_user_sgpr_kernarg_preload_offset 0
		.amdhsa_user_sgpr_private_segment_size 0
		.amdhsa_uses_dynamic_stack 0
		.amdhsa_enable_private_segment 0
		.amdhsa_system_sgpr_workgroup_id_x 1
		.amdhsa_system_sgpr_workgroup_id_y 1
		.amdhsa_system_sgpr_workgroup_id_z 1
		.amdhsa_system_sgpr_workgroup_info 0
		.amdhsa_system_vgpr_workitem_id 2
		.amdhsa_next_free_vgpr 112
		.amdhsa_next_free_sgpr 100
		.amdhsa_accum_offset 96
		.amdhsa_reserve_vcc 1
		.amdhsa_float_round_mode_32 0
		.amdhsa_float_round_mode_16_64 0
		.amdhsa_float_denorm_mode_32 3
		.amdhsa_float_denorm_mode_16_64 3
		.amdhsa_dx10_clamp 1
		.amdhsa_ieee_mode 1
		.amdhsa_fp16_overflow 0
		.amdhsa_tg_split 0
		.amdhsa_exception_fp_ieee_invalid_op 0
		.amdhsa_exception_fp_denorm_src 0
		.amdhsa_exception_fp_ieee_div_zero 0
		.amdhsa_exception_fp_ieee_overflow 0
		.amdhsa_exception_fp_ieee_underflow 0
		.amdhsa_exception_fp_ieee_inexact 0
		.amdhsa_exception_int_div_zero 0
	.end_amdhsa_kernel
	.section	.text._ZL9mul_mat_fI15__hip_bfloat162Li64ELi13ELi3ELb1EEvPKT_PKfPKiPfiiiiiiiiiiiiiiii,"axG",@progbits,_ZL9mul_mat_fI15__hip_bfloat162Li64ELi13ELi3ELb1EEvPKT_PKfPKiPfiiiiiiiiiiiiiiii,comdat
.Lfunc_end130:
	.size	_ZL9mul_mat_fI15__hip_bfloat162Li64ELi13ELi3ELb1EEvPKT_PKfPKiPfiiiiiiiiiiiiiiii, .Lfunc_end130-_ZL9mul_mat_fI15__hip_bfloat162Li64ELi13ELi3ELb1EEvPKT_PKfPKiPfiiiiiiiiiiiiiiii
                                        ; -- End function
	.set _ZL9mul_mat_fI15__hip_bfloat162Li64ELi13ELi3ELb1EEvPKT_PKfPKiPfiiiiiiiiiiiiiiii.num_vgpr, 93
	.set _ZL9mul_mat_fI15__hip_bfloat162Li64ELi13ELi3ELb1EEvPKT_PKfPKiPfiiiiiiiiiiiiiiii.num_agpr, 16
	.set _ZL9mul_mat_fI15__hip_bfloat162Li64ELi13ELi3ELb1EEvPKT_PKfPKiPfiiiiiiiiiiiiiiii.numbered_sgpr, 100
	.set _ZL9mul_mat_fI15__hip_bfloat162Li64ELi13ELi3ELb1EEvPKT_PKfPKiPfiiiiiiiiiiiiiiii.num_named_barrier, 0
	.set _ZL9mul_mat_fI15__hip_bfloat162Li64ELi13ELi3ELb1EEvPKT_PKfPKiPfiiiiiiiiiiiiiiii.private_seg_size, 0
	.set _ZL9mul_mat_fI15__hip_bfloat162Li64ELi13ELi3ELb1EEvPKT_PKfPKiPfiiiiiiiiiiiiiiii.uses_vcc, 1
	.set _ZL9mul_mat_fI15__hip_bfloat162Li64ELi13ELi3ELb1EEvPKT_PKfPKiPfiiiiiiiiiiiiiiii.uses_flat_scratch, 0
	.set _ZL9mul_mat_fI15__hip_bfloat162Li64ELi13ELi3ELb1EEvPKT_PKfPKiPfiiiiiiiiiiiiiiii.has_dyn_sized_stack, 0
	.set _ZL9mul_mat_fI15__hip_bfloat162Li64ELi13ELi3ELb1EEvPKT_PKfPKiPfiiiiiiiiiiiiiiii.has_recursion, 0
	.set _ZL9mul_mat_fI15__hip_bfloat162Li64ELi13ELi3ELb1EEvPKT_PKfPKiPfiiiiiiiiiiiiiiii.has_indirect_call, 0
	.section	.AMDGPU.csdata,"",@progbits
; Kernel info:
; codeLenInByte = 9040
; TotalNumSgprs: 106
; NumVgprs: 93
; NumAgprs: 16
; TotalNumVgprs: 112
; ScratchSize: 0
; MemoryBound: 0
; FloatMode: 240
; IeeeMode: 1
; LDSByteSize: 256 bytes/workgroup (compile time only)
; SGPRBlocks: 13
; VGPRBlocks: 13
; NumSGPRsForWavesPerEU: 106
; NumVGPRsForWavesPerEU: 112
; AccumOffset: 96
; Occupancy: 4
; WaveLimiterHint : 0
; COMPUTE_PGM_RSRC2:SCRATCH_EN: 0
; COMPUTE_PGM_RSRC2:USER_SGPR: 2
; COMPUTE_PGM_RSRC2:TRAP_HANDLER: 0
; COMPUTE_PGM_RSRC2:TGID_X_EN: 1
; COMPUTE_PGM_RSRC2:TGID_Y_EN: 1
; COMPUTE_PGM_RSRC2:TGID_Z_EN: 1
; COMPUTE_PGM_RSRC2:TIDIG_COMP_CNT: 2
; COMPUTE_PGM_RSRC3_GFX90A:ACCUM_OFFSET: 23
; COMPUTE_PGM_RSRC3_GFX90A:TG_SPLIT: 0
	.section	.text._ZL9mul_mat_fI15__hip_bfloat162Li64ELi13ELi3ELb0EEvPKT_PKfPKiPfiiiiiiiiiiiiiiii,"axG",@progbits,_ZL9mul_mat_fI15__hip_bfloat162Li64ELi13ELi3ELb0EEvPKT_PKfPKiPfiiiiiiiiiiiiiiii,comdat
	.globl	_ZL9mul_mat_fI15__hip_bfloat162Li64ELi13ELi3ELb0EEvPKT_PKfPKiPfiiiiiiiiiiiiiiii ; -- Begin function _ZL9mul_mat_fI15__hip_bfloat162Li64ELi13ELi3ELb0EEvPKT_PKfPKiPfiiiiiiiiiiiiiiii
	.p2align	8
	.type	_ZL9mul_mat_fI15__hip_bfloat162Li64ELi13ELi3ELb0EEvPKT_PKfPKiPfiiiiiiiiiiiiiiii,@function
_ZL9mul_mat_fI15__hip_bfloat162Li64ELi13ELi3ELb0EEvPKT_PKfPKiPfiiiiiiiiiiiiiiii: ; @_ZL9mul_mat_fI15__hip_bfloat162Li64ELi13ELi3ELb0EEvPKT_PKfPKiPfiiiiiiiiiiiiiiii
; %bb.0:
	s_load_dword s5, s[0:1], 0x20
	s_load_dwordx4 s[16:19], s[0:1], 0x2c
	v_bfe_u32 v82, v0, 10, 10
	v_lshlrev_b32_e32 v84, 6, v82
	v_and_b32_e32 v83, 0x3ff, v0
	v_add_u32_e32 v86, v84, v83
	s_waitcnt lgkmcnt(0)
	s_ashr_i32 s19, s4, 31
	v_cmp_le_i32_e32 vcc, s5, v86
	v_and_b32_e32 v85, 15, v83
	s_and_saveexec_b64 s[6:7], vcc
	s_xor_b64 s[6:7], exec, s[6:7]
; %bb.1:
	v_and_b32_e32 v85, 15, v83
                                        ; implicit-def: $vgpr86
; %bb.2:
	s_or_saveexec_b64 s[24:25], s[6:7]
	s_load_dwordx8 s[8:15], s[0:1], 0x40
	s_load_dwordx2 s[6:7], s[0:1], 0x18
	s_lshl_b32 s2, s2, 6
	v_mov_b32_e32 v1, 0
	v_accvgpr_write_b32 a0, 0
	v_accvgpr_write_b32 a1, 0
	;; [unrolled: 1-line block ×16, first 2 shown]
	s_xor_b64 exec, exec, s[24:25]
	s_cbranch_execz .LBB131_6
; %bb.3:
	s_waitcnt lgkmcnt(0)
	s_abs_i32 s26, s8
	v_cvt_f32_u32_e32 v0, s26
	s_abs_i32 s27, s12
	v_cvt_f32_u32_e32 v2, s27
	s_sub_i32 s20, 0, s26
	v_rcp_iflag_f32_e32 v0, v0
	s_abs_i32 s28, s3
	v_rcp_iflag_f32_e32 v2, v2
	s_sub_i32 s21, 0, s27
	v_mul_f32_e32 v0, 0x4f7ffffe, v0
	v_cvt_u32_f32_e32 v0, v0
	v_mul_f32_e32 v2, 0x4f7ffffe, v2
	v_cvt_u32_f32_e32 v2, v2
	s_abs_i32 s29, s4
	v_mul_lo_u32 v3, s20, v0
	v_mul_hi_u32 v3, v0, v3
	v_add_u32_e32 v0, v0, v3
	v_mul_hi_u32 v0, s28, v0
	v_mul_lo_u32 v4, s21, v2
	v_mul_lo_u32 v3, v0, s26
	v_mul_hi_u32 v4, v2, v4
	v_sub_u32_e32 v3, s28, v3
	v_add_u32_e32 v2, v2, v4
	v_subrev_u32_e32 v5, s26, v3
	v_cmp_le_u32_e32 vcc, s26, v3
	v_mul_hi_u32 v2, s29, v2
	v_add_u32_e32 v4, 1, v0
	v_cndmask_b32_e32 v3, v3, v5, vcc
	v_cndmask_b32_e32 v0, v0, v4, vcc
	v_cmp_le_u32_e32 vcc, s26, v3
	v_mul_lo_u32 v3, v2, s27
	s_load_dwordx4 s[20:23], s[0:1], 0x0
	s_ashr_i32 s0, s3, 31
	s_ashr_i32 s1, s8, 31
	v_add_u32_e32 v4, 1, v0
	v_sub_u32_e32 v3, s29, v3
	s_xor_b32 s0, s0, s1
	v_cndmask_b32_e32 v0, v0, v4, vcc
	v_add_u32_e32 v4, 1, v2
	v_subrev_u32_e32 v5, s27, v3
	v_cmp_le_u32_e32 vcc, s27, v3
	v_xor_b32_e32 v0, s0, v0
	s_ashr_i32 s8, s12, 31
	v_cndmask_b32_e32 v2, v2, v4, vcc
	v_cndmask_b32_e32 v3, v3, v5, vcc
	v_subrev_u32_e32 v0, s0, v0
	v_add_u32_e32 v4, 1, v2
	v_cmp_le_u32_e32 vcc, s27, v3
	s_xor_b32 s0, s19, s8
	s_mul_i32 s8, s14, s4
	v_cndmask_b32_e32 v2, v2, v4, vcc
	v_mul_lo_u32 v4, v0, s9
	s_mul_hi_i32 s9, s14, s4
	v_xor_b32_e32 v2, s0, v2
	s_lshl_b64 s[26:27], s[8:9], 2
	v_subrev_u32_e32 v2, s0, v2
	s_mul_i32 s0, s16, s2
	s_mul_i32 s28, s10, s3
	s_waitcnt lgkmcnt(0)
	s_add_u32 s8, s22, s26
	v_mul_hi_i32 v3, v2, s13
	v_mul_lo_u32 v2, v2, s13
	s_addc_u32 s9, s23, s27
	s_ashr_i32 s1, s0, 31
	s_ashr_i32 s29, s28, 31
	v_ashrrev_i32_e32 v5, 31, v4
	v_lshlrev_b64 v[6:7], 2, v[2:3]
	s_lshl_b64 s[12:13], s[0:1], 2
	s_lshl_b64 s[28:29], s[28:29], 2
	v_lshl_add_u64 v[2:3], s[20:21], 0, v[6:7]
	v_lshlrev_b64 v[4:5], 2, v[4:5]
	s_add_u32 s0, s8, s28
	s_movk_i32 s8, 0x1080
	v_lshrrev_b32_e32 v10, 1, v83
	v_lshl_add_u64 v[2:3], v[2:3], 0, v[4:5]
	v_mad_u32_u24 v0, v82, s8, 0
	v_lshlrev_b32_e32 v8, 2, v83
	v_mul_u32_u24_e32 v9, 0x108, v85
	v_and_b32_e32 v10, 0x1f8, v10
	v_lshl_add_u64 v[4:5], v[4:5], 0, s[12:13]
	s_addc_u32 s1, s9, s29
	v_add_u32_e32 v87, v0, v8
	v_add3_u32 v88, v0, v9, v10
	s_ashr_i32 s9, s16, 31
	s_mov_b32 s8, s16
	s_ashr_i32 s31, s17, 31
	s_mov_b32 s30, s17
	v_lshlrev_b32_e32 v0, 8, v82
	v_lshl_add_u64 v[4:5], v[4:5], 0, v[6:7]
	v_lshl_add_u64 v[2:3], v[2:3], 0, s[12:13]
	s_add_i32 s10, s16, s16
	s_add_i32 s14, s17, s17
	s_lshl_b32 s33, s17, 2
	s_lshl_b32 s37, s17, 3
	;; [unrolled: 1-line block ×6, first 2 shown]
	s_lshl_b64 s[8:9], s[8:9], 2
	s_lshl_b64 s[12:13], s[30:31], 3
	v_lshl_add_u64 v[4:5], v[4:5], 0, v[0:1]
	v_lshlrev_b32_e32 v0, 9, v82
	s_add_u32 s22, s22, s28
	v_mov_b32_e32 v9, v1
	v_lshl_add_u64 v[6:7], s[26:27], 0, v[0:1]
	v_lshlrev_b32_e32 v0, 3, v83
	s_addc_u32 s23, s23, s29
	v_lshl_add_u64 v[4:5], v[4:5], 0, v[8:9]
	v_lshl_add_u64 v[6:7], v[6:7], 0, v[0:1]
	s_mul_i32 s19, s17, 3
	s_mul_i32 s34, s17, 5
	;; [unrolled: 1-line block ×39, first 2 shown]
	v_lshl_add_u64 v[4:5], s[20:21], 0, v[4:5]
	s_mul_i32 s30, s16, 38
	s_mul_i32 s31, s16, 39
	;; [unrolled: 1-line block ×6, first 2 shown]
	v_lshl_add_u64 v[6:7], s[22:23], 0, v[6:7]
	s_mul_i32 s77, s16, 44
	s_mul_i32 s78, s16, 45
	v_accvgpr_write_b32 a15, 0
	v_accvgpr_write_b32 a14, 0
	;; [unrolled: 1-line block ×16, first 2 shown]
	s_mul_i32 s79, s16, 46
	s_mul_i32 s80, s16, 47
	;; [unrolled: 1-line block ×18, first 2 shown]
	s_mov_b64 s[16:17], 0
	s_mov_b64 s[20:21], 0x300
	;; [unrolled: 1-line block ×3, first 2 shown]
.LBB131_4:                              ; =>This Inner Loop Header: Depth=1
	v_add_u32_e32 v80, s10, v86
	v_add_u32_e32 v10, s42, v86
	;; [unrolled: 1-line block ×3, first 2 shown]
	v_lshl_add_u64 v[8:9], v[4:5], 0, s[8:9]
	v_add_u32_e32 v12, s44, v86
	v_add_u32_e32 v76, s45, v86
	v_ashrrev_i32_e32 v81, 31, v80
	v_ashrrev_i32_e32 v11, 31, v10
	;; [unrolled: 1-line block ×3, first 2 shown]
	v_add_u32_e32 v14, s46, v86
	v_add_u32_e32 v74, s47, v86
	global_load_dword v89, v[8:9], off
	v_lshl_add_u64 v[8:9], v[80:81], 2, v[2:3]
	v_lshl_add_u64 v[10:11], v[10:11], 2, v[2:3]
	;; [unrolled: 1-line block ×3, first 2 shown]
	v_ashrrev_i32_e32 v13, 31, v12
	v_ashrrev_i32_e32 v77, 31, v76
	v_add_u32_e32 v18, s48, v86
	v_add_u32_e32 v72, s49, v86
	global_load_dword v80, v[8:9], off
	global_load_dword v79, v[10:11], off
	;; [unrolled: 1-line block ×3, first 2 shown]
	v_lshl_add_u64 v[12:13], v[12:13], 2, v[2:3]
	v_lshl_add_u64 v[90:91], v[76:77], 2, v[2:3]
	v_ashrrev_i32_e32 v15, 31, v14
	v_ashrrev_i32_e32 v75, 31, v74
	v_add_u32_e32 v40, s50, v86
	v_add_u32_e32 v70, s51, v86
	global_load_dword v77, v[12:13], off
	global_load_dword v76, v[90:91], off
	v_lshl_add_u64 v[14:15], v[14:15], 2, v[2:3]
	v_lshl_add_u64 v[90:91], v[74:75], 2, v[2:3]
	v_ashrrev_i32_e32 v19, 31, v18
	v_ashrrev_i32_e32 v73, 31, v72
	v_add_u32_e32 v44, s52, v86
	v_add_u32_e32 v68, s53, v86
	global_load_dword v75, v[14:15], off
	global_load_dword v74, v[90:91], off
	;; [unrolled: 8-line block ×10, first 2 shown]
	v_lshl_add_u64 v[42:43], v[42:43], 2, v[2:3]
	v_lshl_add_u64 v[90:91], v[46:47], 2, v[2:3]
	v_ashrrev_i32_e32 v31, 31, v30
	v_ashrrev_i32_e32 v39, 31, v38
	v_add_u32_e32 v16, s70, v86
	v_add_u32_e32 v32, s71, v86
	;; [unrolled: 1-line block ×8, first 2 shown]
	global_load_dword v46, v[42:43], off
	global_load_dword v47, v[90:91], off
	v_lshl_add_u64 v[30:31], v[30:31], 2, v[2:3]
	v_lshl_add_u64 v[90:91], v[38:39], 2, v[2:3]
	v_ashrrev_i32_e32 v21, 31, v20
	v_ashrrev_i32_e32 v29, 31, v28
	v_add_u32_e32 v36, s28, v86
	v_add_u32_e32 v12, s75, v86
	v_add_u32_e32 v14, s76, v86
	global_load_dword v38, v[30:31], off
	global_load_dword v39, v[90:91], off
	v_lshl_add_u64 v[20:21], v[20:21], 2, v[2:3]
	v_lshl_add_u64 v[90:91], v[28:29], 2, v[2:3]
	v_ashrrev_i32_e32 v17, 31, v16
	v_ashrrev_i32_e32 v33, 31, v32
	;; [unrolled: 1-line block ×8, first 2 shown]
	v_add_u32_e32 v18, s26, v86
	v_add_u32_e32 v40, s27, v86
	global_load_dword v28, v[20:21], off
	global_load_dword v29, v[90:91], off
	v_lshl_add_u64 v[16:17], v[16:17], 2, v[2:3]
	v_lshl_add_u64 v[90:91], v[32:33], 2, v[2:3]
	;; [unrolled: 1-line block ×4, first 2 shown]
	v_ashrrev_i32_e32 v37, 31, v36
	v_lshl_add_u64 v[24:25], v[24:25], 2, v[2:3]
	v_lshl_add_u64 v[26:27], v[26:27], 2, v[2:3]
	;; [unrolled: 1-line block ×4, first 2 shown]
	v_ashrrev_i32_e32 v13, 31, v12
	v_ashrrev_i32_e32 v15, 31, v14
	v_add_u32_e32 v44, s77, v86
	v_add_u32_e32 v52, s78, v86
	global_load_dword v32, v[16:17], off
	global_load_dword v69, v[90:91], off
	;; [unrolled: 1-line block ×3, first 2 shown]
	s_nop 0
	global_load_dword v90, v[34:35], off
	v_lshl_add_u64 v[34:35], v[36:37], 2, v[2:3]
	global_load_dword v91, v[24:25], off
	global_load_dword v92, v[34:35], off
	s_nop 0
	global_load_dword v26, v[26:27], off
	s_nop 0
	global_load_dword v33, v[4:5], off
	global_load_dword v27, v[8:9], off
	global_load_dword v93, v[10:11], off
	s_nop 0
	global_load_dwordx2 v[8:9], v[6:7], off
	v_lshl_add_u64 v[10:11], v[12:13], 2, v[2:3]
	v_lshl_add_u64 v[12:13], v[14:15], 2, v[2:3]
	v_ashrrev_i32_e32 v19, 31, v18
	v_ashrrev_i32_e32 v41, 31, v40
	v_add_u32_e32 v56, s79, v86
	v_add_u32_e32 v60, s80, v86
	global_load_dword v94, v[10:11], off
	global_load_dword v95, v[12:13], off
	v_lshl_add_u64 v[12:13], v[18:19], 2, v[2:3]
	v_lshl_add_u64 v[14:15], v[40:41], 2, v[2:3]
	v_ashrrev_i32_e32 v45, 31, v44
	v_ashrrev_i32_e32 v53, 31, v52
	v_add_u32_e32 v54, s81, v86
	v_add_u32_e32 v48, s82, v86
	global_load_dword v96, v[12:13], off
	global_load_dword v97, v[14:15], off
	v_lshl_add_u64 v[14:15], v[44:45], 2, v[2:3]
	v_lshl_add_u64 v[18:19], v[52:53], 2, v[2:3]
	v_ashrrev_i32_e32 v57, 31, v56
	v_ashrrev_i32_e32 v61, 31, v60
	v_add_u32_e32 v42, s83, v86
	v_add_u32_e32 v30, s84, v86
	;; [unrolled: 1-line block ×4, first 2 shown]
	global_load_dword v44, v[14:15], off
	global_load_dword v45, v[18:19], off
	v_lshl_add_u64 v[18:19], v[56:57], 2, v[2:3]
	v_lshl_add_u64 v[34:35], v[60:61], 2, v[2:3]
	v_ashrrev_i32_e32 v55, 31, v54
	v_ashrrev_i32_e32 v49, 31, v48
	v_add_u32_e32 v22, s87, v86
	v_add_u32_e32 v10, s89, v86
	;; [unrolled: 1-line block ×3, first 2 shown]
	global_load_dword v52, v[18:19], off
	global_load_dword v53, v[34:35], off
	v_lshl_add_u64 v[34:35], v[54:55], 2, v[2:3]
	v_lshl_add_u64 v[36:37], v[48:49], 2, v[2:3]
	v_ashrrev_i32_e32 v43, 31, v42
	v_ashrrev_i32_e32 v31, 31, v30
	;; [unrolled: 1-line block ×4, first 2 shown]
	v_add_u32_e32 v24, s88, v86
	v_add_u32_e32 v14, s91, v86
	;; [unrolled: 1-line block ×3, first 2 shown]
	global_load_dword v56, v[34:35], off
	global_load_dword v57, v[36:37], off
	v_lshl_add_u64 v[36:37], v[42:43], 2, v[2:3]
	v_lshl_add_u64 v[30:31], v[30:31], 2, v[2:3]
	;; [unrolled: 1-line block ×4, first 2 shown]
	v_ashrrev_i32_e32 v23, 31, v22
	v_ashrrev_i32_e32 v11, 31, v10
	;; [unrolled: 1-line block ×3, first 2 shown]
	v_add_u32_e32 v34, s93, v86
	global_load_dword v42, v[36:37], off
	global_load_dword v43, v[30:31], off
	v_add_u32_e32 v30, s94, v86
	global_load_dword v98, v[20:21], off
	global_load_dword v99, v[16:17], off
	v_add_u32_e32 v16, s95, v86
	v_ashrrev_i32_e32 v25, 31, v24
	v_lshl_add_u64 v[20:21], v[22:23], 2, v[2:3]
	v_lshl_add_u64 v[10:11], v[10:11], 2, v[2:3]
	;; [unrolled: 1-line block ×3, first 2 shown]
	v_ashrrev_i32_e32 v15, 31, v14
	v_ashrrev_i32_e32 v19, 31, v18
	v_lshl_add_u64 v[22:23], v[24:25], 2, v[2:3]
	global_load_dword v100, v[20:21], off
	global_load_dword v101, v[22:23], off
	v_add_u32_e32 v20, s96, v86
	global_load_dword v102, v[10:11], off
	global_load_dword v103, v[12:13], off
	v_lshl_add_u64 v[12:13], v[14:15], 2, v[2:3]
	v_lshl_add_u64 v[14:15], v[18:19], 2, v[2:3]
	v_ashrrev_i32_e32 v35, 31, v34
	v_ashrrev_i32_e32 v31, 31, v30
	;; [unrolled: 1-line block ×3, first 2 shown]
	v_lshl_add_u64 v[10:11], v[6:7], 0, s[12:13]
	global_load_dword v104, v[12:13], off
	global_load_dword v105, v[14:15], off
	v_lshl_add_u64 v[14:15], v[34:35], 2, v[2:3]
	v_lshl_add_u64 v[18:19], v[30:31], 2, v[2:3]
	v_ashrrev_i32_e32 v21, 31, v20
	v_lshl_add_u64 v[16:17], v[16:17], 2, v[2:3]
	global_load_dword v106, v[14:15], off
	global_load_dword v107, v[18:19], off
	v_lshl_add_u64 v[18:19], v[20:21], 2, v[2:3]
	global_load_dword v108, v[16:17], off
	global_load_dword v109, v[18:19], off
	v_add_u32_e32 v12, s14, v86
	global_load_dwordx2 v[10:11], v[10:11], off
	v_add_u32_e32 v14, s19, v86
	v_add_u32_e32 v16, s33, v86
	s_waitcnt vmcnt(25)
	v_cvt_pk_bf16_f32 v110, v8, v9
	v_add_u32_e32 v8, s34, v86
	ds_write_b32 v87, v89 offset:264
	v_add_u32_e32 v18, s36, v86
	v_add_u32_e32 v20, s37, v86
	;; [unrolled: 1-line block ×6, first 2 shown]
	v_ashrrev_i32_e32 v13, 31, v12
	v_ashrrev_i32_e32 v15, 31, v14
	;; [unrolled: 1-line block ×10, first 2 shown]
	ds_write_b32 v87, v33
	ds_write_b32 v87, v80 offset:528
	ds_write_b32 v87, v79 offset:792
	;; [unrolled: 1-line block ×12, first 2 shown]
	v_lshl_add_u64 v[12:13], v[12:13], 3, s[0:1]
	v_lshl_add_u64 v[14:15], v[14:15], 3, s[0:1]
	;; [unrolled: 1-line block ×10, first 2 shown]
	v_accvgpr_mov_b32 a17, a3
	v_accvgpr_mov_b32 a16, a2
	v_lshl_add_u64 v[4:5], v[4:5], 0, s[20:21]
	v_lshl_add_u64 v[6:7], v[6:7], 0, s[22:23]
	s_waitcnt vmcnt(0)
	v_cvt_pk_bf16_f32 v89, v10, v11
	v_add_u32_e32 v10, s35, v86
	v_ashrrev_i32_e32 v11, 31, v10
	v_lshl_add_u64 v[10:11], v[10:11], 3, s[0:1]
	global_load_dwordx2 v[12:13], v[12:13], off
	s_nop 0
	global_load_dwordx2 v[14:15], v[14:15], off
	s_nop 0
	;; [unrolled: 2-line block ×10, first 2 shown]
	global_load_dwordx2 v[34:35], v[34:35], off
	ds_write_b32 v87, v0 offset:3696
	ds_write_b32 v87, v67 offset:3960
	v_add_u32_e32 v86, 0xc0, v86
	v_cmp_le_i32_e32 vcc, s5, v86
	s_or_b64 s[16:17], vcc, s[16:17]
	s_waitcnt vmcnt(10)
	v_cvt_pk_bf16_f32 v0, v12, v13
	s_waitcnt vmcnt(9)
	v_cvt_pk_bf16_f32 v72, v14, v15
	;; [unrolled: 2-line block ×9, first 2 shown]
	ds_read_b64 v[54:55], v88
	ds_read_b64 v[40:41], v88 offset:32
	ds_read_b64 v[36:37], v88 offset:64
	;; [unrolled: 1-line block ×7, first 2 shown]
	ds_write_b32 v87, v66
	ds_write_b32 v87, v64 offset:264
	ds_write_b32 v87, v65 offset:528
	;; [unrolled: 1-line block ×15, first 2 shown]
	s_waitcnt vmcnt(0)
	v_cvt_pk_bf16_f32 v111, v34, v35
	ds_read_b64 v[62:63], v88
	ds_read_b64 v[50:51], v88 offset:32
	ds_read_b64 v[48:49], v88 offset:64
	;; [unrolled: 1-line block ×7, first 2 shown]
	ds_write_b32 v87, v69
	ds_write_b32 v87, v81 offset:264
	ds_write_b32 v87, v90 offset:528
	;; [unrolled: 1-line block ×15, first 2 shown]
	v_cvt_pk_bf16_f32 v80, v30, v31
	ds_read_b64 v[68:69], v88
	ds_read_b64 v[60:61], v88 offset:32
	ds_read_b64 v[58:59], v88 offset:64
	;; [unrolled: 1-line block ×7, first 2 shown]
	ds_write_b32 v87, v56
	ds_write_b32 v87, v57 offset:264
	ds_write_b32 v87, v42 offset:528
	;; [unrolled: 1-line block ×15, first 2 shown]
	ds_read_b64 v[70:71], v88
	ds_read_b64 v[66:67], v88 offset:32
	ds_read_b64 v[64:65], v88 offset:64
	;; [unrolled: 1-line block ×7, first 2 shown]
	ds_write_b32 v87, v110
	ds_write_b32 v87, v89 offset:264
	ds_write_b32 v87, v0 offset:528
	;; [unrolled: 1-line block ×15, first 2 shown]
	ds_read_b64 v[72:73], v88
	v_accvgpr_read_b32 v91, a9
	v_accvgpr_read_b32 v90, a8
	;; [unrolled: 1-line block ×4, first 2 shown]
	v_accvgpr_mov_b32 a6, a12
	v_accvgpr_mov_b32 a7, a13
	;; [unrolled: 1-line block ×4, first 2 shown]
	v_accvgpr_read_b32 v94, a4
	v_accvgpr_read_b32 v95, a5
	s_waitcnt lgkmcnt(0)
	v_mfma_f32_16x16x16_bf16 a[6:9], v[54:55], v[72:73], a[6:9]
	ds_read_b64 v[54:55], v88 offset:32
	v_accvgpr_write_b32 a2, v94
	v_accvgpr_read_b32 v93, a11
	v_accvgpr_read_b32 v92, a10
	v_accvgpr_write_b32 a10, v90
	v_accvgpr_write_b32 a3, v95
	;; [unrolled: 1-line block ×4, first 2 shown]
	s_waitcnt lgkmcnt(0)
	v_mfma_f32_16x16x16_bf16 a[6:9], v[40:41], v[54:55], a[6:9]
	ds_read_b64 v[40:41], v88 offset:64
	v_accvgpr_write_b32 a11, v91
	v_accvgpr_write_b32 a12, v92
	;; [unrolled: 1-line block ×3, first 2 shown]
	v_mfma_f32_16x16x16_bf16 a[2:5], v[68:69], v[72:73], a[2:5]
	v_accvgpr_mov_b32 a15, a1
	v_accvgpr_mov_b32 a14, a0
	v_mfma_f32_16x16x16_bf16 a[10:13], v[62:63], v[72:73], a[10:13]
	s_nop 0
	v_mfma_f32_16x16x16_bf16 a[14:17], v[70:71], v[72:73], a[14:17]
	v_mfma_f32_16x16x16_bf16 a[0:3], v[60:61], v[54:55], a[2:5]
	s_waitcnt lgkmcnt(0)
	v_mfma_f32_16x16x16_bf16 a[4:7], v[36:37], v[40:41], a[6:9]
	ds_read_b64 v[36:37], v88 offset:96
	v_mfma_f32_16x16x16_bf16 a[10:13], v[50:51], v[54:55], a[10:13]
	v_mfma_f32_16x16x16_bf16 a[14:17], v[66:67], v[54:55], a[14:17]
	;; [unrolled: 1-line block ×5, first 2 shown]
	s_waitcnt lgkmcnt(0)
	v_mfma_f32_16x16x16_bf16 a[4:7], v[24:25], v[36:37], a[4:7]
	ds_read_b64 v[24:25], v88 offset:128
	v_mfma_f32_16x16x16_bf16 a[8:11], v[34:35], v[36:37], a[8:11]
	v_mfma_f32_16x16x16_bf16 a[0:3], v[46:47], v[36:37], a[0:3]
	v_mfma_f32_16x16x16_bf16 a[12:15], v[56:57], v[36:37], a[12:15]
	s_waitcnt lgkmcnt(0)
	v_mfma_f32_16x16x16_bf16 a[4:7], v[22:23], v[24:25], a[4:7]
	ds_read_b64 v[22:23], v88 offset:160
	v_mfma_f32_16x16x16_bf16 a[8:11], v[32:33], v[24:25], a[8:11]
	v_mfma_f32_16x16x16_bf16 a[0:3], v[44:45], v[24:25], a[0:3]
	v_mfma_f32_16x16x16_bf16 a[12:15], v[52:53], v[24:25], a[12:15]
	;; [unrolled: 6-line block ×4, first 2 shown]
	s_waitcnt lgkmcnt(0)
	v_mfma_f32_16x16x16_bf16 a[12:15], v[8:9], v[10:11], a[4:7]
	v_mfma_f32_16x16x16_bf16 a[8:11], v[12:13], v[10:11], a[8:11]
	;; [unrolled: 1-line block ×4, first 2 shown]
	s_andn2_b64 exec, exec, s[16:17]
	s_cbranch_execnz .LBB131_4
; %bb.5:
	s_or_b64 exec, exec, s[16:17]
.LBB131_6:
	s_or_b64 exec, exec, s[24:25]
	v_lshl_add_u32 v0, v84, 2, 0
	v_mul_u32_u24_e32 v1, 0x308, v85
	v_and_b32_e32 v2, 0x3f0, v83
	v_add3_u32 v0, v0, v1, v2
	v_accvgpr_read_b32 v1, a13
	v_accvgpr_read_b32 v2, a12
	s_waitcnt lgkmcnt(0)
	s_barrier
	ds_write2_b32 v0, v2, v1 offset1:1
	v_accvgpr_read_b32 v1, a15
	v_accvgpr_read_b32 v2, a14
	ds_write2_b32 v0, v2, v1 offset0:2 offset1:3
	v_accvgpr_read_b32 v1, a9
	v_accvgpr_read_b32 v2, a8
	s_mul_hi_i32 s1, s15, s4
	s_mul_i32 s0, s15, s4
	ds_write2_b32 v0, v2, v1 offset0:16 offset1:17
	v_accvgpr_read_b32 v1, a11
	v_accvgpr_read_b32 v2, a10
	s_lshl_b64 s[0:1], s[0:1], 2
	ds_write2_b32 v0, v2, v1 offset0:18 offset1:19
	v_accvgpr_read_b32 v1, a5
	v_accvgpr_read_b32 v2, a4
	s_mul_i32 s4, s11, s3
	s_add_u32 s3, s6, s0
	ds_write2_b32 v0, v2, v1 offset0:32 offset1:33
	v_accvgpr_read_b32 v1, a7
	v_accvgpr_read_b32 v2, a6
	s_addc_u32 s6, s7, s1
	s_ashr_i32 s5, s4, 31
	ds_write2_b32 v0, v2, v1 offset0:34 offset1:35
	v_accvgpr_read_b32 v1, a1
	v_accvgpr_read_b32 v2, a0
	s_lshl_b64 s[0:1], s[4:5], 2
	ds_write2_b32 v0, v2, v1 offset0:48 offset1:49
	v_accvgpr_read_b32 v1, a3
	v_accvgpr_read_b32 v2, a2
	s_add_u32 s0, s3, s0
	s_movk_i32 s3, 0x308
	ds_write2_b32 v0, v2, v1 offset0:50 offset1:51
	v_lshl_add_u32 v1, v83, 2, 0
	v_mad_u32_u24 v8, v82, s3, v1
	s_waitcnt lgkmcnt(0)
	s_barrier
	ds_read2st64_b32 v[2:3], v8 offset1:1
	ds_read_b32 v4, v8 offset:512
	ds_read_b32 v9, v8 offset:2840
	;; [unrolled: 1-line block ×4, first 2 shown]
	s_waitcnt lgkmcnt(4)
	v_add_f32_e32 v2, 0, v2
	v_add_f32_e32 v2, v2, v3
	s_waitcnt lgkmcnt(3)
	v_add_f32_e32 v12, v2, v4
	v_add_u32_e32 v2, 24, v8
	ds_read2st64_b32 v[4:5], v2 offset0:9 offset1:10
	v_add_u32_e32 v0, s2, v83
	v_mad_u64_u32 v[2:3], s[2:3], v82, s18, v[0:1]
	s_addc_u32 s1, s6, s1
	s_waitcnt lgkmcnt(0)
	v_add_f32_e32 v4, 0, v4
	v_add_f32_e32 v4, v4, v5
	;; [unrolled: 1-line block ×3, first 2 shown]
	v_add_u32_e32 v4, 48, v8
	ds_read2st64_b32 v[4:5], v4 offset0:18 offset1:19
	v_mov_b32_e32 v3, 0
	s_mul_i32 s2, s18, 3
	v_lshl_add_u64 v[6:7], v[2:3], 2, s[0:1]
	v_add_u32_e32 v2, s2, v2
	global_store_dword v[6:7], v12, off
	v_lshl_add_u64 v[6:7], v[2:3], 2, s[0:1]
	s_waitcnt lgkmcnt(0)
	v_add_f32_e32 v4, 0, v4
	global_store_dword v[6:7], v9, off
	v_add_f32_e32 v6, v4, v5
	v_add_u32_e32 v4, 0x48, v8
	ds_read2st64_b32 v[4:5], v4 offset0:27 offset1:28
	v_add_u32_e32 v2, s2, v2
	v_add_f32_e32 v8, v6, v10
	v_lshl_add_u64 v[6:7], v[2:3], 2, s[0:1]
	v_add_u32_e32 v2, s2, v2
	s_waitcnt lgkmcnt(0)
	v_add_f32_e32 v4, 0, v4
	v_add_f32_e32 v4, v4, v5
	global_store_dword v[6:7], v8, off
	v_add_f32_e32 v6, v4, v11
	v_lshl_add_u64 v[4:5], v[2:3], 2, s[0:1]
	v_cmp_eq_u32_e32 vcc, 0, v82
	global_store_dword v[4:5], v6, off
	s_and_saveexec_b64 s[2:3], vcc
	s_cbranch_execz .LBB131_8
; %bb.7:
	v_add_u32_e32 v2, 0x60, v1
	ds_read2st64_b32 v[4:5], v2 offset0:36 offset1:37
	ds_read_b32 v2, v1 offset:9824
	v_mad_u64_u32 v[0:1], s[2:3], s18, 12, v[0:1]
	v_mov_b32_e32 v1, v3
	s_waitcnt lgkmcnt(1)
	v_add_f32_e32 v3, 0, v4
	v_add_f32_e32 v3, v3, v5
	s_waitcnt lgkmcnt(0)
	v_add_f32_e32 v2, v3, v2
	v_lshl_add_u64 v[0:1], v[0:1], 2, s[0:1]
	global_store_dword v[0:1], v2, off
.LBB131_8:
	s_endpgm
	.section	.rodata,"a",@progbits
	.p2align	6, 0x0
	.amdhsa_kernel _ZL9mul_mat_fI15__hip_bfloat162Li64ELi13ELi3ELb0EEvPKT_PKfPKiPfiiiiiiiiiiiiiiii
		.amdhsa_group_segment_fixed_size 0
		.amdhsa_private_segment_fixed_size 0
		.amdhsa_kernarg_size 96
		.amdhsa_user_sgpr_count 2
		.amdhsa_user_sgpr_dispatch_ptr 0
		.amdhsa_user_sgpr_queue_ptr 0
		.amdhsa_user_sgpr_kernarg_segment_ptr 1
		.amdhsa_user_sgpr_dispatch_id 0
		.amdhsa_user_sgpr_kernarg_preload_length 0
		.amdhsa_user_sgpr_kernarg_preload_offset 0
		.amdhsa_user_sgpr_private_segment_size 0
		.amdhsa_uses_dynamic_stack 0
		.amdhsa_enable_private_segment 0
		.amdhsa_system_sgpr_workgroup_id_x 1
		.amdhsa_system_sgpr_workgroup_id_y 1
		.amdhsa_system_sgpr_workgroup_id_z 1
		.amdhsa_system_sgpr_workgroup_info 0
		.amdhsa_system_vgpr_workitem_id 1
		.amdhsa_next_free_vgpr 132
		.amdhsa_next_free_sgpr 97
		.amdhsa_accum_offset 112
		.amdhsa_reserve_vcc 1
		.amdhsa_float_round_mode_32 0
		.amdhsa_float_round_mode_16_64 0
		.amdhsa_float_denorm_mode_32 3
		.amdhsa_float_denorm_mode_16_64 3
		.amdhsa_dx10_clamp 1
		.amdhsa_ieee_mode 1
		.amdhsa_fp16_overflow 0
		.amdhsa_tg_split 0
		.amdhsa_exception_fp_ieee_invalid_op 0
		.amdhsa_exception_fp_denorm_src 0
		.amdhsa_exception_fp_ieee_div_zero 0
		.amdhsa_exception_fp_ieee_overflow 0
		.amdhsa_exception_fp_ieee_underflow 0
		.amdhsa_exception_fp_ieee_inexact 0
		.amdhsa_exception_int_div_zero 0
	.end_amdhsa_kernel
	.section	.text._ZL9mul_mat_fI15__hip_bfloat162Li64ELi13ELi3ELb0EEvPKT_PKfPKiPfiiiiiiiiiiiiiiii,"axG",@progbits,_ZL9mul_mat_fI15__hip_bfloat162Li64ELi13ELi3ELb0EEvPKT_PKfPKiPfiiiiiiiiiiiiiiii,comdat
.Lfunc_end131:
	.size	_ZL9mul_mat_fI15__hip_bfloat162Li64ELi13ELi3ELb0EEvPKT_PKfPKiPfiiiiiiiiiiiiiiii, .Lfunc_end131-_ZL9mul_mat_fI15__hip_bfloat162Li64ELi13ELi3ELb0EEvPKT_PKfPKiPfiiiiiiiiiiiiiiii
                                        ; -- End function
	.set _ZL9mul_mat_fI15__hip_bfloat162Li64ELi13ELi3ELb0EEvPKT_PKfPKiPfiiiiiiiiiiiiiiii.num_vgpr, 112
	.set _ZL9mul_mat_fI15__hip_bfloat162Li64ELi13ELi3ELb0EEvPKT_PKfPKiPfiiiiiiiiiiiiiiii.num_agpr, 20
	.set _ZL9mul_mat_fI15__hip_bfloat162Li64ELi13ELi3ELb0EEvPKT_PKfPKiPfiiiiiiiiiiiiiiii.numbered_sgpr, 97
	.set _ZL9mul_mat_fI15__hip_bfloat162Li64ELi13ELi3ELb0EEvPKT_PKfPKiPfiiiiiiiiiiiiiiii.num_named_barrier, 0
	.set _ZL9mul_mat_fI15__hip_bfloat162Li64ELi13ELi3ELb0EEvPKT_PKfPKiPfiiiiiiiiiiiiiiii.private_seg_size, 0
	.set _ZL9mul_mat_fI15__hip_bfloat162Li64ELi13ELi3ELb0EEvPKT_PKfPKiPfiiiiiiiiiiiiiiii.uses_vcc, 1
	.set _ZL9mul_mat_fI15__hip_bfloat162Li64ELi13ELi3ELb0EEvPKT_PKfPKiPfiiiiiiiiiiiiiiii.uses_flat_scratch, 0
	.set _ZL9mul_mat_fI15__hip_bfloat162Li64ELi13ELi3ELb0EEvPKT_PKfPKiPfiiiiiiiiiiiiiiii.has_dyn_sized_stack, 0
	.set _ZL9mul_mat_fI15__hip_bfloat162Li64ELi13ELi3ELb0EEvPKT_PKfPKiPfiiiiiiiiiiiiiiii.has_recursion, 0
	.set _ZL9mul_mat_fI15__hip_bfloat162Li64ELi13ELi3ELb0EEvPKT_PKfPKiPfiiiiiiiiiiiiiiii.has_indirect_call, 0
	.section	.AMDGPU.csdata,"",@progbits
; Kernel info:
; codeLenInByte = 5312
; TotalNumSgprs: 103
; NumVgprs: 112
; NumAgprs: 20
; TotalNumVgprs: 132
; ScratchSize: 0
; MemoryBound: 0
; FloatMode: 240
; IeeeMode: 1
; LDSByteSize: 0 bytes/workgroup (compile time only)
; SGPRBlocks: 12
; VGPRBlocks: 16
; NumSGPRsForWavesPerEU: 103
; NumVGPRsForWavesPerEU: 132
; AccumOffset: 112
; Occupancy: 3
; WaveLimiterHint : 0
; COMPUTE_PGM_RSRC2:SCRATCH_EN: 0
; COMPUTE_PGM_RSRC2:USER_SGPR: 2
; COMPUTE_PGM_RSRC2:TRAP_HANDLER: 0
; COMPUTE_PGM_RSRC2:TGID_X_EN: 1
; COMPUTE_PGM_RSRC2:TGID_Y_EN: 1
; COMPUTE_PGM_RSRC2:TGID_Z_EN: 1
; COMPUTE_PGM_RSRC2:TIDIG_COMP_CNT: 1
; COMPUTE_PGM_RSRC3_GFX90A:ACCUM_OFFSET: 27
; COMPUTE_PGM_RSRC3_GFX90A:TG_SPLIT: 0
	.section	.text._ZL13mul_mat_f_idsI15__hip_bfloat162Li64ELi13ELi4EEvPKT_PKfPKiS7_S7_Pfiiiiiiiiiiiiii15HIP_vector_typeIjLj3EESA_,"axG",@progbits,_ZL13mul_mat_f_idsI15__hip_bfloat162Li64ELi13ELi4EEvPKT_PKfPKiS7_S7_Pfiiiiiiiiiiiiii15HIP_vector_typeIjLj3EESA_,comdat
	.globl	_ZL13mul_mat_f_idsI15__hip_bfloat162Li64ELi13ELi4EEvPKT_PKfPKiS7_S7_Pfiiiiiiiiiiiiii15HIP_vector_typeIjLj3EESA_ ; -- Begin function _ZL13mul_mat_f_idsI15__hip_bfloat162Li64ELi13ELi4EEvPKT_PKfPKiS7_S7_Pfiiiiiiiiiiiiii15HIP_vector_typeIjLj3EESA_
	.p2align	8
	.type	_ZL13mul_mat_f_idsI15__hip_bfloat162Li64ELi13ELi4EEvPKT_PKfPKiS7_S7_Pfiiiiiiiiiiiiii15HIP_vector_typeIjLj3EESA_,@function
_ZL13mul_mat_f_idsI15__hip_bfloat162Li64ELi13ELi4EEvPKT_PKfPKiS7_S7_Pfiiiiiiiiiiiiii15HIP_vector_typeIjLj3EESA_: ; @_ZL13mul_mat_f_idsI15__hip_bfloat162Li64ELi13ELi4EEvPKT_PKfPKiS7_S7_Pfiiiiiiiiiiiiii15HIP_vector_typeIjLj3EESA_
; %bb.0:
	s_load_dwordx2 s[6:7], s[0:1], 0x20
	s_mov_b32 s34, s3
	s_ashr_i32 s35, s3, 31
	s_lshl_b64 s[8:9], s[34:35], 2
	s_waitcnt lgkmcnt(0)
	s_add_u32 s6, s6, s8
	s_addc_u32 s7, s7, s9
	s_load_dwordx2 s[30:31], s[6:7], 0x0
	s_waitcnt lgkmcnt(0)
	s_sub_i32 s26, s31, s30
	s_add_i32 s3, s26, 12
	s_mul_hi_i32 s3, s3, 0x4ec4ec4f
	s_lshr_b32 s5, s3, 31
	s_ashr_i32 s3, s3, 2
	s_add_i32 s3, s3, s5
	s_cmp_ge_i32 s4, s3
	s_cbranch_scc1 .LBB132_59
; %bb.1:
	v_bfe_u32 v2, v0, 10, 10
	v_lshlrev_b32_e32 v70, 6, v2
	v_and_b32_e32 v3, 0x3ff, v0
	s_load_dwordx4 s[12:15], s[0:1], 0x30
	s_load_dwordx2 s[20:21], s[0:1], 0x40
	s_load_dwordx4 s[8:11], s[0:1], 0x4c
	s_load_dwordx4 s[16:19], s[0:1], 0x68
	s_load_dwordx2 s[24:25], s[0:1], 0x78
	v_add_u32_e32 v72, v70, v3
	s_ashr_i32 s31, s30, 31
	s_waitcnt lgkmcnt(0)
	v_cmp_le_i32_e32 vcc, s12, v72
	v_and_b32_e32 v71, 15, v3
	s_and_saveexec_b64 s[6:7], vcc
	s_xor_b64 s[6:7], exec, s[6:7]
; %bb.2:
	v_and_b32_e32 v71, 15, v3
                                        ; implicit-def: $vgpr72
; %bb.3:
	s_or_saveexec_b64 s[36:37], s[6:7]
	s_load_dwordx2 s[22:23], s[0:1], 0x18
	s_load_dwordx2 s[6:7], s[0:1], 0x28
                                        ; implicit-def: $vgpr102 : SGPR spill to VGPR lane
	s_lshl_b32 s11, s2, 6
	s_mul_i32 s28, s4, 13
	v_mov_b32_e32 v1, 0
	v_accvgpr_write_b32 a4, 0
	s_waitcnt lgkmcnt(0)
	v_writelane_b32 v102, s6, 0
	v_accvgpr_write_b32 a5, 0
	v_accvgpr_write_b32 a6, 0
	v_accvgpr_write_b32 a7, 0
	v_accvgpr_write_b32 a0, 0
	v_accvgpr_write_b32 a1, 0
	v_accvgpr_write_b32 a2, 0
	v_accvgpr_write_b32 a3, 0
	v_accvgpr_write_b32 a8, 0
	v_accvgpr_write_b32 a9, 0
	v_accvgpr_write_b32 a10, 0
	v_accvgpr_write_b32 a11, 0
	v_accvgpr_write_b32 a12, 0
	v_accvgpr_write_b32 a13, 0
	v_accvgpr_write_b32 a14, 0
	v_accvgpr_write_b32 a15, 0
	v_writelane_b32 v102, s7, 1
	s_xor_b64 exec, exec, s[36:37]
	s_cbranch_execz .LBB132_46
; %bb.4:
	s_load_dwordx4 s[4:7], s[0:1], 0x0
	s_load_dwordx2 s[2:3], s[0:1], 0x10
	v_writelane_b32 v102, s36, 2
	s_mul_i32 s0, s8, s34
	s_ashr_i32 s1, s0, 31
	v_writelane_b32 v102, s37, 3
	v_writelane_b32 v102, s22, 4
	s_lshl_b64 s[64:65], s[0:1], 2
	s_waitcnt lgkmcnt(0)
	s_add_u32 s0, s4, s64
	v_writelane_b32 v102, s23, 5
	s_mul_i32 s22, s15, s11
	v_writelane_b32 v102, s24, 6
	s_addc_u32 s1, s5, s65
	s_ashr_i32 s23, s22, 31
	v_writelane_b32 v102, s25, 7
	s_lshl_b64 s[66:67], s[22:23], 2
	v_writelane_b32 v102, s11, 8
	s_add_u32 s0, s0, s66
	s_addc_u32 s1, s1, s67
	v_writelane_b32 v102, s30, 9
	s_lshl_b64 s[22:23], s[30:31], 2
	s_add_u32 s8, s2, s22
	s_addc_u32 s11, s3, s23
	s_movk_i32 s2, 0x1080
	s_cmp_lt_i32 s28, s26
	v_writelane_b32 v102, s31, 10
	v_mad_u32_u24 v0, v2, s2, 0
	s_cselect_b64 s[2:3], -1, 0
	v_writelane_b32 v102, s2, 11
	s_ashr_i32 s29, s28, 31
	s_mov_b32 s22, s15
	v_writelane_b32 v102, s3, 12
	s_lshl_b64 s[2:3], s[28:29], 2
	s_add_u32 s36, s8, s2
	s_addc_u32 s37, s11, s3
	s_add_i32 s2, s28, 1
	s_cmp_lt_i32 s2, s26
	s_cselect_b64 s[2:3], -1, 0
	v_writelane_b32 v102, s2, 13
	v_lshrrev_b32_e32 v6, 1, v3
	v_lshlrev_b32_e32 v4, 2, v3
	v_writelane_b32 v102, s3, 14
	s_add_i32 s2, s28, 2
	s_cmp_lt_i32 s2, s26
	s_cselect_b64 s[2:3], -1, 0
	v_writelane_b32 v102, s2, 15
	v_mul_u32_u24_e32 v5, 0x108, v71
	v_and_b32_e32 v6, 0x1f8, v6
	v_writelane_b32 v102, s3, 16
	s_add_i32 s2, s28, 3
	s_cmp_lt_i32 s2, s26
	s_cselect_b64 s[2:3], -1, 0
	v_writelane_b32 v102, s2, 17
	v_add_u32_e32 v73, v0, v4
	v_add3_u32 v74, v0, v5, v6
	v_writelane_b32 v102, s3, 18
	s_add_i32 s2, s28, 4
	s_cmp_lt_i32 s2, s26
	s_cselect_b64 s[2:3], -1, 0
	v_writelane_b32 v102, s2, 19
	v_lshlrev_b32_e32 v0, 8, v2
	v_mov_b32_e32 v5, v1
	v_writelane_b32 v102, s3, 20
	s_add_i32 s2, s28, 5
	s_cmp_lt_i32 s2, s26
	s_cselect_b64 s[2:3], -1, 0
	v_writelane_b32 v102, s2, 21
	s_mul_i32 s8, s15, 3
	s_mul_i32 s69, s15, 5
	v_writelane_b32 v102, s3, 22
	s_add_i32 s2, s28, 6
	s_cmp_lt_i32 s2, s26
	s_cselect_b64 s[48:49], -1, 0
	s_add_i32 s2, s28, 7
	s_cmp_lt_i32 s2, s26
	s_cselect_b64 s[50:51], -1, 0
	;; [unrolled: 3-line block ×5, first 2 shown]
	s_add_i32 s2, s28, 11
	s_cmp_lt_i32 s2, s26
	s_mov_b32 s2, s28
	v_writelane_b32 v102, s2, 23
	s_cselect_b64 s[58:59], -1, 0
	s_mul_i32 s70, s15, 6
	v_writelane_b32 v102, s3, 24
	s_add_i32 s2, s28, 12
	s_cmp_lt_i32 s2, s26
	s_cselect_b64 s[60:61], -1, 0
	s_ashr_i32 s23, s15, 31
	s_add_i32 s3, s15, s15
	s_lshl_b32 s68, s15, 2
	s_lshl_b32 s72, s15, 3
	;; [unrolled: 1-line block ×4, first 2 shown]
	s_lshl_b64 s[62:63], s[22:23], 2
	s_add_u32 s22, s64, s66
	s_addc_u32 s23, s65, s67
	v_lshl_add_u64 v[6:7], s[22:23], 0, v[0:1]
	v_lshl_add_u64 v[4:5], v[6:7], 0, v[4:5]
	v_writelane_b32 v102, s26, 25
	s_mul_i32 s71, s15, 7
	s_mul_i32 s73, s15, 9
	;; [unrolled: 1-line block ×20, first 2 shown]
	v_accvgpr_write_b32 a15, 0
	v_accvgpr_write_b32 a14, 0
	;; [unrolled: 1-line block ×16, first 2 shown]
	v_lshl_add_u64 v[4:5], s[4:5], 0, v[4:5]
	s_mul_i32 s90, s15, 29
	s_mul_i32 s91, s15, 30
	;; [unrolled: 1-line block ×34, first 2 shown]
	s_mov_b32 s46, 0x5040100
	s_mov_b64 s[4:5], 0
	s_branch .LBB132_6
.LBB132_5:                              ;   in Loop: Header=BB132_6 Depth=1
	v_perm_b32 v0, v0, v75, s46
	v_perm_b32 v75, v77, v78, s46
	ds_write2_b32 v73, v0, v75 offset1:66
	v_perm_b32 v0, v79, v76, s46
	v_perm_b32 v75, v81, v82, s46
	ds_write2_b32 v73, v0, v75 offset0:132 offset1:198
	v_perm_b32 v0, v83, v80, s46
	v_perm_b32 v75, v85, v86, s46
	v_add_u32_e32 v76, 0x400, v73
	ds_write2_b32 v76, v0, v75 offset0:8 offset1:74
	v_perm_b32 v0, v87, v84, s46
	v_perm_b32 v75, v89, v90, s46
	ds_write2_b32 v76, v0, v75 offset0:140 offset1:206
	v_perm_b32 v0, v91, v88, s46
	v_perm_b32 v75, v93, v94, s46
	v_add_u32_e32 v76, 0x800, v73
	ds_write2_b32 v76, v0, v75 offset0:16 offset1:82
	v_perm_b32 v0, v95, v92, s46
	v_perm_b32 v75, v97, v98, s46
	ds_write2_b32 v76, v0, v75 offset0:148 offset1:214
	v_perm_b32 v0, v99, v96, s46
	v_add_u32_e32 v75, 0xc00, v73
	ds_write2_b32 v75, v0, v1 offset0:24 offset1:90
	ds_write2_b32 v75, v1, v1 offset0:156 offset1:222
	ds_read2_b64 v[76:79], v74 offset1:4
	s_waitcnt lgkmcnt(0)
	v_mfma_f32_16x16x16_bf16 a[4:7], v[12:13], v[76:77], a[4:7]
	v_add_u32_e32 v72, 0x100, v72
	s_mov_b64 vcc, 0x400
	v_lshl_add_u64 v[4:5], v[4:5], 0, vcc
	v_mfma_f32_16x16x16_bf16 a[0:3], v[38:39], v[76:77], a[0:3]
	v_cmp_le_i32_e32 vcc, s12, v72
	s_or_b64 s[4:5], vcc, s[4:5]
	v_mfma_f32_16x16x16_bf16 a[8:11], v[52:53], v[76:77], a[8:11]
	v_mfma_f32_16x16x16_bf16 a[12:15], v[68:69], v[76:77], a[12:15]
	v_mfma_f32_16x16x16_bf16 a[4:7], v[10:11], v[78:79], a[4:7]
	ds_read2_b64 v[10:13], v74 offset0:8 offset1:12
	v_mfma_f32_16x16x16_bf16 a[0:3], v[36:37], v[78:79], a[0:3]
	v_mfma_f32_16x16x16_bf16 a[8:11], v[50:51], v[78:79], a[8:11]
	v_mfma_f32_16x16x16_bf16 a[12:15], v[66:67], v[78:79], a[12:15]
	s_waitcnt lgkmcnt(0)
	v_mfma_f32_16x16x16_bf16 a[4:7], v[8:9], v[10:11], a[4:7]
	v_mfma_f32_16x16x16_bf16 a[0:3], v[32:33], v[10:11], a[0:3]
	;; [unrolled: 1-line block ×5, first 2 shown]
	ds_read2_b64 v[6:9], v74 offset0:16 offset1:20
	v_mfma_f32_16x16x16_bf16 a[0:3], v[30:31], v[12:13], a[0:3]
	v_mfma_f32_16x16x16_bf16 a[8:11], v[46:47], v[12:13], a[8:11]
	;; [unrolled: 1-line block ×3, first 2 shown]
	s_waitcnt lgkmcnt(0)
	v_mfma_f32_16x16x16_bf16 a[4:7], v[20:21], v[6:7], a[4:7]
	v_mfma_f32_16x16x16_bf16 a[0:3], v[28:29], v[6:7], a[0:3]
	;; [unrolled: 1-line block ×8, first 2 shown]
	ds_read2_b64 v[6:9], v74 offset0:24 offset1:28
	s_waitcnt lgkmcnt(0)
	v_mfma_f32_16x16x16_bf16 a[4:7], v[16:17], v[6:7], a[4:7]
	v_mfma_f32_16x16x16_bf16 a[0:3], v[24:25], v[6:7], a[0:3]
	;; [unrolled: 1-line block ×8, first 2 shown]
	s_andn2_b64 exec, exec, s[4:5]
	s_cbranch_execz .LBB132_45
.LBB132_6:                              ; =>This Inner Loop Header: Depth=1
	v_lshl_add_u64 v[6:7], v[4:5], 0, s[62:63]
	global_load_dword v0, v[4:5], off
	global_load_dword v22, v[6:7], off
	v_add_u32_e32 v6, s3, v72
	v_add_u32_e32 v10, s68, v72
	v_add_u32_e32 v12, s69, v72
	v_add_u32_e32 v18, s72, v72
	v_ashrrev_i32_e32 v7, 31, v6
	v_add_u32_e32 v8, s8, v72
	v_ashrrev_i32_e32 v11, 31, v10
	v_ashrrev_i32_e32 v13, 31, v12
	v_add_u32_e32 v14, s70, v72
	v_add_u32_e32 v16, s71, v72
	v_ashrrev_i32_e32 v19, 31, v18
	v_add_u32_e32 v20, s73, v72
	v_lshl_add_u64 v[6:7], v[6:7], 2, s[0:1]
	v_ashrrev_i32_e32 v9, 31, v8
	v_lshl_add_u64 v[10:11], v[10:11], 2, s[0:1]
	v_lshl_add_u64 v[12:13], v[12:13], 2, s[0:1]
	v_ashrrev_i32_e32 v15, 31, v14
	v_ashrrev_i32_e32 v17, 31, v16
	v_lshl_add_u64 v[18:19], v[18:19], 2, s[0:1]
	v_ashrrev_i32_e32 v21, 31, v20
	v_lshl_add_u64 v[8:9], v[8:9], 2, s[0:1]
	v_lshl_add_u64 v[14:15], v[14:15], 2, s[0:1]
	;; [unrolled: 1-line block ×4, first 2 shown]
	global_load_dword v23, v[6:7], off
	global_load_dword v24, v[8:9], off
	;; [unrolled: 1-line block ×6, first 2 shown]
	s_nop 0
	global_load_dword v18, v[18:19], off
	s_nop 0
	global_load_dword v19, v[20:21], off
	v_add_u32_e32 v6, s74, v72
	v_add_u32_e32 v10, s76, v72
	;; [unrolled: 1-line block ×3, first 2 shown]
	v_ashrrev_i32_e32 v7, 31, v6
	v_add_u32_e32 v8, s75, v72
	v_ashrrev_i32_e32 v11, 31, v10
	v_ashrrev_i32_e32 v13, 31, v12
	v_add_u32_e32 v14, s78, v72
	v_add_u32_e32 v16, s79, v72
	v_lshl_add_u64 v[6:7], v[6:7], 2, s[0:1]
	v_ashrrev_i32_e32 v9, 31, v8
	v_lshl_add_u64 v[10:11], v[10:11], 2, s[0:1]
	v_lshl_add_u64 v[12:13], v[12:13], 2, s[0:1]
	v_ashrrev_i32_e32 v15, 31, v14
	v_ashrrev_i32_e32 v17, 31, v16
	v_lshl_add_u64 v[8:9], v[8:9], 2, s[0:1]
	v_lshl_add_u64 v[14:15], v[14:15], 2, s[0:1]
	;; [unrolled: 1-line block ×3, first 2 shown]
	global_load_dword v20, v[6:7], off
	global_load_dword v21, v[8:9], off
	s_nop 0
	global_load_dword v10, v[10:11], off
	s_nop 0
	;; [unrolled: 2-line block ×3, first 2 shown]
	global_load_dword v12, v[14:15], off
	global_load_dword v13, v[16:17], off
	v_add_u32_e32 v6, s80, v72
	v_add_u32_e32 v8, s81, v72
	v_ashrrev_i32_e32 v7, 31, v6
	v_ashrrev_i32_e32 v9, 31, v8
	v_lshl_add_u64 v[6:7], v[6:7], 2, s[0:1]
	v_add_u32_e32 v14, s82, v72
	v_lshl_add_u64 v[8:9], v[8:9], 2, s[0:1]
	global_load_dword v30, v[6:7], off
	global_load_dword v31, v[8:9], off
	v_ashrrev_i32_e32 v15, 31, v14
	v_add_u32_e32 v16, s83, v72
	v_lshl_add_u64 v[14:15], v[14:15], 2, s[0:1]
	v_ashrrev_i32_e32 v17, 31, v16
	v_lshl_add_u64 v[16:17], v[16:17], 2, s[0:1]
	v_readlane_b32 vcc_lo, v102, 11
	v_readlane_b32 vcc_hi, v102, 12
	s_andn2_b64 vcc, exec, vcc
	s_waitcnt vmcnt(17)
	ds_write_b32 v73, v0
	s_waitcnt vmcnt(16)
	ds_write_b32 v73, v22 offset:264
	s_waitcnt vmcnt(15)
	ds_write_b32 v73, v23 offset:528
	;; [unrolled: 2-line block ×15, first 2 shown]
	v_add_u32_e32 v18, s84, v72
	v_add_u32_e32 v20, s64, v72
	;; [unrolled: 1-line block ×6, first 2 shown]
	v_ashrrev_i32_e32 v19, 31, v18
	v_ashrrev_i32_e32 v21, 31, v20
	;; [unrolled: 1-line block ×6, first 2 shown]
	ds_read_b64 v[12:13], v74
	ds_read_b64 v[10:11], v74 offset:32
	ds_read_b64 v[8:9], v74 offset:64
	;; [unrolled: 1-line block ×3, first 2 shown]
	v_lshl_add_u64 v[18:19], v[18:19], 2, s[0:1]
	v_lshl_add_u64 v[20:21], v[20:21], 2, s[0:1]
	v_lshl_add_u64 v[22:23], v[22:23], 2, s[0:1]
	v_lshl_add_u64 v[24:25], v[24:25], 2, s[0:1]
	v_lshl_add_u64 v[26:27], v[26:27], 2, s[0:1]
	v_lshl_add_u64 v[28:29], v[28:29], 2, s[0:1]
	global_load_dword v0, v[14:15], off
	global_load_dword v32, v[16:17], off
	global_load_dword v33, v[18:19], off
	global_load_dword v34, v[20:21], off
	global_load_dword v35, v[22:23], off
	global_load_dword v36, v[24:25], off
	global_load_dword v37, v[26:27], off
	global_load_dword v38, v[28:29], off
	v_add_u32_e32 v14, s87, v72
	v_ashrrev_i32_e32 v15, 31, v14
	v_add_u32_e32 v16, s88, v72
	v_add_u32_e32 v18, s89, v72
	v_add_u32_e32 v20, s90, v72
	v_add_u32_e32 v22, s91, v72
	v_add_u32_e32 v24, s92, v72
	v_add_u32_e32 v26, s85, v72
	v_add_u32_e32 v28, s93, v72
	v_lshl_add_u64 v[14:15], v[14:15], 2, s[0:1]
	v_ashrrev_i32_e32 v17, 31, v16
	v_ashrrev_i32_e32 v19, 31, v18
	v_ashrrev_i32_e32 v21, 31, v20
	v_ashrrev_i32_e32 v23, 31, v22
	v_ashrrev_i32_e32 v25, 31, v24
	v_ashrrev_i32_e32 v27, 31, v26
	v_ashrrev_i32_e32 v29, 31, v28
	v_lshl_add_u64 v[16:17], v[16:17], 2, s[0:1]
	v_lshl_add_u64 v[18:19], v[18:19], 2, s[0:1]
	v_lshl_add_u64 v[20:21], v[20:21], 2, s[0:1]
	v_lshl_add_u64 v[22:23], v[22:23], 2, s[0:1]
	v_lshl_add_u64 v[24:25], v[24:25], 2, s[0:1]
	v_lshl_add_u64 v[26:27], v[26:27], 2, s[0:1]
	v_lshl_add_u64 v[28:29], v[28:29], 2, s[0:1]
	global_load_dword v39, v[14:15], off
	global_load_dword v40, v[16:17], off
	global_load_dword v41, v[18:19], off
	global_load_dword v42, v[20:21], off
	global_load_dword v43, v[22:23], off
	global_load_dword v44, v[24:25], off
	global_load_dword v45, v[26:27], off
	global_load_dword v46, v[28:29], off
	v_add_u32_e32 v14, s94, v72
	v_ashrrev_i32_e32 v15, 31, v14
	v_add_u32_e32 v16, s95, v72
	v_add_u32_e32 v18, s96, v72
	v_add_u32_e32 v20, s97, v72
	v_add_u32_e32 v22, s98, v72
	v_add_u32_e32 v24, s99, v72
	v_add_u32_e32 v26, s24, v72
	v_add_u32_e32 v28, s25, v72
	v_lshl_add_u64 v[14:15], v[14:15], 2, s[0:1]
	v_ashrrev_i32_e32 v17, 31, v16
	v_ashrrev_i32_e32 v19, 31, v18
	v_ashrrev_i32_e32 v21, 31, v20
	v_ashrrev_i32_e32 v23, 31, v22
	v_ashrrev_i32_e32 v25, 31, v24
	v_ashrrev_i32_e32 v27, 31, v26
	v_ashrrev_i32_e32 v29, 31, v28
	v_lshl_add_u64 v[16:17], v[16:17], 2, s[0:1]
	;; [unrolled: 32-line block ×4, first 2 shown]
	v_lshl_add_u64 v[18:19], v[18:19], 2, s[0:1]
	v_lshl_add_u64 v[20:21], v[20:21], 2, s[0:1]
	;; [unrolled: 1-line block ×6, first 2 shown]
	global_load_dword v63, v[14:15], off
	global_load_dword v64, v[16:17], off
	;; [unrolled: 1-line block ×8, first 2 shown]
	v_add_u32_e32 v14, s41, v72
	v_ashrrev_i32_e32 v15, 31, v14
	v_add_u32_e32 v16, s42, v72
	v_add_u32_e32 v18, s43, v72
	;; [unrolled: 1-line block ×5, first 2 shown]
	v_lshl_add_u64 v[14:15], v[14:15], 2, s[0:1]
	v_ashrrev_i32_e32 v17, 31, v16
	v_ashrrev_i32_e32 v19, 31, v18
	;; [unrolled: 1-line block ×5, first 2 shown]
	v_lshl_add_u64 v[16:17], v[16:17], 2, s[0:1]
	v_lshl_add_u64 v[18:19], v[18:19], 2, s[0:1]
	v_lshl_add_u64 v[20:21], v[20:21], 2, s[0:1]
	v_lshl_add_u64 v[22:23], v[22:23], 2, s[0:1]
	v_lshl_add_u64 v[24:25], v[24:25], 2, s[0:1]
	global_load_dword v76, v[14:15], off
	global_load_dword v77, v[16:17], off
	;; [unrolled: 1-line block ×6, first 2 shown]
	ds_read_b64 v[20:21], v74 offset:128
	ds_read_b64 v[18:19], v74 offset:160
	ds_read_b64 v[16:17], v74 offset:192
	ds_read_b64 v[14:15], v74 offset:224
	s_waitcnt vmcnt(47)
	ds_write_b32 v73, v30
	s_waitcnt vmcnt(46)
	ds_write_b32 v73, v31 offset:264
	s_waitcnt vmcnt(45)
	ds_write_b32 v73, v0 offset:528
	s_waitcnt vmcnt(44)
	ds_write_b32 v73, v32 offset:792
	s_waitcnt vmcnt(43)
	ds_write_b32 v73, v33 offset:1056
	s_waitcnt vmcnt(42)
	ds_write_b32 v73, v34 offset:1320
	s_waitcnt vmcnt(41)
	ds_write_b32 v73, v35 offset:1584
	s_waitcnt vmcnt(40)
	ds_write_b32 v73, v36 offset:1848
	s_waitcnt vmcnt(39)
	ds_write_b32 v73, v37 offset:2112
	s_waitcnt vmcnt(38)
	ds_write_b32 v73, v38 offset:2376
	s_waitcnt vmcnt(37)
	ds_write_b32 v73, v39 offset:2640
	s_waitcnt vmcnt(36)
	ds_write_b32 v73, v40 offset:2904
	s_waitcnt vmcnt(35)
	ds_write_b32 v73, v41 offset:3168
	s_waitcnt vmcnt(34)
	ds_write_b32 v73, v42 offset:3432
	s_waitcnt vmcnt(33)
	ds_write_b32 v73, v43 offset:3696
	s_waitcnt vmcnt(32)
	ds_write_b32 v73, v44 offset:3960
	ds_read_b64 v[38:39], v74
	ds_read_b64 v[36:37], v74 offset:32
	ds_read_b64 v[32:33], v74 offset:64
	ds_read_b64 v[30:31], v74 offset:96
	ds_read_b64 v[28:29], v74 offset:128
	ds_read_b64 v[26:27], v74 offset:160
	ds_read_b64 v[24:25], v74 offset:192
	ds_read_b64 v[22:23], v74 offset:224
	s_waitcnt vmcnt(31)
	ds_write_b32 v73, v45
	s_waitcnt vmcnt(30)
	ds_write_b32 v73, v46 offset:264
	s_waitcnt vmcnt(29)
	ds_write_b32 v73, v47 offset:528
	s_waitcnt vmcnt(28)
	ds_write_b32 v73, v48 offset:792
	s_waitcnt vmcnt(27)
	ds_write_b32 v73, v49 offset:1056
	s_waitcnt vmcnt(26)
	ds_write_b32 v73, v50 offset:1320
	s_waitcnt vmcnt(25)
	ds_write_b32 v73, v51 offset:1584
	s_waitcnt vmcnt(24)
	ds_write_b32 v73, v52 offset:1848
	s_waitcnt vmcnt(23)
	ds_write_b32 v73, v53 offset:2112
	s_waitcnt vmcnt(22)
	ds_write_b32 v73, v54 offset:2376
	s_waitcnt vmcnt(21)
	ds_write_b32 v73, v55 offset:2640
	s_waitcnt vmcnt(20)
	ds_write_b32 v73, v56 offset:2904
	s_waitcnt vmcnt(19)
	ds_write_b32 v73, v57 offset:3168
	s_waitcnt vmcnt(18)
	ds_write_b32 v73, v58 offset:3432
	s_waitcnt vmcnt(17)
	ds_write_b32 v73, v59 offset:3696
	s_waitcnt vmcnt(16)
	ds_write_b32 v73, v60 offset:3960
	ds_read_b64 v[52:53], v74
	ds_read_b64 v[50:51], v74 offset:32
	ds_read_b64 v[48:49], v74 offset:64
	ds_read_b64 v[46:47], v74 offset:96
	;; [unrolled: 40-line block ×3, first 2 shown]
	ds_read_b64 v[64:65], v74 offset:128
	ds_read_b64 v[60:61], v74 offset:160
	;; [unrolled: 1-line block ×4, first 2 shown]
	v_mov_b32_e32 v75, 0
	v_mov_b32_e32 v0, 0
	s_cbranch_vccnz .LBB132_9
; %bb.7:                                ;   in Loop: Header=BB132_6 Depth=1
	s_load_dword s47, s[36:37], 0x0
	v_mov_b32_e32 v0, 0
	v_mov_b32_e32 v75, 0
	s_waitcnt lgkmcnt(0)
	s_mul_hi_u32 vcc_lo, s47, s16
	s_add_i32 vcc_lo, s47, vcc_lo
	s_lshr_b32 vcc_lo, vcc_lo, s17
	s_cmp_ge_i32 vcc_lo, s13
	s_cbranch_scc1 .LBB132_9
; %bb.8:                                ;   in Loop: Header=BB132_6 Depth=1
	s_mul_i32 vcc_hi, vcc_lo, s18
	s_sub_i32 s47, s47, vcc_hi
	s_mul_i32 vcc_lo, vcc_lo, s20
	s_mul_i32 s47, s47, s9
	v_add_u32_e32 v0, vcc_lo, v72
	v_lshl_add_u32 v76, v0, 1, s47
	v_ashrrev_i32_e32 v77, 31, v76
	v_lshl_add_u64 v[76:77], v[76:77], 2, s[6:7]
	global_load_dwordx2 v[76:77], v[76:77], off
	s_waitcnt vmcnt(0)
	v_cvt_pk_bf16_f32 v75, v76, s0
	v_cvt_pk_bf16_f32 v0, v77, s0
.LBB132_9:                              ;   in Loop: Header=BB132_6 Depth=1
	v_readlane_b32 vcc_lo, v102, 13
	v_readlane_b32 vcc_hi, v102, 14
	v_mov_b32_e32 v76, 0
	s_andn2_b64 vcc, exec, vcc
	v_mov_b32_e32 v78, 0
	v_mov_b32_e32 v77, 0
	s_cbranch_vccnz .LBB132_12
; %bb.10:                               ;   in Loop: Header=BB132_6 Depth=1
	s_load_dword s47, s[36:37], 0x4
	v_mov_b32_e32 v77, 0
	v_mov_b32_e32 v78, 0
	s_waitcnt lgkmcnt(0)
	s_mul_hi_u32 vcc_lo, s47, s16
	s_add_i32 vcc_lo, s47, vcc_lo
	s_lshr_b32 vcc_lo, vcc_lo, s17
	s_cmp_ge_i32 vcc_lo, s13
	s_cbranch_scc1 .LBB132_12
; %bb.11:                               ;   in Loop: Header=BB132_6 Depth=1
	s_mul_i32 vcc_hi, vcc_lo, s18
	s_sub_i32 s47, s47, vcc_hi
	s_mul_i32 vcc_lo, vcc_lo, s20
	s_mul_i32 s47, s47, s9
	v_add_u32_e32 v77, vcc_lo, v72
	v_lshl_add_u32 v78, v77, 1, s47
	v_ashrrev_i32_e32 v79, 31, v78
	v_lshl_add_u64 v[78:79], v[78:79], 2, s[6:7]
	global_load_dwordx2 v[78:79], v[78:79], off
	s_waitcnt vmcnt(0)
	v_cvt_pk_bf16_f32 v78, v78, s0
	v_cvt_pk_bf16_f32 v77, v79, s0
.LBB132_12:                             ;   in Loop: Header=BB132_6 Depth=1
	v_readlane_b32 vcc_lo, v102, 15
	v_readlane_b32 vcc_hi, v102, 16
	s_andn2_b64 vcc, exec, vcc
	v_mov_b32_e32 v79, 0
	s_cbranch_vccnz .LBB132_15
; %bb.13:                               ;   in Loop: Header=BB132_6 Depth=1
	s_load_dword s47, s[36:37], 0x8
	v_mov_b32_e32 v79, 0
	v_mov_b32_e32 v76, 0
	s_waitcnt lgkmcnt(0)
	s_mul_hi_u32 vcc_lo, s47, s16
	s_add_i32 vcc_lo, s47, vcc_lo
	s_lshr_b32 vcc_lo, vcc_lo, s17
	s_cmp_ge_i32 vcc_lo, s13
	s_cbranch_scc1 .LBB132_15
; %bb.14:                               ;   in Loop: Header=BB132_6 Depth=1
	s_mul_i32 vcc_hi, vcc_lo, s18
	s_sub_i32 s47, s47, vcc_hi
	s_mul_i32 vcc_lo, vcc_lo, s20
	s_mul_i32 s47, s47, s9
	v_add_u32_e32 v76, vcc_lo, v72
	v_lshl_add_u32 v80, v76, 1, s47
	v_ashrrev_i32_e32 v81, 31, v80
	v_lshl_add_u64 v[80:81], v[80:81], 2, s[6:7]
	global_load_dwordx2 v[80:81], v[80:81], off
	s_waitcnt vmcnt(0)
	v_cvt_pk_bf16_f32 v76, v80, s0
	v_cvt_pk_bf16_f32 v79, v81, s0
.LBB132_15:                             ;   in Loop: Header=BB132_6 Depth=1
	v_readlane_b32 vcc_lo, v102, 17
	v_readlane_b32 vcc_hi, v102, 18
	v_mov_b32_e32 v80, 0
	s_andn2_b64 vcc, exec, vcc
	v_mov_b32_e32 v82, 0
	v_mov_b32_e32 v81, 0
	s_cbranch_vccnz .LBB132_18
; %bb.16:                               ;   in Loop: Header=BB132_6 Depth=1
	s_load_dword s47, s[36:37], 0xc
	v_mov_b32_e32 v81, 0
	v_mov_b32_e32 v82, 0
	s_waitcnt lgkmcnt(0)
	s_mul_hi_u32 vcc_lo, s47, s16
	s_add_i32 vcc_lo, s47, vcc_lo
	s_lshr_b32 vcc_lo, vcc_lo, s17
	s_cmp_ge_i32 vcc_lo, s13
	s_cbranch_scc1 .LBB132_18
; %bb.17:                               ;   in Loop: Header=BB132_6 Depth=1
	s_mul_i32 vcc_hi, vcc_lo, s18
	s_sub_i32 s47, s47, vcc_hi
	s_mul_i32 vcc_lo, vcc_lo, s20
	s_mul_i32 s47, s47, s9
	v_add_u32_e32 v81, vcc_lo, v72
	v_lshl_add_u32 v82, v81, 1, s47
	v_ashrrev_i32_e32 v83, 31, v82
	v_lshl_add_u64 v[82:83], v[82:83], 2, s[6:7]
	global_load_dwordx2 v[82:83], v[82:83], off
	s_waitcnt vmcnt(0)
	v_cvt_pk_bf16_f32 v82, v82, s0
	v_cvt_pk_bf16_f32 v81, v83, s0
.LBB132_18:                             ;   in Loop: Header=BB132_6 Depth=1
	v_readlane_b32 vcc_lo, v102, 19
	v_readlane_b32 vcc_hi, v102, 20
	s_andn2_b64 vcc, exec, vcc
	v_mov_b32_e32 v83, 0
	s_cbranch_vccnz .LBB132_21
; %bb.19:                               ;   in Loop: Header=BB132_6 Depth=1
	s_load_dword s47, s[36:37], 0x10
	v_mov_b32_e32 v83, 0
	v_mov_b32_e32 v80, 0
	s_waitcnt lgkmcnt(0)
	s_mul_hi_u32 vcc_lo, s47, s16
	s_add_i32 vcc_lo, s47, vcc_lo
	s_lshr_b32 vcc_lo, vcc_lo, s17
	s_cmp_ge_i32 vcc_lo, s13
	s_cbranch_scc1 .LBB132_21
; %bb.20:                               ;   in Loop: Header=BB132_6 Depth=1
	s_mul_i32 vcc_hi, vcc_lo, s18
	s_sub_i32 s47, s47, vcc_hi
	s_mul_i32 vcc_lo, vcc_lo, s20
	s_mul_i32 s47, s47, s9
	v_add_u32_e32 v80, vcc_lo, v72
	v_lshl_add_u32 v84, v80, 1, s47
	v_ashrrev_i32_e32 v85, 31, v84
	v_lshl_add_u64 v[84:85], v[84:85], 2, s[6:7]
	global_load_dwordx2 v[84:85], v[84:85], off
	s_waitcnt vmcnt(0)
	v_cvt_pk_bf16_f32 v80, v84, s0
	v_cvt_pk_bf16_f32 v83, v85, s0
.LBB132_21:                             ;   in Loop: Header=BB132_6 Depth=1
	v_readlane_b32 vcc_lo, v102, 21
	v_readlane_b32 vcc_hi, v102, 22
	v_mov_b32_e32 v84, 0
	s_andn2_b64 vcc, exec, vcc
	v_mov_b32_e32 v86, 0
	v_mov_b32_e32 v85, 0
	s_cbranch_vccnz .LBB132_24
; %bb.22:                               ;   in Loop: Header=BB132_6 Depth=1
	s_load_dword s47, s[36:37], 0x14
	v_mov_b32_e32 v85, 0
	v_mov_b32_e32 v86, 0
	s_waitcnt lgkmcnt(0)
	s_mul_hi_u32 vcc_lo, s47, s16
	s_add_i32 vcc_lo, s47, vcc_lo
	s_lshr_b32 vcc_lo, vcc_lo, s17
	s_cmp_ge_i32 vcc_lo, s13
	s_cbranch_scc1 .LBB132_24
; %bb.23:                               ;   in Loop: Header=BB132_6 Depth=1
	s_mul_i32 vcc_hi, vcc_lo, s18
	s_sub_i32 s47, s47, vcc_hi
	s_mul_i32 vcc_lo, vcc_lo, s20
	s_mul_i32 s47, s47, s9
	v_add_u32_e32 v85, vcc_lo, v72
	v_lshl_add_u32 v86, v85, 1, s47
	v_ashrrev_i32_e32 v87, 31, v86
	v_lshl_add_u64 v[86:87], v[86:87], 2, s[6:7]
	global_load_dwordx2 v[86:87], v[86:87], off
	s_waitcnt vmcnt(0)
	v_cvt_pk_bf16_f32 v86, v86, s0
	v_cvt_pk_bf16_f32 v85, v87, s0
.LBB132_24:                             ;   in Loop: Header=BB132_6 Depth=1
	s_andn2_b64 vcc, exec, s[48:49]
	v_mov_b32_e32 v87, 0
	s_cbranch_vccnz .LBB132_27
; %bb.25:                               ;   in Loop: Header=BB132_6 Depth=1
	s_load_dword s47, s[36:37], 0x18
	v_mov_b32_e32 v87, 0
	v_mov_b32_e32 v84, 0
	s_waitcnt lgkmcnt(0)
	s_mul_hi_u32 vcc_lo, s47, s16
	s_add_i32 vcc_lo, s47, vcc_lo
	s_lshr_b32 vcc_lo, vcc_lo, s17
	s_cmp_ge_i32 vcc_lo, s13
	s_cbranch_scc1 .LBB132_27
; %bb.26:                               ;   in Loop: Header=BB132_6 Depth=1
	s_mul_i32 vcc_hi, vcc_lo, s18
	s_sub_i32 s47, s47, vcc_hi
	s_mul_i32 vcc_lo, vcc_lo, s20
	s_mul_i32 s47, s47, s9
	v_add_u32_e32 v84, vcc_lo, v72
	v_lshl_add_u32 v88, v84, 1, s47
	v_ashrrev_i32_e32 v89, 31, v88
	v_lshl_add_u64 v[88:89], v[88:89], 2, s[6:7]
	global_load_dwordx2 v[88:89], v[88:89], off
	s_waitcnt vmcnt(0)
	v_cvt_pk_bf16_f32 v84, v88, s0
	v_cvt_pk_bf16_f32 v87, v89, s0
.LBB132_27:                             ;   in Loop: Header=BB132_6 Depth=1
	v_mov_b32_e32 v88, 0
	s_andn2_b64 vcc, exec, s[50:51]
	v_mov_b32_e32 v90, 0
	v_mov_b32_e32 v89, 0
	s_cbranch_vccnz .LBB132_30
; %bb.28:                               ;   in Loop: Header=BB132_6 Depth=1
	s_load_dword s47, s[36:37], 0x1c
	v_mov_b32_e32 v89, 0
	v_mov_b32_e32 v90, 0
	s_waitcnt lgkmcnt(0)
	s_mul_hi_u32 vcc_lo, s47, s16
	s_add_i32 vcc_lo, s47, vcc_lo
	s_lshr_b32 vcc_lo, vcc_lo, s17
	s_cmp_ge_i32 vcc_lo, s13
	s_cbranch_scc1 .LBB132_30
; %bb.29:                               ;   in Loop: Header=BB132_6 Depth=1
	s_mul_i32 vcc_hi, vcc_lo, s18
	s_sub_i32 s47, s47, vcc_hi
	s_mul_i32 vcc_lo, vcc_lo, s20
	s_mul_i32 s47, s47, s9
	v_add_u32_e32 v89, vcc_lo, v72
	v_lshl_add_u32 v90, v89, 1, s47
	v_ashrrev_i32_e32 v91, 31, v90
	v_lshl_add_u64 v[90:91], v[90:91], 2, s[6:7]
	global_load_dwordx2 v[90:91], v[90:91], off
	s_waitcnt vmcnt(0)
	v_cvt_pk_bf16_f32 v90, v90, s0
	v_cvt_pk_bf16_f32 v89, v91, s0
.LBB132_30:                             ;   in Loop: Header=BB132_6 Depth=1
	s_andn2_b64 vcc, exec, s[52:53]
	v_mov_b32_e32 v91, 0
	s_cbranch_vccnz .LBB132_33
; %bb.31:                               ;   in Loop: Header=BB132_6 Depth=1
	s_load_dword s47, s[36:37], 0x20
	v_mov_b32_e32 v91, 0
	v_mov_b32_e32 v88, 0
	s_waitcnt lgkmcnt(0)
	s_mul_hi_u32 vcc_lo, s47, s16
	s_add_i32 vcc_lo, s47, vcc_lo
	s_lshr_b32 vcc_lo, vcc_lo, s17
	s_cmp_ge_i32 vcc_lo, s13
	s_cbranch_scc1 .LBB132_33
; %bb.32:                               ;   in Loop: Header=BB132_6 Depth=1
	s_mul_i32 vcc_hi, vcc_lo, s18
	s_sub_i32 s47, s47, vcc_hi
	s_mul_i32 vcc_lo, vcc_lo, s20
	s_mul_i32 s47, s47, s9
	v_add_u32_e32 v88, vcc_lo, v72
	v_lshl_add_u32 v92, v88, 1, s47
	v_ashrrev_i32_e32 v93, 31, v92
	v_lshl_add_u64 v[92:93], v[92:93], 2, s[6:7]
	global_load_dwordx2 v[92:93], v[92:93], off
	s_waitcnt vmcnt(0)
	v_cvt_pk_bf16_f32 v88, v92, s0
	v_cvt_pk_bf16_f32 v91, v93, s0
.LBB132_33:                             ;   in Loop: Header=BB132_6 Depth=1
	v_mov_b32_e32 v92, 0
	s_andn2_b64 vcc, exec, s[54:55]
	;; [unrolled: 56-line block ×3, first 2 shown]
	v_mov_b32_e32 v98, 0
	v_mov_b32_e32 v97, 0
	s_cbranch_vccnz .LBB132_42
; %bb.40:                               ;   in Loop: Header=BB132_6 Depth=1
	s_load_dword s47, s[36:37], 0x2c
	v_mov_b32_e32 v97, 0
	v_mov_b32_e32 v98, 0
	s_waitcnt lgkmcnt(0)
	s_mul_hi_u32 vcc_lo, s47, s16
	s_add_i32 vcc_lo, s47, vcc_lo
	s_lshr_b32 vcc_lo, vcc_lo, s17
	s_cmp_ge_i32 vcc_lo, s13
	s_cbranch_scc1 .LBB132_42
; %bb.41:                               ;   in Loop: Header=BB132_6 Depth=1
	s_mul_i32 vcc_hi, vcc_lo, s18
	s_sub_i32 s47, s47, vcc_hi
	s_mul_i32 vcc_lo, vcc_lo, s20
	s_mul_i32 s47, s47, s9
	v_add_u32_e32 v97, vcc_lo, v72
	v_lshl_add_u32 v98, v97, 1, s47
	v_ashrrev_i32_e32 v99, 31, v98
	v_lshl_add_u64 v[98:99], v[98:99], 2, s[6:7]
	global_load_dwordx2 v[98:99], v[98:99], off
	s_waitcnt vmcnt(0)
	v_cvt_pk_bf16_f32 v98, v98, s0
	v_cvt_pk_bf16_f32 v97, v99, s0
.LBB132_42:                             ;   in Loop: Header=BB132_6 Depth=1
	s_andn2_b64 vcc, exec, s[60:61]
	v_mov_b32_e32 v99, 0
	s_cbranch_vccnz .LBB132_5
; %bb.43:                               ;   in Loop: Header=BB132_6 Depth=1
	s_load_dword s47, s[36:37], 0x30
	v_mov_b32_e32 v99, 0
	v_mov_b32_e32 v96, 0
	s_waitcnt lgkmcnt(0)
	s_mul_hi_u32 vcc_lo, s47, s16
	s_add_i32 vcc_lo, s47, vcc_lo
	s_lshr_b32 vcc_lo, vcc_lo, s17
	s_cmp_ge_i32 vcc_lo, s13
	s_cbranch_scc1 .LBB132_5
; %bb.44:                               ;   in Loop: Header=BB132_6 Depth=1
	s_mul_i32 vcc_hi, vcc_lo, s18
	s_sub_i32 s47, s47, vcc_hi
	s_mul_i32 vcc_lo, vcc_lo, s20
	s_mul_i32 s47, s47, s9
	v_add_u32_e32 v96, vcc_lo, v72
	v_lshl_add_u32 v100, v96, 1, s47
	v_ashrrev_i32_e32 v101, 31, v100
	v_lshl_add_u64 v[100:101], v[100:101], 2, s[6:7]
	global_load_dwordx2 v[100:101], v[100:101], off
	s_waitcnt vmcnt(0)
	v_cvt_pk_bf16_f32 v96, v100, s0
	v_cvt_pk_bf16_f32 v99, v101, s0
	s_branch .LBB132_5
.LBB132_45:
	s_or_b64 exec, exec, s[4:5]
	v_readlane_b32 s24, v102, 6
	v_readlane_b32 s30, v102, 9
	;; [unrolled: 1-line block ×12, first 2 shown]
.LBB132_46:
	s_or_b64 exec, exec, s[36:37]
	v_lshl_add_u32 v0, v70, 2, 0
	v_mul_u32_u24_e32 v1, 0x408, v71
	v_and_b32_e32 v4, 0x3f0, v3
	v_add3_u32 v0, v0, v1, v4
	v_accvgpr_read_b32 v1, a5
	v_accvgpr_read_b32 v4, a4
	s_barrier
	ds_write2_b32 v0, v4, v1 offset1:1
	v_accvgpr_read_b32 v1, a7
	v_accvgpr_read_b32 v4, a6
	ds_write2_b32 v0, v4, v1 offset0:2 offset1:3
	v_accvgpr_read_b32 v1, a1
	v_accvgpr_read_b32 v4, a0
	ds_write2_b32 v0, v4, v1 offset0:16 offset1:17
	;; [unrolled: 3-line block ×3, first 2 shown]
	v_accvgpr_read_b32 v1, a9
	v_accvgpr_read_b32 v4, a8
	s_lshl_b64 s[0:1], s[30:31], 2
	ds_write2_b32 v0, v4, v1 offset0:32 offset1:33
	v_accvgpr_read_b32 v1, a11
	v_accvgpr_read_b32 v4, a10
	s_add_u32 s4, s22, s0
	ds_write2_b32 v0, v4, v1 offset0:34 offset1:35
	v_accvgpr_read_b32 v1, a13
	v_accvgpr_read_b32 v4, a12
	s_addc_u32 s5, s23, s1
	ds_write2_b32 v0, v4, v1 offset0:48 offset1:49
	v_accvgpr_read_b32 v1, a15
	v_accvgpr_read_b32 v4, a14
	ds_write2_b32 v0, v4, v1 offset0:50 offset1:51
	s_cmp_gt_i32 s14, 0
	v_add_u32_e32 v0, s28, v2
	s_cselect_b64 s[6:7], -1, 0
	v_cmp_gt_i32_e64 s[0:1], s26, v0
	v_cmp_gt_u32_e32 vcc, 13, v2
	s_and_b64 s[0:1], s[6:7], s[0:1]
	v_lshl_add_u32 v5, v3, 2, 0
	v_add_u32_e32 v4, s11, v3
	v_mul_u32_u24_e32 v6, 0x408, v2
	s_and_b64 s[2:3], vcc, s[0:1]
	s_waitcnt lgkmcnt(0)
	s_barrier
	s_and_saveexec_b64 s[0:1], s[2:3]
	s_cbranch_execz .LBB132_49
; %bb.47:
	v_ashrrev_i32_e32 v1, 31, v0
	v_lshl_add_u64 v[8:9], v[0:1], 2, s[4:5]
	global_load_dword v3, v[8:9], off
	s_waitcnt vmcnt(0)
	v_mul_hi_u32 v1, v3, s19
	v_add_u32_e32 v1, v3, v1
	v_lshrrev_b32_e32 v1, s24, v1
	v_cmp_gt_i32_e32 vcc, s13, v1
	s_and_b64 exec, exec, vcc
	s_cbranch_execz .LBB132_49
; %bb.48:
	v_add_u32_e32 v7, v5, v6
	ds_read2st64_b32 v[8:9], v7 offset1:1
	ds_read2st64_b32 v[10:11], v7 offset0:2 offset1:3
	v_mul_lo_u32 v12, v1, s25
	v_sub_u32_e32 v3, v3, v12
	v_mul_lo_u32 v3, v3, s10
	s_waitcnt lgkmcnt(1)
	v_add_f32_e32 v7, 0, v8
	v_add_f32_e32 v7, v7, v9
	v_mul_lo_u32 v1, v1, s21
	v_readlane_b32 s2, v102, 0
	s_waitcnt lgkmcnt(0)
	v_add_f32_e32 v7, v7, v10
	v_add3_u32 v8, v4, v1, v3
	v_mov_b32_e32 v9, 0
	v_readlane_b32 s3, v102, 1
	v_add_f32_e32 v7, v7, v11
	s_nop 0
	v_lshl_add_u64 v[8:9], v[8:9], 2, s[2:3]
	global_store_dword v[8:9], v7, off
.LBB132_49:
	s_or_b64 exec, exec, s[0:1]
	v_add_u32_e32 v1, 4, v0
	v_cmp_gt_i32_e64 s[0:1], s26, v1
	v_cmp_gt_u32_e32 vcc, 9, v2
	s_and_b64 s[0:1], s[6:7], s[0:1]
	s_and_b64 s[2:3], vcc, s[0:1]
	s_and_saveexec_b64 s[0:1], s[2:3]
	s_cbranch_execz .LBB132_52
; %bb.50:
	s_ashr_i32 s29, s28, 31
	v_mov_b32_e32 v3, 0
	v_lshl_add_u64 v[8:9], v[2:3], 0, s[28:29]
	v_lshl_add_u64 v[8:9], v[8:9], 2, s[4:5]
	global_load_dword v7, v[8:9], off offset:16
	s_waitcnt vmcnt(0)
	v_mul_hi_u32 v1, v7, s19
	v_add_u32_e32 v1, v7, v1
	v_lshrrev_b32_e32 v1, s24, v1
	v_cmp_gt_i32_e32 vcc, s13, v1
	s_and_b64 exec, exec, vcc
	s_cbranch_execz .LBB132_52
; %bb.51:
	v_add_u32_e32 v8, v6, v5
	v_add_u32_e32 v10, 32, v8
	ds_read2st64_b32 v[8:9], v10 offset0:16 offset1:17
	ds_read2st64_b32 v[10:11], v10 offset0:18 offset1:19
	v_mul_lo_u32 v12, v1, s25
	v_sub_u32_e32 v7, v7, v12
	v_mul_lo_u32 v7, v7, s10
	s_waitcnt lgkmcnt(1)
	v_add_f32_e32 v8, 0, v8
	v_add_f32_e32 v8, v8, v9
	s_waitcnt lgkmcnt(0)
	v_add_f32_e32 v8, v8, v10
	v_mul_lo_u32 v1, v1, s21
	v_readlane_b32 s2, v102, 0
	v_add_f32_e32 v10, v8, v11
	v_add3_u32 v8, v4, v1, v7
	v_mov_b32_e32 v9, v3
	v_readlane_b32 s3, v102, 1
	s_nop 1
	v_lshl_add_u64 v[8:9], v[8:9], 2, s[2:3]
	global_store_dword v[8:9], v10, off
.LBB132_52:
	s_or_b64 exec, exec, s[0:1]
	v_add_u32_e32 v0, 8, v0
	v_cmp_gt_i32_e64 s[0:1], s26, v0
	v_cmp_gt_u32_e32 vcc, 5, v2
	s_and_b64 s[0:1], s[6:7], s[0:1]
	s_and_b64 s[2:3], vcc, s[0:1]
	s_and_saveexec_b64 s[0:1], s[2:3]
	s_cbranch_execz .LBB132_55
; %bb.53:
	s_ashr_i32 s29, s28, 31
	v_mov_b32_e32 v3, 0
	v_lshl_add_u64 v[0:1], v[2:3], 0, s[28:29]
	v_lshl_add_u64 v[0:1], v[0:1], 2, s[4:5]
	global_load_dword v1, v[0:1], off offset:32
	s_waitcnt vmcnt(0)
	v_mul_hi_u32 v0, v1, s19
	v_add_u32_e32 v0, v1, v0
	v_lshrrev_b32_e32 v0, s24, v0
	v_cmp_gt_i32_e32 vcc, s13, v0
	s_and_b64 exec, exec, vcc
	s_cbranch_execz .LBB132_55
; %bb.54:
	v_add_u32_e32 v6, v5, v6
	v_add_u32_e32 v8, 64, v6
	ds_read2st64_b32 v[6:7], v8 offset0:32 offset1:33
	ds_read2st64_b32 v[8:9], v8 offset0:34 offset1:35
	v_mul_lo_u32 v10, v0, s25
	v_sub_u32_e32 v1, v1, v10
	v_mul_lo_u32 v1, v1, s10
	s_waitcnt lgkmcnt(1)
	v_add_f32_e32 v6, 0, v6
	v_add_f32_e32 v6, v6, v7
	v_mul_lo_u32 v0, v0, s21
	v_readlane_b32 s2, v102, 0
	s_waitcnt lgkmcnt(0)
	v_add_f32_e32 v6, v6, v8
	v_add3_u32 v0, v4, v0, v1
	v_mov_b32_e32 v1, v3
	v_readlane_b32 s3, v102, 1
	v_add_f32_e32 v6, v6, v9
	s_nop 0
	v_lshl_add_u64 v[0:1], v[0:1], 2, s[2:3]
	global_store_dword v[0:1], v6, off
.LBB132_55:
	s_or_b64 exec, exec, s[0:1]
	v_cmp_eq_u32_e32 vcc, 0, v2
	s_and_saveexec_b64 s[0:1], vcc
	s_cbranch_execz .LBB132_59
; %bb.56:
	s_add_i32 s0, s28, 12
	s_cmp_ge_i32 s0, s26
	s_cselect_b64 s[0:1], -1, 0
	s_xor_b64 s[2:3], s[6:7], -1
	s_or_b64 s[0:1], s[2:3], s[0:1]
	s_and_b64 vcc, exec, s[0:1]
	s_cbranch_vccnz .LBB132_59
; %bb.57:
	s_ashr_i32 s29, s28, 31
	s_lshl_b64 s[0:1], s[28:29], 2
	s_add_u32 s0, s4, s0
	s_addc_u32 s1, s5, s1
	s_load_dword s1, s[0:1], 0x30
	s_waitcnt lgkmcnt(0)
	s_mul_hi_u32 s0, s1, s19
	s_add_i32 s0, s1, s0
	s_lshr_b32 s0, s0, s24
	s_cmp_ge_i32 s0, s13
	s_cbranch_scc1 .LBB132_59
; %bb.58:
	v_add_u32_e32 v2, 0x60, v5
	ds_read2st64_b32 v[0:1], v2 offset0:48 offset1:49
	ds_read2st64_b32 v[2:3], v2 offset0:50 offset1:51
	s_mul_i32 s2, s0, s25
	s_sub_i32 s1, s1, s2
	s_mul_i32 s1, s1, s10
	s_waitcnt lgkmcnt(1)
	v_add_f32_e32 v0, 0, v0
	v_add_f32_e32 v0, v0, v1
	s_mul_i32 s0, s0, s21
	s_waitcnt lgkmcnt(0)
	v_add_f32_e32 v0, v0, v2
	s_add_i32 s1, s1, s0
	v_add_f32_e32 v2, v0, v3
	v_add_u32_e32 v0, s1, v4
	v_readlane_b32 s0, v102, 0
	v_mov_b32_e32 v1, 0
	v_readlane_b32 s1, v102, 1
	s_nop 1
	v_lshl_add_u64 v[0:1], v[0:1], 2, s[0:1]
	global_store_dword v[0:1], v2, off
.LBB132_59:
	s_endpgm
	.section	.rodata,"a",@progbits
	.p2align	6, 0x0
	.amdhsa_kernel _ZL13mul_mat_f_idsI15__hip_bfloat162Li64ELi13ELi4EEvPKT_PKfPKiS7_S7_Pfiiiiiiiiiiiiii15HIP_vector_typeIjLj3EESA_
		.amdhsa_group_segment_fixed_size 0
		.amdhsa_private_segment_fixed_size 0
		.amdhsa_kernarg_size 128
		.amdhsa_user_sgpr_count 2
		.amdhsa_user_sgpr_dispatch_ptr 0
		.amdhsa_user_sgpr_queue_ptr 0
		.amdhsa_user_sgpr_kernarg_segment_ptr 1
		.amdhsa_user_sgpr_dispatch_id 0
		.amdhsa_user_sgpr_kernarg_preload_length 0
		.amdhsa_user_sgpr_kernarg_preload_offset 0
		.amdhsa_user_sgpr_private_segment_size 0
		.amdhsa_uses_dynamic_stack 0
		.amdhsa_enable_private_segment 0
		.amdhsa_system_sgpr_workgroup_id_x 1
		.amdhsa_system_sgpr_workgroup_id_y 1
		.amdhsa_system_sgpr_workgroup_id_z 1
		.amdhsa_system_sgpr_workgroup_info 0
		.amdhsa_system_vgpr_workitem_id 1
		.amdhsa_next_free_vgpr 120
		.amdhsa_next_free_sgpr 100
		.amdhsa_accum_offset 104
		.amdhsa_reserve_vcc 1
		.amdhsa_float_round_mode_32 0
		.amdhsa_float_round_mode_16_64 0
		.amdhsa_float_denorm_mode_32 3
		.amdhsa_float_denorm_mode_16_64 3
		.amdhsa_dx10_clamp 1
		.amdhsa_ieee_mode 1
		.amdhsa_fp16_overflow 0
		.amdhsa_tg_split 0
		.amdhsa_exception_fp_ieee_invalid_op 0
		.amdhsa_exception_fp_denorm_src 0
		.amdhsa_exception_fp_ieee_div_zero 0
		.amdhsa_exception_fp_ieee_overflow 0
		.amdhsa_exception_fp_ieee_underflow 0
		.amdhsa_exception_fp_ieee_inexact 0
		.amdhsa_exception_int_div_zero 0
	.end_amdhsa_kernel
	.section	.text._ZL13mul_mat_f_idsI15__hip_bfloat162Li64ELi13ELi4EEvPKT_PKfPKiS7_S7_Pfiiiiiiiiiiiiii15HIP_vector_typeIjLj3EESA_,"axG",@progbits,_ZL13mul_mat_f_idsI15__hip_bfloat162Li64ELi13ELi4EEvPKT_PKfPKiS7_S7_Pfiiiiiiiiiiiiii15HIP_vector_typeIjLj3EESA_,comdat
.Lfunc_end132:
	.size	_ZL13mul_mat_f_idsI15__hip_bfloat162Li64ELi13ELi4EEvPKT_PKfPKiS7_S7_Pfiiiiiiiiiiiiii15HIP_vector_typeIjLj3EESA_, .Lfunc_end132-_ZL13mul_mat_f_idsI15__hip_bfloat162Li64ELi13ELi4EEvPKT_PKfPKiS7_S7_Pfiiiiiiiiiiiiii15HIP_vector_typeIjLj3EESA_
                                        ; -- End function
	.set _ZL13mul_mat_f_idsI15__hip_bfloat162Li64ELi13ELi4EEvPKT_PKfPKiS7_S7_Pfiiiiiiiiiiiiii15HIP_vector_typeIjLj3EESA_.num_vgpr, 103
	.set _ZL13mul_mat_f_idsI15__hip_bfloat162Li64ELi13ELi4EEvPKT_PKfPKiS7_S7_Pfiiiiiiiiiiiiii15HIP_vector_typeIjLj3EESA_.num_agpr, 16
	.set _ZL13mul_mat_f_idsI15__hip_bfloat162Li64ELi13ELi4EEvPKT_PKfPKiS7_S7_Pfiiiiiiiiiiiiii15HIP_vector_typeIjLj3EESA_.numbered_sgpr, 100
	.set _ZL13mul_mat_f_idsI15__hip_bfloat162Li64ELi13ELi4EEvPKT_PKfPKiS7_S7_Pfiiiiiiiiiiiiii15HIP_vector_typeIjLj3EESA_.num_named_barrier, 0
	.set _ZL13mul_mat_f_idsI15__hip_bfloat162Li64ELi13ELi4EEvPKT_PKfPKiS7_S7_Pfiiiiiiiiiiiiii15HIP_vector_typeIjLj3EESA_.private_seg_size, 0
	.set _ZL13mul_mat_f_idsI15__hip_bfloat162Li64ELi13ELi4EEvPKT_PKfPKiS7_S7_Pfiiiiiiiiiiiiii15HIP_vector_typeIjLj3EESA_.uses_vcc, 1
	.set _ZL13mul_mat_f_idsI15__hip_bfloat162Li64ELi13ELi4EEvPKT_PKfPKiS7_S7_Pfiiiiiiiiiiiiii15HIP_vector_typeIjLj3EESA_.uses_flat_scratch, 0
	.set _ZL13mul_mat_f_idsI15__hip_bfloat162Li64ELi13ELi4EEvPKT_PKfPKiS7_S7_Pfiiiiiiiiiiiiii15HIP_vector_typeIjLj3EESA_.has_dyn_sized_stack, 0
	.set _ZL13mul_mat_f_idsI15__hip_bfloat162Li64ELi13ELi4EEvPKT_PKfPKiS7_S7_Pfiiiiiiiiiiiiii15HIP_vector_typeIjLj3EESA_.has_recursion, 0
	.set _ZL13mul_mat_f_idsI15__hip_bfloat162Li64ELi13ELi4EEvPKT_PKfPKiS7_S7_Pfiiiiiiiiiiiiii15HIP_vector_typeIjLj3EESA_.has_indirect_call, 0
	.section	.AMDGPU.csdata,"",@progbits
; Kernel info:
; codeLenInByte = 7332
; TotalNumSgprs: 106
; NumVgprs: 103
; NumAgprs: 16
; TotalNumVgprs: 120
; ScratchSize: 0
; MemoryBound: 0
; FloatMode: 240
; IeeeMode: 1
; LDSByteSize: 0 bytes/workgroup (compile time only)
; SGPRBlocks: 13
; VGPRBlocks: 14
; NumSGPRsForWavesPerEU: 106
; NumVGPRsForWavesPerEU: 120
; AccumOffset: 104
; Occupancy: 4
; WaveLimiterHint : 1
; COMPUTE_PGM_RSRC2:SCRATCH_EN: 0
; COMPUTE_PGM_RSRC2:USER_SGPR: 2
; COMPUTE_PGM_RSRC2:TRAP_HANDLER: 0
; COMPUTE_PGM_RSRC2:TGID_X_EN: 1
; COMPUTE_PGM_RSRC2:TGID_Y_EN: 1
; COMPUTE_PGM_RSRC2:TGID_Z_EN: 1
; COMPUTE_PGM_RSRC2:TIDIG_COMP_CNT: 1
; COMPUTE_PGM_RSRC3_GFX90A:ACCUM_OFFSET: 25
; COMPUTE_PGM_RSRC3_GFX90A:TG_SPLIT: 0
	.section	.text._ZL9mul_mat_fI15__hip_bfloat162Li64ELi13ELi4ELb1EEvPKT_PKfPKiPfiiiiiiiiiiiiiiii,"axG",@progbits,_ZL9mul_mat_fI15__hip_bfloat162Li64ELi13ELi4ELb1EEvPKT_PKfPKiPfiiiiiiiiiiiiiiii,comdat
	.globl	_ZL9mul_mat_fI15__hip_bfloat162Li64ELi13ELi4ELb1EEvPKT_PKfPKiPfiiiiiiiiiiiiiiii ; -- Begin function _ZL9mul_mat_fI15__hip_bfloat162Li64ELi13ELi4ELb1EEvPKT_PKfPKiPfiiiiiiiiiiiiiiii
	.p2align	8
	.type	_ZL9mul_mat_fI15__hip_bfloat162Li64ELi13ELi4ELb1EEvPKT_PKfPKiPfiiiiiiiiiiiiiiii,@function
_ZL9mul_mat_fI15__hip_bfloat162Li64ELi13ELi4ELb1EEvPKT_PKfPKiPfiiiiiiiiiiiiiiii: ; @_ZL9mul_mat_fI15__hip_bfloat162Li64ELi13ELi4ELb1EEvPKT_PKfPKiPfiiiiiiiiiiiiiiii
; %bb.0:
	s_load_dwordx8 s[44:51], s[0:1], 0x20
	s_mov_b32 s22, s4
	v_bfe_u32 v80, v0, 10, 10
	s_waitcnt lgkmcnt(0)
	s_add_i32 s4, s45, 12
	s_mul_hi_i32 s4, s4, 0x4ec4ec4f
	s_lshr_b32 s5, s4, 31
	s_ashr_i32 s4, s4, 2
	s_add_i32 s4, s4, s5
	v_cvt_f32_u32_e32 v1, s4
	s_load_dword s5, s[0:1], 0x64
	s_add_u32 s12, s0, 0x60
	s_addc_u32 s13, s1, 0
	v_rcp_iflag_f32_e32 v1, v1
	s_sub_i32 s6, 0, s4
	s_load_dwordx4 s[52:55], s[0:1], 0x44
	s_load_dwordx2 s[8:9], s[0:1], 0x10
	v_mul_f32_e32 v1, 0x4f7ffffe, v1
	v_cvt_u32_f32_e32 v1, v1
	v_mul_lo_u32 v2, s6, v1
	v_mul_hi_u32 v2, v1, v2
	v_add_u32_e32 v1, v1, v2
	s_waitcnt lgkmcnt(0)
	v_mul_hi_u32 v1, s5, v1
	v_mul_lo_u32 v2, v1, s4
	v_sub_u32_e32 v2, s5, v2
	v_add_u32_e32 v3, 1, v1
	v_subrev_u32_e32 v4, s4, v2
	v_cmp_le_u32_e32 vcc, s4, v2
	s_nop 1
	v_cndmask_b32_e32 v1, v1, v3, vcc
	v_cndmask_b32_e32 v2, v2, v4, vcc
	v_add_u32_e32 v3, 1, v1
	v_cmp_le_u32_e32 vcc, s4, v2
	s_abs_i32 s4, s55
	s_nop 0
	v_cndmask_b32_e32 v1, v1, v3, vcc
	v_cvt_f32_u32_e32 v2, v1
	v_sub_u32_e32 v4, 0, v1
	v_rcp_iflag_f32_e32 v2, v2
	s_nop 0
	v_mul_f32_e32 v2, 0x4f7ffffe, v2
	v_cvt_u32_f32_e32 v3, v2
	v_and_b32_e32 v2, 0x3ff, v0
	v_cmp_eq_u32_e32 vcc, 0, v2
	v_mul_lo_u32 v4, v4, v3
	v_mul_hi_u32 v4, v3, v4
	v_add_u32_e32 v3, v3, v4
	v_mul_hi_u32 v3, s3, v3
	s_and_saveexec_b64 s[6:7], vcc
; %bb.1:
	v_mov_b32_e32 v4, 0x100
	v_lshl_add_u32 v4, v80, 2, v4
	v_mov_b32_e32 v5, -1
	ds_write_b32 v4, v5
; %bb.2:
	s_or_b64 exec, exec, s[6:7]
	v_mul_lo_u32 v4, v3, v1
	v_sub_u32_e32 v4, s3, v4
	v_add_u32_e32 v5, 1, v3
	v_sub_u32_e32 v6, v4, v1
	v_cmp_ge_u32_e64 s[6:7], v4, v1
	v_cvt_f32_u32_e32 v11, s4
	s_nop 0
	v_cndmask_b32_e64 v3, v3, v5, s[6:7]
	v_cndmask_b32_e64 v4, v4, v6, s[6:7]
	v_add_u32_e32 v5, 1, v3
	v_cmp_ge_u32_e64 s[6:7], v4, v1
	s_nop 1
	v_cndmask_b32_e64 v3, v3, v5, s[6:7]
	v_mul_lo_u32 v1, v3, v1
	v_mul_lo_u32 v3, v3, 13
	v_mul_hi_i32 v5, v3, s51
	v_mul_lo_u32 v4, v3, s51
	v_sub_u32_e32 v10, s3, v1
	v_lshlrev_b64 v[4:5], 2, v[4:5]
	v_add_u32_e32 v1, v80, v3
	v_lshl_add_u64 v[4:5], s[8:9], 0, v[4:5]
	v_cmp_gt_i32_e64 s[8:9], s46, v2
	v_cmp_gt_i32_e64 s[24:25], s45, v1
	v_mov_b32_e32 v1, 0
	s_and_saveexec_b64 s[14:15], s[24:25]
	s_cbranch_execz .LBB133_10
; %bb.3:
	v_mov_b32_e32 v1, 0
	s_and_saveexec_b64 s[16:17], s[8:9]
	s_cbranch_execz .LBB133_9
; %bb.4:
	v_mul_lo_u32 v6, v80, s51
	v_ashrrev_i32_e32 v7, 31, v6
	v_mov_b32_e32 v1, 0x100
	v_lshl_add_u64 v[6:7], v[6:7], 2, v[4:5]
	v_lshl_add_u32 v12, v80, 2, v1
	v_mul_lo_u32 v8, v2, s50
	s_lshl_b32 s3, s50, 6
	v_mov_b32_e32 v1, 0
	s_mov_b64 s[18:19], 0
	v_mov_b32_e32 v13, v2
	s_branch .LBB133_6
.LBB133_5:                              ;   in Loop: Header=BB133_6 Depth=1
	s_or_b64 exec, exec, s[20:21]
	v_add_u32_e32 v13, 64, v13
	v_cmp_le_i32_e64 s[10:11], s46, v13
	s_xor_b64 s[6:7], s[6:7], -1
	s_or_b64 s[6:7], s[6:7], s[10:11]
	s_and_b64 s[6:7], exec, s[6:7]
	s_or_b64 s[18:19], s[6:7], s[18:19]
	v_add_u32_e32 v8, s3, v8
	s_andn2_b64 exec, exec, s[18:19]
	s_cbranch_execz .LBB133_8
.LBB133_6:                              ; =>This Inner Loop Header: Depth=1
	v_ashrrev_i32_e32 v9, 31, v8
	v_lshl_add_u64 v[14:15], v[8:9], 2, v[6:7]
	global_load_dword v9, v[14:15], off
	s_waitcnt vmcnt(0)
	v_cmp_ne_u32_e64 s[6:7], v9, v10
	v_cmp_eq_u32_e64 s[10:11], v9, v10
	s_and_saveexec_b64 s[20:21], s[10:11]
	s_cbranch_execz .LBB133_5
; %bb.7:                                ;   in Loop: Header=BB133_6 Depth=1
	v_mov_b32_e32 v1, 1
	ds_write_b32 v12, v13
	s_branch .LBB133_5
.LBB133_8:
	s_or_b64 exec, exec, s[18:19]
.LBB133_9:
	s_or_b64 exec, exec, s[16:17]
.LBB133_10:
	s_or_b64 exec, exec, s[14:15]
	v_rcp_iflag_f32_e32 v6, v11
	s_and_saveexec_b64 s[6:7], vcc
; %bb.11:
	v_mov_b32_e32 v7, 0x100
	v_lshl_add_u32 v7, v80, 2, v7
	v_mov_b32_e32 v8, -1
	ds_write_b32 v7, v8 offset:16
; %bb.12:
	s_or_b64 exec, exec, s[6:7]
	v_add_u32_e32 v81, 4, v80
	v_mul_f32_e32 v11, 0x4f7ffffe, v6
	v_add_u32_e32 v6, v81, v3
	v_cmp_gt_i32_e64 s[6:7], s45, v6
	s_mov_b64 s[14:15], exec
                                        ; implicit-def: $vgpr91 : SGPR spill to VGPR lane
	s_nop 0
	v_writelane_b32 v91, s6, 0
	s_nop 1
	v_writelane_b32 v91, s7, 1
	s_and_b64 s[6:7], s[14:15], s[6:7]
	s_mov_b64 exec, s[6:7]
	s_cbranch_execz .LBB133_20
; %bb.13:
	s_and_saveexec_b64 s[16:17], s[8:9]
	s_cbranch_execz .LBB133_19
; %bb.14:
	v_mul_lo_u32 v6, v81, s51
	v_ashrrev_i32_e32 v7, 31, v6
	v_mov_b32_e32 v8, 0x100
	v_lshl_add_u64 v[6:7], v[6:7], 2, v[4:5]
	v_lshl_add_u32 v12, v80, 2, v8
	v_mul_lo_u32 v8, v2, s50
	s_lshl_b32 s3, s50, 6
	s_mov_b64 s[18:19], 0
	v_mov_b32_e32 v13, v2
	s_branch .LBB133_16
.LBB133_15:                             ;   in Loop: Header=BB133_16 Depth=1
	s_or_b64 exec, exec, s[20:21]
	v_add_u32_e32 v13, 64, v13
	v_cmp_le_i32_e64 s[10:11], s46, v13
	s_xor_b64 s[6:7], s[6:7], -1
	s_or_b64 s[6:7], s[6:7], s[10:11]
	s_and_b64 s[6:7], exec, s[6:7]
	s_or_b64 s[18:19], s[6:7], s[18:19]
	v_add_u32_e32 v8, s3, v8
	s_andn2_b64 exec, exec, s[18:19]
	s_cbranch_execz .LBB133_18
.LBB133_16:                             ; =>This Inner Loop Header: Depth=1
	v_ashrrev_i32_e32 v9, 31, v8
	v_lshl_add_u64 v[14:15], v[8:9], 2, v[6:7]
	global_load_dword v9, v[14:15], off
	s_waitcnt vmcnt(0)
	v_cmp_ne_u32_e64 s[6:7], v9, v10
	v_cmp_eq_u32_e64 s[10:11], v9, v10
	s_and_saveexec_b64 s[20:21], s[10:11]
	s_cbranch_execz .LBB133_15
; %bb.17:                               ;   in Loop: Header=BB133_16 Depth=1
	v_mov_b32_e32 v1, 1
	ds_write_b32 v12, v13 offset:16
	s_branch .LBB133_15
.LBB133_18:
	s_or_b64 exec, exec, s[18:19]
.LBB133_19:
	s_or_b64 exec, exec, s[16:17]
.LBB133_20:
	s_or_b64 exec, exec, s[14:15]
	v_cvt_u32_f32_e32 v11, v11
	s_sub_i32 s3, 0, s4
	s_and_saveexec_b64 s[6:7], vcc
; %bb.21:
	v_mov_b32_e32 v6, 0x100
	v_lshl_add_u32 v6, v80, 2, v6
	v_mov_b32_e32 v7, -1
	ds_write_b32 v6, v7 offset:32
; %bb.22:
	s_or_b64 exec, exec, s[6:7]
	v_add_u32_e32 v82, 8, v80
	v_mul_lo_u32 v12, s3, v11
	v_add_u32_e32 v6, v82, v3
	v_cmp_gt_i32_e64 s[6:7], s45, v6
	s_mov_b64 s[14:15], exec
	s_nop 0
	v_writelane_b32 v91, s6, 2
	s_nop 1
	v_writelane_b32 v91, s7, 3
	s_and_b64 s[6:7], s[14:15], s[6:7]
	s_mov_b64 exec, s[6:7]
	s_cbranch_execz .LBB133_30
; %bb.23:
	s_and_saveexec_b64 s[16:17], s[8:9]
	s_cbranch_execz .LBB133_29
; %bb.24:
	v_mul_lo_u32 v6, v82, s51
	v_ashrrev_i32_e32 v7, 31, v6
	v_mov_b32_e32 v8, 0x100
	v_lshl_add_u64 v[6:7], v[6:7], 2, v[4:5]
	v_lshl_add_u32 v13, v80, 2, v8
	v_mul_lo_u32 v8, v2, s50
	s_lshl_b32 s3, s50, 6
	s_mov_b64 s[18:19], 0
	v_mov_b32_e32 v14, v2
	s_branch .LBB133_26
.LBB133_25:                             ;   in Loop: Header=BB133_26 Depth=1
	s_or_b64 exec, exec, s[20:21]
	v_add_u32_e32 v14, 64, v14
	v_cmp_le_i32_e64 s[10:11], s46, v14
	s_xor_b64 s[6:7], s[6:7], -1
	s_or_b64 s[6:7], s[6:7], s[10:11]
	s_and_b64 s[6:7], exec, s[6:7]
	s_or_b64 s[18:19], s[6:7], s[18:19]
	v_add_u32_e32 v8, s3, v8
	s_andn2_b64 exec, exec, s[18:19]
	s_cbranch_execz .LBB133_28
.LBB133_26:                             ; =>This Inner Loop Header: Depth=1
	v_ashrrev_i32_e32 v9, 31, v8
	v_lshl_add_u64 v[16:17], v[8:9], 2, v[6:7]
	global_load_dword v9, v[16:17], off
	s_waitcnt vmcnt(0)
	v_cmp_ne_u32_e64 s[6:7], v9, v10
	v_cmp_eq_u32_e64 s[10:11], v9, v10
	s_and_saveexec_b64 s[20:21], s[10:11]
	s_cbranch_execz .LBB133_25
; %bb.27:                               ;   in Loop: Header=BB133_26 Depth=1
	v_mov_b32_e32 v1, 1
	ds_write_b32 v13, v14 offset:32
	s_branch .LBB133_25
.LBB133_28:
	s_or_b64 exec, exec, s[18:19]
.LBB133_29:
	s_or_b64 exec, exec, s[16:17]
.LBB133_30:
	s_or_b64 exec, exec, s[14:15]
	v_mul_hi_u32 v6, v11, v12
	s_and_saveexec_b64 s[6:7], vcc
; %bb.31:
	v_mov_b32_e32 v7, 0x100
	v_lshl_add_u32 v7, v80, 2, v7
	v_mov_b32_e32 v8, -1
	ds_write_b32 v7, v8 offset:48
; %bb.32:
	s_or_b64 exec, exec, s[6:7]
	s_load_dwordx4 s[28:31], s[0:1], 0x54
	v_add_u32_e32 v8, v11, v6
	v_add_u32_e32 v6, 12, v80
	s_abs_i32 s3, s22
	v_add_u32_e32 v7, v6, v3
	v_cmp_gt_i32_e64 s[6:7], s45, v7
	s_mov_b64 s[10:11], exec
	s_nop 0
	v_writelane_b32 v91, s6, 4
	s_nop 1
	v_writelane_b32 v91, s7, 5
	s_and_b64 s[6:7], s[10:11], s[6:7]
	s_mov_b64 exec, s[6:7]
	s_cbranch_execz .LBB133_40
; %bb.33:
	s_and_saveexec_b64 s[14:15], s[8:9]
	s_cbranch_execz .LBB133_39
; %bb.34:
	v_mul_lo_u32 v6, v6, s51
	v_ashrrev_i32_e32 v7, 31, v6
	v_lshl_add_u64 v[4:5], v[6:7], 2, v[4:5]
	v_mov_b32_e32 v6, 0x100
	v_lshl_add_u32 v9, v80, 2, v6
	v_mul_lo_u32 v6, v2, s50
	s_lshl_b32 s5, s50, 6
	s_mov_b64 s[16:17], 0
	v_mov_b32_e32 v11, v2
	s_branch .LBB133_36
.LBB133_35:                             ;   in Loop: Header=BB133_36 Depth=1
	s_or_b64 exec, exec, s[18:19]
	v_add_u32_e32 v11, 64, v11
	v_cmp_le_i32_e64 s[8:9], s46, v11
	s_xor_b64 s[6:7], vcc, -1
	s_or_b64 s[6:7], s[6:7], s[8:9]
	s_and_b64 s[6:7], exec, s[6:7]
	s_or_b64 s[16:17], s[6:7], s[16:17]
	v_add_u32_e32 v6, s5, v6
	s_andn2_b64 exec, exec, s[16:17]
	s_cbranch_execz .LBB133_38
.LBB133_36:                             ; =>This Inner Loop Header: Depth=1
	v_ashrrev_i32_e32 v7, 31, v6
	v_lshl_add_u64 v[12:13], v[6:7], 2, v[4:5]
	global_load_dword v7, v[12:13], off
	s_waitcnt vmcnt(0)
	v_cmp_ne_u32_e32 vcc, v7, v10
	v_cmp_eq_u32_e64 s[8:9], v7, v10
	s_and_saveexec_b64 s[18:19], s[8:9]
	s_cbranch_execz .LBB133_35
; %bb.37:                               ;   in Loop: Header=BB133_36 Depth=1
	v_mov_b32_e32 v1, 1
	ds_write_b32 v9, v11 offset:48
	s_branch .LBB133_35
.LBB133_38:
	s_or_b64 exec, exec, s[16:17]
.LBB133_39:
	s_or_b64 exec, exec, s[14:15]
.LBB133_40:
	s_or_b64 exec, exec, s[10:11]
	s_load_dwordx2 s[6:7], s[12:13], 0xc
	s_load_dwordx2 s[10:11], s[0:1], 0x8
	s_load_dwordx2 s[8:9], s[0:1], 0x18
	v_or_b32_dpp v1, v1, v1 row_shl:1 row_mask:0xf bank_mask:0xf bound_ctrl:1
	v_mul_hi_u32 v4, s3, v8
	s_waitcnt lgkmcnt(0)
	s_and_b32 s5, s7, 0xffff
	s_lshr_b32 s7, s6, 16
	v_writelane_b32 v91, s8, 6
	s_and_b32 s6, s6, 0xffff
	v_or_b32_dpp v1, v1, v1 row_shl:2 row_mask:0xf bank_mask:0xf bound_ctrl:1
	v_writelane_b32 v91, s9, 7
	s_mul_i32 s8, s7, s6
	v_or_b32_dpp v1, v1, v1 row_shl:4 row_mask:0xf bank_mask:0xf bound_ctrl:1
	s_bfe_i32 s8, s8, 0x180000
	s_mul_i32 s5, s8, s5
	v_or_b32_dpp v1, v1, v1 row_shl:8 row_mask:0xf bank_mask:0xf bound_ctrl:1
	s_add_i32 s8, s5, 63
	s_bitcmp1_b32 exec_hi, 0
	v_mov_b32_dpp v5, v1 wave_shl:1 row_mask:0xf bank_mask:0xf bound_ctrl:1
                                        ; kill: killed $sgpr12 killed $sgpr13
	s_nop 1
	v_or_b32_dpp v1, v5, v1 row_mirror row_mask:0xf bank_mask:0xf bound_ctrl:1
	s_nop 0
	v_readlane_b32 s5, v1, 32
	s_cselect_b32 s5, s5, 0
	v_readlane_b32 s9, v1, 0
	s_or_b32 s5, s5, s9
	s_andn2_b32 s8, s8, 63
	s_cmp_lg_u32 s8, 64
	v_mov_b32_e32 v1, s5
	s_cbranch_scc0 .LBB133_47
; %bb.41:
	v_bfe_u32 v0, v0, 20, 10
	v_mbcnt_lo_u32_b32 v1, -1, 0
	v_mad_u32_u24 v0, v0, s7, v80
	v_mbcnt_hi_u32_b32 v5, -1, v1
	v_mad_u64_u32 v[0:1], s[6:7], v0, s6, v[2:3]
	v_lshrrev_b32_e32 v1, 6, v0
	v_or_b32_e32 v1, v5, v1
	v_cmp_eq_u32_e32 vcc, 0, v1
	s_and_saveexec_b64 s[8:9], vcc
; %bb.42:
	v_mov_b32_e32 v1, 0
	v_mov_b32_e32 v6, s5
	ds_write_b32 v1, v6
; %bb.43:
	s_or_b64 exec, exec, s[8:9]
	v_cmp_eq_u32_e32 vcc, 0, v5
	v_cmp_lt_u32_e64 s[8:9], 63, v0
	s_and_b64 s[6:7], s[8:9], vcc
	s_waitcnt lgkmcnt(0)
	s_barrier
	s_and_saveexec_b64 s[8:9], s[6:7]
	s_cbranch_execz .LBB133_46
; %bb.44:
	v_mbcnt_lo_u32_b32 v0, exec_lo, 0
	v_mbcnt_hi_u32_b32 v0, exec_hi, v0
	v_cmp_eq_u32_e32 vcc, 0, v0
	s_and_b64 exec, exec, vcc
; %bb.45:
	v_mov_b32_e32 v0, 0
	v_mov_b32_e32 v1, s5
	ds_or_b32 v0, v1
.LBB133_46:
	s_or_b64 exec, exec, s[8:9]
	v_mov_b32_e32 v0, 0
	s_waitcnt lgkmcnt(0)
	s_barrier
	ds_read_b32 v1, v0
	s_waitcnt lgkmcnt(0)
	s_barrier
.LBB133_47:
	s_load_dwordx2 s[8:9], s[0:1], 0x0
	v_cmp_ne_u32_e32 vcc, 0, v1
	s_ashr_i32 s5, s22, 31
	s_ashr_i32 s6, s55, 31
	s_cbranch_vccz .LBB133_121
; %bb.48:
	v_lshlrev_b32_e32 v83, 6, v80
	v_add_u32_e32 v85, v83, v2
	v_cmp_le_i32_e32 vcc, s44, v85
	v_and_b32_e32 v84, 15, v2
	s_and_saveexec_b64 s[0:1], vcc
	s_xor_b64 s[0:1], exec, s[0:1]
; %bb.49:
	v_and_b32_e32 v84, 15, v2
                                        ; implicit-def: $vgpr85
                                        ; implicit-def: $vgpr4
                                        ; implicit-def: $vgpr10
; %bb.50:
	s_or_saveexec_b64 s[0:1], s[0:1]
	s_lshl_b32 s7, s2, 6
	v_mov_b32_e32 v1, 0
	v_accvgpr_write_b32 a0, 0
	v_accvgpr_write_b32 a1, 0
	;; [unrolled: 1-line block ×16, first 2 shown]
	v_writelane_b32 v91, s0, 8
	s_nop 1
	v_writelane_b32 v91, s1, 9
	s_xor_b64 exec, exec, s[0:1]
	s_cbranch_execz .LBB133_106
; %bb.51:
	v_mul_lo_u32 v0, v4, s4
	v_sub_u32_e32 v0, s3, v0
	v_add_u32_e32 v5, 1, v4
	v_subrev_u32_e32 v6, s4, v0
	v_cmp_le_u32_e32 vcc, s4, v0
	s_xor_b32 s0, s5, s6
	v_writelane_b32 v91, s24, 10
	v_cndmask_b32_e32 v4, v4, v5, vcc
	v_cndmask_b32_e32 v0, v0, v6, vcc
	v_add_u32_e32 v5, 1, v4
	v_cmp_le_u32_e32 vcc, s4, v0
	v_writelane_b32 v91, s25, 11
	v_writelane_b32 v91, s7, 12
	v_cndmask_b32_e32 v0, v4, v5, vcc
	v_xor_b32_e32 v0, s0, v0
	v_subrev_u32_e32 v0, s0, v0
	s_mul_i32 s0, s47, s7
	s_ashr_i32 s1, s0, 31
	s_lshl_b64 s[2:3], s[0:1], 2
	s_movk_i32 s0, 0x1080
	v_mov_b32_e32 v86, 0x100
	v_writelane_b32 v91, s22, 13
	v_mul_hi_i32 v5, v0, s28
	v_mul_lo_u32 v4, v0, s28
	v_mul_lo_u32 v6, v10, s52
	v_mad_u32_u24 v0, v80, s0, v86
	s_mul_hi_i32 s1, s29, s22
	v_writelane_b32 v91, s28, 14
	s_mul_i32 s0, s29, s22
	v_ashrrev_i32_e32 v7, 31, v6
	s_lshl_b64 s[0:1], s[0:1], 2
	v_lshlrev_b64 v[10:11], 2, v[6:7]
	v_writelane_b32 v91, s29, 15
	v_mul_hi_i32 v7, s48, v3
	v_mul_lo_u32 v6, s48, v3
	s_add_u32 s0, s10, s0
	v_writelane_b32 v91, s30, 16
	v_lshlrev_b64 v[6:7], 3, v[6:7]
	s_addc_u32 s1, s11, s1
	v_writelane_b32 v91, s31, 17
	v_lshl_add_u64 v[6:7], s[0:1], 0, v[6:7]
	s_lshl_b32 s0, s48, 3
	v_writelane_b32 v91, s0, 18
	s_mul_i32 s0, s48, 6
	v_lshlrev_b64 v[8:9], 2, v[4:5]
	v_writelane_b32 v91, s0, 19
	s_lshl_b32 s0, s48, 4
	s_waitcnt lgkmcnt(0)
	v_lshl_add_u64 v[4:5], s[8:9], 0, v[8:9]
	v_writelane_b32 v91, s0, 20
	s_mul_i32 s0, s48, 10
	v_lshl_add_u64 v[4:5], v[4:5], 0, v[10:11]
	v_writelane_b32 v91, s0, 21
	s_mul_i32 s0, s48, 12
	s_ashr_i32 s11, s47, 31
	s_mov_b32 s10, s47
	v_lshl_add_u64 v[4:5], v[4:5], 0, s[2:3]
	v_lshrrev_b32_e32 v13, 1, v2
	v_writelane_b32 v91, s0, 22
	v_lshl_add_u64 v[8:9], v[8:9], 0, s[2:3]
	s_lshl_b64 s[2:3], s[10:11], 2
	s_mul_i32 s10, s48, 24
	v_mul_u32_u24_e32 v12, 0x108, v84
	v_and_b32_e32 v13, 0x1f8, v13
	v_writelane_b32 v91, s10, 23
	s_mul_i32 s10, s48, 22
	v_lshl_add_u32 v87, v2, 2, v0
	v_add3_u32 v88, v0, v12, v13
	v_lshl_add_u64 v[8:9], v[8:9], 0, v[10:11]
	v_lshlrev_b32_e32 v0, 1, v2
	v_writelane_b32 v91, s10, 24
	s_mul_i32 s10, s48, 20
	v_add_u32_e32 v12, 1, v3
	v_add_u32_e32 v13, 2, v3
	s_lshl_b32 s46, s48, 2
	v_add_u32_e32 v14, 3, v3
	v_add_u32_e32 v15, 4, v3
	;; [unrolled: 1-line block ×10, first 2 shown]
	v_lshl_add_u64 v[8:9], s[8:9], 0, v[8:9]
	v_lshl_add_u32 v89, v80, 7, v0
	v_lshlrev_b32_e32 v0, 2, v85
	v_writelane_b32 v91, s10, 25
	s_mul_i32 s10, s48, 18
	s_add_i32 s57, s47, s47
	s_mul_i32 s59, s47, 3
	s_lshl_b32 s60, s47, 2
	s_mul_i32 s61, s47, 5
	s_mul_i32 s62, s47, 6
	;; [unrolled: 1-line block ×3, first 2 shown]
	s_lshl_b32 s64, s47, 3
	s_mul_i32 s65, s47, 9
	s_mul_i32 s66, s47, 10
	s_mul_i32 s67, s47, 11
	s_mul_i32 s68, s47, 12
	s_mul_i32 s69, s47, 13
	s_mul_i32 s70, s47, 14
	s_mul_i32 s71, s47, 15
	s_lshl_b32 s72, s47, 4
	s_mul_i32 s73, s47, 17
	s_mul_i32 s74, s47, 18
	;; [unrolled: 1-line block ×15, first 2 shown]
	s_lshl_b32 s88, s47, 5
	s_mul_i32 s89, s47, 33
	s_mul_i32 s90, s47, 34
	;; [unrolled: 1-line block ×17, first 2 shown]
	v_cmp_gt_i32_e64 s[8:9], s45, v3
	s_mul_i32 s37, s47, 50
	s_mul_i32 s40, s47, 51
	v_accvgpr_write_b32 a15, 0
	v_accvgpr_write_b32 a14, 0
	;; [unrolled: 1-line block ×16, first 2 shown]
	v_lshl_add_u64 v[8:9], v[8:9], 0, v[0:1]
	s_mul_i32 s41, s47, 52
	s_mul_i32 s42, s47, 53
	;; [unrolled: 1-line block ×12, first 2 shown]
	v_writelane_b32 v91, s10, 26
	s_mul_i32 s56, s48, 14
	s_lshl_b32 s48, s48, 1
	v_cmp_gt_i32_e64 s[10:11], s45, v12
	v_cmp_gt_i32_e64 s[12:13], s45, v13
	;; [unrolled: 1-line block ×12, first 2 shown]
	s_mov_b32 s45, s46
	s_mov_b64 s[46:47], 0
	s_branch .LBB133_54
.LBB133_52:                             ;   in Loop: Header=BB133_54 Depth=1
	v_mul_lo_u32 v0, v0, s53
	v_readlane_b32 vcc_lo, v91, 23
	s_nop 1
	v_add_u32_e32 v0, vcc_lo, v0
	v_add_u32_e32 v74, v0, v89
	v_ashrrev_i32_e32 v75, 31, v74
	v_lshl_add_u64 v[74:75], v[74:75], 2, v[6:7]
	global_load_dwordx2 v[74:75], v[74:75], off
.LBB133_53:                             ;   in Loop: Header=BB133_54 Depth=1
	s_waitcnt vmcnt(0)
	v_cvt_pk_bf16_f32 v0, v74, v75
	v_add_u32_e32 v74, 0xc00, v87
	ds_write2_b32 v74, v0, v1 offset0:40 offset1:106
	ds_write2_b32 v74, v1, v1 offset0:172 offset1:238
	ds_read2_b64 v[74:77], v88 offset0:8 offset1:12
	v_add_u32_e32 v85, 0x100, v85
	s_mov_b64 vcc, 0x400
	v_lshl_add_u64 v[8:9], v[8:9], 0, vcc
	s_waitcnt lgkmcnt(0)
	v_mfma_f32_16x16x16_bf16 a[12:15], v[16:17], v[74:75], a[12:15]
	v_cmp_le_i32_e32 vcc, s44, v85
	v_add_u32_e32 v89, 0x200, v89
	s_or_b64 s[46:47], vcc, s[46:47]
	v_mfma_f32_16x16x16_bf16 a[8:11], v[42:43], v[74:75], a[8:11]
	v_mfma_f32_16x16x16_bf16 a[4:7], v[56:57], v[74:75], a[4:7]
	;; [unrolled: 1-line block ×4, first 2 shown]
	ds_read2_b64 v[14:17], v88 offset0:16 offset1:20
	v_mfma_f32_16x16x16_bf16 a[8:11], v[40:41], v[76:77], a[8:11]
	v_mfma_f32_16x16x16_bf16 a[4:7], v[54:55], v[76:77], a[4:7]
	;; [unrolled: 1-line block ×3, first 2 shown]
	s_waitcnt lgkmcnt(0)
	v_mfma_f32_16x16x16_bf16 a[12:15], v[12:13], v[14:15], a[12:15]
	v_mfma_f32_16x16x16_bf16 a[8:11], v[36:37], v[14:15], a[8:11]
	;; [unrolled: 1-line block ×5, first 2 shown]
	ds_read2_b64 v[10:13], v88 offset0:24 offset1:28
	v_mfma_f32_16x16x16_bf16 a[8:11], v[34:35], v[16:17], a[8:11]
	v_mfma_f32_16x16x16_bf16 a[4:7], v[50:51], v[16:17], a[4:7]
	v_mfma_f32_16x16x16_bf16 a[0:3], v[62:63], v[16:17], a[0:3]
	s_waitcnt lgkmcnt(0)
	v_mfma_f32_16x16x16_bf16 a[12:15], v[24:25], v[10:11], a[12:15]
	v_mfma_f32_16x16x16_bf16 a[8:11], v[32:33], v[10:11], a[8:11]
	;; [unrolled: 1-line block ×8, first 2 shown]
	ds_read2_b64 v[10:13], v88 offset0:32 offset1:36
	s_waitcnt lgkmcnt(0)
	v_mfma_f32_16x16x16_bf16 a[12:15], v[20:21], v[10:11], a[12:15]
	v_mfma_f32_16x16x16_bf16 a[8:11], v[28:29], v[10:11], a[8:11]
	;; [unrolled: 1-line block ×8, first 2 shown]
	s_andn2_b64 exec, exec, s[46:47]
	s_cbranch_execz .LBB133_105
.LBB133_54:                             ; =>This Inner Loop Header: Depth=1
	v_lshl_add_u64 v[10:11], v[8:9], 0, s[2:3]
	global_load_dword v0, v[8:9], off
	global_load_dword v26, v[10:11], off
	v_add_u32_e32 v10, s57, v85
	v_add_u32_e32 v14, s60, v85
	;; [unrolled: 1-line block ×4, first 2 shown]
	v_ashrrev_i32_e32 v11, 31, v10
	v_add_u32_e32 v12, s59, v85
	v_ashrrev_i32_e32 v15, 31, v14
	v_ashrrev_i32_e32 v17, 31, v16
	v_add_u32_e32 v18, s62, v85
	v_add_u32_e32 v20, s63, v85
	v_ashrrev_i32_e32 v23, 31, v22
	v_add_u32_e32 v24, s65, v85
	v_lshl_add_u64 v[10:11], v[10:11], 2, v[4:5]
	v_ashrrev_i32_e32 v13, 31, v12
	v_lshl_add_u64 v[14:15], v[14:15], 2, v[4:5]
	v_lshl_add_u64 v[16:17], v[16:17], 2, v[4:5]
	v_ashrrev_i32_e32 v19, 31, v18
	v_ashrrev_i32_e32 v21, 31, v20
	v_lshl_add_u64 v[22:23], v[22:23], 2, v[4:5]
	v_ashrrev_i32_e32 v25, 31, v24
	v_lshl_add_u64 v[12:13], v[12:13], 2, v[4:5]
	v_lshl_add_u64 v[18:19], v[18:19], 2, v[4:5]
	v_lshl_add_u64 v[20:21], v[20:21], 2, v[4:5]
	v_lshl_add_u64 v[24:25], v[24:25], 2, v[4:5]
	global_load_dword v27, v[10:11], off
	global_load_dword v28, v[12:13], off
	;; [unrolled: 1-line block ×6, first 2 shown]
	s_nop 0
	global_load_dword v22, v[22:23], off
	s_nop 0
	global_load_dword v23, v[24:25], off
	v_add_u32_e32 v10, s66, v85
	v_add_u32_e32 v14, s68, v85
	;; [unrolled: 1-line block ×3, first 2 shown]
	v_ashrrev_i32_e32 v11, 31, v10
	v_add_u32_e32 v12, s67, v85
	v_ashrrev_i32_e32 v15, 31, v14
	v_ashrrev_i32_e32 v17, 31, v16
	v_add_u32_e32 v18, s70, v85
	v_add_u32_e32 v20, s71, v85
	v_lshl_add_u64 v[10:11], v[10:11], 2, v[4:5]
	v_ashrrev_i32_e32 v13, 31, v12
	v_lshl_add_u64 v[14:15], v[14:15], 2, v[4:5]
	v_lshl_add_u64 v[16:17], v[16:17], 2, v[4:5]
	v_ashrrev_i32_e32 v19, 31, v18
	v_ashrrev_i32_e32 v21, 31, v20
	v_lshl_add_u64 v[12:13], v[12:13], 2, v[4:5]
	v_lshl_add_u64 v[18:19], v[18:19], 2, v[4:5]
	;; [unrolled: 1-line block ×3, first 2 shown]
	global_load_dword v24, v[10:11], off
	global_load_dword v25, v[12:13], off
	s_nop 0
	global_load_dword v14, v[14:15], off
	s_nop 0
	;; [unrolled: 2-line block ×3, first 2 shown]
	global_load_dword v16, v[18:19], off
	global_load_dword v17, v[20:21], off
	v_add_u32_e32 v10, s72, v85
	v_add_u32_e32 v12, s73, v85
	v_ashrrev_i32_e32 v11, 31, v10
	v_ashrrev_i32_e32 v13, 31, v12
	v_lshl_add_u64 v[10:11], v[10:11], 2, v[4:5]
	v_add_u32_e32 v18, s74, v85
	v_lshl_add_u64 v[12:13], v[12:13], 2, v[4:5]
	global_load_dword v34, v[10:11], off
	global_load_dword v35, v[12:13], off
	v_ashrrev_i32_e32 v19, 31, v18
	v_add_u32_e32 v20, s75, v85
	v_lshl_add_u64 v[18:19], v[18:19], 2, v[4:5]
	v_ashrrev_i32_e32 v21, 31, v20
	v_lshl_add_u64 v[20:21], v[20:21], 2, v[4:5]
	s_andn2_b64 vcc, exec, s[8:9]
	s_waitcnt vmcnt(17)
	ds_write_b32 v87, v0 offset:64
	s_waitcnt vmcnt(16)
	ds_write_b32 v87, v26 offset:328
	;; [unrolled: 2-line block ×16, first 2 shown]
	v_add_u32_e32 v22, s76, v85
	v_add_u32_e32 v24, s77, v85
	;; [unrolled: 1-line block ×6, first 2 shown]
	v_ashrrev_i32_e32 v23, 31, v22
	v_ashrrev_i32_e32 v25, 31, v24
	;; [unrolled: 1-line block ×6, first 2 shown]
	ds_read_b64 v[16:17], v88 offset:64
	ds_read_b64 v[14:15], v88 offset:96
	;; [unrolled: 1-line block ×4, first 2 shown]
	v_lshl_add_u64 v[22:23], v[22:23], 2, v[4:5]
	v_lshl_add_u64 v[24:25], v[24:25], 2, v[4:5]
	v_lshl_add_u64 v[26:27], v[26:27], 2, v[4:5]
	v_lshl_add_u64 v[28:29], v[28:29], 2, v[4:5]
	v_lshl_add_u64 v[30:31], v[30:31], 2, v[4:5]
	v_lshl_add_u64 v[32:33], v[32:33], 2, v[4:5]
	global_load_dword v0, v[18:19], off
	global_load_dword v36, v[20:21], off
	global_load_dword v37, v[22:23], off
	global_load_dword v38, v[24:25], off
	global_load_dword v39, v[26:27], off
	global_load_dword v40, v[28:29], off
	global_load_dword v41, v[30:31], off
	global_load_dword v42, v[32:33], off
	v_add_u32_e32 v18, s82, v85
	v_ashrrev_i32_e32 v19, 31, v18
	v_add_u32_e32 v20, s83, v85
	v_add_u32_e32 v22, s84, v85
	v_add_u32_e32 v24, s85, v85
	v_add_u32_e32 v26, s86, v85
	v_add_u32_e32 v28, s87, v85
	v_add_u32_e32 v30, s88, v85
	v_add_u32_e32 v32, s89, v85
	v_lshl_add_u64 v[18:19], v[18:19], 2, v[4:5]
	v_ashrrev_i32_e32 v21, 31, v20
	v_ashrrev_i32_e32 v23, 31, v22
	v_ashrrev_i32_e32 v25, 31, v24
	v_ashrrev_i32_e32 v27, 31, v26
	v_ashrrev_i32_e32 v29, 31, v28
	v_ashrrev_i32_e32 v31, 31, v30
	v_ashrrev_i32_e32 v33, 31, v32
	v_lshl_add_u64 v[20:21], v[20:21], 2, v[4:5]
	v_lshl_add_u64 v[22:23], v[22:23], 2, v[4:5]
	v_lshl_add_u64 v[24:25], v[24:25], 2, v[4:5]
	v_lshl_add_u64 v[26:27], v[26:27], 2, v[4:5]
	v_lshl_add_u64 v[28:29], v[28:29], 2, v[4:5]
	v_lshl_add_u64 v[30:31], v[30:31], 2, v[4:5]
	v_lshl_add_u64 v[32:33], v[32:33], 2, v[4:5]
	global_load_dword v43, v[18:19], off
	global_load_dword v44, v[20:21], off
	global_load_dword v45, v[22:23], off
	global_load_dword v46, v[24:25], off
	global_load_dword v47, v[26:27], off
	global_load_dword v48, v[28:29], off
	global_load_dword v49, v[30:31], off
	global_load_dword v50, v[32:33], off
	v_add_u32_e32 v18, s90, v85
	v_ashrrev_i32_e32 v19, 31, v18
	v_add_u32_e32 v20, s91, v85
	v_add_u32_e32 v22, s92, v85
	v_add_u32_e32 v24, s93, v85
	v_add_u32_e32 v26, s94, v85
	v_add_u32_e32 v28, s95, v85
	v_add_u32_e32 v30, s96, v85
	v_add_u32_e32 v32, s97, v85
	v_lshl_add_u64 v[18:19], v[18:19], 2, v[4:5]
	v_ashrrev_i32_e32 v21, 31, v20
	v_ashrrev_i32_e32 v23, 31, v22
	v_ashrrev_i32_e32 v25, 31, v24
	v_ashrrev_i32_e32 v27, 31, v26
	v_ashrrev_i32_e32 v29, 31, v28
	v_ashrrev_i32_e32 v31, 31, v30
	v_ashrrev_i32_e32 v33, 31, v32
	v_lshl_add_u64 v[20:21], v[20:21], 2, v[4:5]
	;; [unrolled: 32-line block ×4, first 2 shown]
	v_lshl_add_u64 v[22:23], v[22:23], 2, v[4:5]
	v_lshl_add_u64 v[24:25], v[24:25], 2, v[4:5]
	;; [unrolled: 1-line block ×6, first 2 shown]
	global_load_dword v67, v[18:19], off
	global_load_dword v68, v[20:21], off
	global_load_dword v69, v[22:23], off
	global_load_dword v70, v[24:25], off
	global_load_dword v71, v[26:27], off
	global_load_dword v72, v[28:29], off
	global_load_dword v73, v[30:31], off
	global_load_dword v74, v[32:33], off
	v_add_u32_e32 v18, s33, v85
	v_ashrrev_i32_e32 v19, 31, v18
	v_add_u32_e32 v20, s4, v85
	v_add_u32_e32 v22, s50, v85
	;; [unrolled: 1-line block ×5, first 2 shown]
	v_lshl_add_u64 v[18:19], v[18:19], 2, v[4:5]
	v_ashrrev_i32_e32 v21, 31, v20
	v_ashrrev_i32_e32 v23, 31, v22
	;; [unrolled: 1-line block ×5, first 2 shown]
	v_lshl_add_u64 v[20:21], v[20:21], 2, v[4:5]
	v_lshl_add_u64 v[22:23], v[22:23], 2, v[4:5]
	;; [unrolled: 1-line block ×5, first 2 shown]
	global_load_dword v75, v[18:19], off
	global_load_dword v76, v[20:21], off
	;; [unrolled: 1-line block ×6, first 2 shown]
	ds_read_b64 v[24:25], v88 offset:192
	ds_read_b64 v[22:23], v88 offset:224
	ds_read_b64 v[20:21], v88 offset:256
	ds_read_b64 v[18:19], v88 offset:288
	s_waitcnt vmcnt(47)
	ds_write_b32 v87, v34 offset:64
	s_waitcnt vmcnt(46)
	ds_write_b32 v87, v35 offset:328
	s_waitcnt vmcnt(45)
	ds_write_b32 v87, v0 offset:592
	s_waitcnt vmcnt(44)
	ds_write_b32 v87, v36 offset:856
	s_waitcnt vmcnt(43)
	ds_write_b32 v87, v37 offset:1120
	s_waitcnt vmcnt(42)
	ds_write_b32 v87, v38 offset:1384
	s_waitcnt vmcnt(41)
	ds_write_b32 v87, v39 offset:1648
	s_waitcnt vmcnt(40)
	ds_write_b32 v87, v40 offset:1912
	s_waitcnt vmcnt(39)
	ds_write_b32 v87, v41 offset:2176
	s_waitcnt vmcnt(38)
	ds_write_b32 v87, v42 offset:2440
	s_waitcnt vmcnt(37)
	ds_write_b32 v87, v43 offset:2704
	s_waitcnt vmcnt(36)
	ds_write_b32 v87, v44 offset:2968
	s_waitcnt vmcnt(35)
	ds_write_b32 v87, v45 offset:3232
	s_waitcnt vmcnt(34)
	ds_write_b32 v87, v46 offset:3496
	s_waitcnt vmcnt(33)
	ds_write_b32 v87, v47 offset:3760
	s_waitcnt vmcnt(32)
	ds_write_b32 v87, v48 offset:4024
	ds_read_b64 v[42:43], v88 offset:64
	ds_read_b64 v[40:41], v88 offset:96
	ds_read_b64 v[36:37], v88 offset:128
	ds_read_b64 v[34:35], v88 offset:160
	ds_read_b64 v[32:33], v88 offset:192
	ds_read_b64 v[30:31], v88 offset:224
	ds_read_b64 v[28:29], v88 offset:256
	ds_read_b64 v[26:27], v88 offset:288
	s_waitcnt vmcnt(31)
	ds_write_b32 v87, v49 offset:64
	s_waitcnt vmcnt(30)
	ds_write_b32 v87, v50 offset:328
	s_waitcnt vmcnt(29)
	ds_write_b32 v87, v51 offset:592
	s_waitcnt vmcnt(28)
	ds_write_b32 v87, v52 offset:856
	s_waitcnt vmcnt(27)
	ds_write_b32 v87, v53 offset:1120
	s_waitcnt vmcnt(26)
	ds_write_b32 v87, v54 offset:1384
	s_waitcnt vmcnt(25)
	ds_write_b32 v87, v55 offset:1648
	s_waitcnt vmcnt(24)
	ds_write_b32 v87, v56 offset:1912
	s_waitcnt vmcnt(23)
	ds_write_b32 v87, v57 offset:2176
	s_waitcnt vmcnt(22)
	ds_write_b32 v87, v58 offset:2440
	s_waitcnt vmcnt(21)
	ds_write_b32 v87, v59 offset:2704
	s_waitcnt vmcnt(20)
	ds_write_b32 v87, v60 offset:2968
	s_waitcnt vmcnt(19)
	ds_write_b32 v87, v61 offset:3232
	s_waitcnt vmcnt(18)
	ds_write_b32 v87, v62 offset:3496
	s_waitcnt vmcnt(17)
	ds_write_b32 v87, v63 offset:3760
	s_waitcnt vmcnt(16)
	ds_write_b32 v87, v64 offset:4024
	ds_read_b64 v[56:57], v88 offset:64
	ds_read_b64 v[54:55], v88 offset:96
	ds_read_b64 v[52:53], v88 offset:128
	ds_read_b64 v[50:51], v88 offset:160
	;; [unrolled: 40-line block ×3, first 2 shown]
	ds_read_b64 v[68:69], v88 offset:192
	ds_read_b64 v[64:65], v88 offset:224
	;; [unrolled: 1-line block ×4, first 2 shown]
	v_mov_b32_e32 v76, 0
	v_mov_b32_e32 v77, 0
	;; [unrolled: 1-line block ×3, first 2 shown]
	s_cbranch_vccnz .LBB133_58
; %bb.55:                               ;   in Loop: Header=BB133_54 Depth=1
	ds_read_b32 v0, v86
	s_waitcnt lgkmcnt(0)
	v_cmp_gt_i32_e32 vcc, 0, v0
	s_cbranch_vccnz .LBB133_57
; %bb.56:                               ;   in Loop: Header=BB133_54 Depth=1
	v_mul_lo_u32 v0, v0, s53
	v_add_u32_e32 v76, v89, v0
	v_ashrrev_i32_e32 v77, 31, v76
	v_lshl_add_u64 v[76:77], v[76:77], 2, v[6:7]
	global_load_dwordx2 v[76:77], v[76:77], off
	s_branch .LBB133_58
.LBB133_57:                             ;   in Loop: Header=BB133_54 Depth=1
	v_mov_b32_e32 v76, 0
	v_mov_b32_e32 v77, 0
.LBB133_58:                             ;   in Loop: Header=BB133_54 Depth=1
	s_waitcnt vmcnt(0)
	v_cvt_pk_bf16_f32 v0, v76, v77
	s_andn2_b64 vcc, exec, s[10:11]
	v_mov_b32_e32 v76, 0
	v_mov_b32_e32 v77, 0
	ds_write_b32 v87, v0 offset:64
	s_cbranch_vccnz .LBB133_62
; %bb.59:                               ;   in Loop: Header=BB133_54 Depth=1
	ds_read_b32 v0, v86 offset:4
	s_waitcnt lgkmcnt(0)
	v_cmp_gt_i32_e32 vcc, 0, v0
	s_cbranch_vccnz .LBB133_61
; %bb.60:                               ;   in Loop: Header=BB133_54 Depth=1
	v_mul_lo_u32 v0, v0, s53
	v_add_u32_e32 v0, s48, v0
	v_add_u32_e32 v76, v0, v89
	v_ashrrev_i32_e32 v77, 31, v76
	v_lshl_add_u64 v[76:77], v[76:77], 2, v[6:7]
	global_load_dwordx2 v[76:77], v[76:77], off
	s_branch .LBB133_62
.LBB133_61:                             ;   in Loop: Header=BB133_54 Depth=1
	v_mov_b32_e32 v76, 0
	v_mov_b32_e32 v77, 0
.LBB133_62:                             ;   in Loop: Header=BB133_54 Depth=1
	s_waitcnt vmcnt(0)
	v_cvt_pk_bf16_f32 v0, v76, v77
	v_mov_b32_e32 v76, 0
	s_andn2_b64 vcc, exec, s[12:13]
	v_mov_b32_e32 v75, 0
	ds_write_b32 v87, v0 offset:328
	s_cbranch_vccnz .LBB133_66
; %bb.63:                               ;   in Loop: Header=BB133_54 Depth=1
	ds_read_b32 v0, v86 offset:8
	s_waitcnt lgkmcnt(0)
	v_cmp_gt_i32_e32 vcc, 0, v0
	s_cbranch_vccnz .LBB133_65
; %bb.64:                               ;   in Loop: Header=BB133_54 Depth=1
	v_mul_lo_u32 v0, v0, s53
	v_add_u32_e32 v0, s45, v0
	v_add_u32_e32 v74, v0, v89
	v_ashrrev_i32_e32 v75, 31, v74
	v_lshl_add_u64 v[74:75], v[74:75], 2, v[6:7]
	global_load_dwordx2 v[74:75], v[74:75], off
	s_branch .LBB133_66
.LBB133_65:                             ;   in Loop: Header=BB133_54 Depth=1
	v_mov_b32_e32 v74, 0
	v_mov_b32_e32 v75, 0
.LBB133_66:                             ;   in Loop: Header=BB133_54 Depth=1
	s_waitcnt vmcnt(0)
	v_cvt_pk_bf16_f32 v0, v74, v75
	s_andn2_b64 vcc, exec, s[14:15]
	v_mov_b32_e32 v74, 0
	v_mov_b32_e32 v75, 0
	ds_write_b32 v87, v0 offset:592
	s_cbranch_vccnz .LBB133_70
; %bb.67:                               ;   in Loop: Header=BB133_54 Depth=1
	ds_read_b32 v0, v86 offset:12
	s_waitcnt lgkmcnt(0)
	v_cmp_gt_i32_e32 vcc, 0, v0
	s_cbranch_vccnz .LBB133_69
; %bb.68:                               ;   in Loop: Header=BB133_54 Depth=1
	v_mul_lo_u32 v0, v0, s53
	v_readlane_b32 vcc_lo, v91, 19
	s_nop 1
	v_add_u32_e32 v0, vcc_lo, v0
	v_add_u32_e32 v74, v0, v89
	v_ashrrev_i32_e32 v75, 31, v74
	v_lshl_add_u64 v[74:75], v[74:75], 2, v[6:7]
	global_load_dwordx2 v[74:75], v[74:75], off
	s_branch .LBB133_70
.LBB133_69:                             ;   in Loop: Header=BB133_54 Depth=1
	v_mov_b32_e32 v74, 0
	v_mov_b32_e32 v75, 0
.LBB133_70:                             ;   in Loop: Header=BB133_54 Depth=1
	s_waitcnt vmcnt(0)
	v_cvt_pk_bf16_f32 v0, v74, v75
	v_mov_b32_e32 v74, 0
	s_andn2_b64 vcc, exec, s[16:17]
	v_mov_b32_e32 v77, 0
	ds_write_b32 v87, v0 offset:856
	s_cbranch_vccnz .LBB133_74
; %bb.71:                               ;   in Loop: Header=BB133_54 Depth=1
	ds_read_b32 v0, v86 offset:16
	s_waitcnt lgkmcnt(0)
	v_cmp_gt_i32_e32 vcc, 0, v0
	s_cbranch_vccnz .LBB133_73
; %bb.72:                               ;   in Loop: Header=BB133_54 Depth=1
	v_mul_lo_u32 v0, v0, s53
	v_readlane_b32 vcc_lo, v91, 18
	s_nop 1
	v_add_u32_e32 v0, vcc_lo, v0
	v_add_u32_e32 v76, v0, v89
	v_ashrrev_i32_e32 v77, 31, v76
	v_lshl_add_u64 v[76:77], v[76:77], 2, v[6:7]
	global_load_dwordx2 v[76:77], v[76:77], off
	s_branch .LBB133_74
.LBB133_73:                             ;   in Loop: Header=BB133_54 Depth=1
	v_mov_b32_e32 v76, 0
	v_mov_b32_e32 v77, 0
.LBB133_74:                             ;   in Loop: Header=BB133_54 Depth=1
	s_waitcnt vmcnt(0)
	v_cvt_pk_bf16_f32 v0, v76, v77
	s_andn2_b64 vcc, exec, s[18:19]
	v_mov_b32_e32 v76, 0
	v_mov_b32_e32 v77, 0
	ds_write_b32 v87, v0 offset:1120
	s_cbranch_vccnz .LBB133_78
; %bb.75:                               ;   in Loop: Header=BB133_54 Depth=1
	ds_read_b32 v0, v86 offset:20
	s_waitcnt lgkmcnt(0)
	v_cmp_gt_i32_e32 vcc, 0, v0
	s_cbranch_vccnz .LBB133_77
; %bb.76:                               ;   in Loop: Header=BB133_54 Depth=1
	v_mul_lo_u32 v0, v0, s53
	v_readlane_b32 vcc_lo, v91, 21
	s_nop 1
	v_add_u32_e32 v0, vcc_lo, v0
	v_add_u32_e32 v76, v0, v89
	v_ashrrev_i32_e32 v77, 31, v76
	v_lshl_add_u64 v[76:77], v[76:77], 2, v[6:7]
	global_load_dwordx2 v[76:77], v[76:77], off
	s_branch .LBB133_78
.LBB133_77:                             ;   in Loop: Header=BB133_54 Depth=1
	v_mov_b32_e32 v76, 0
	v_mov_b32_e32 v77, 0
.LBB133_78:                             ;   in Loop: Header=BB133_54 Depth=1
	s_waitcnt vmcnt(0)
	v_cvt_pk_bf16_f32 v0, v76, v77
	v_mov_b32_e32 v78, 0
	s_andn2_b64 vcc, exec, s[20:21]
	v_mov_b32_e32 v75, 0
	ds_write_b32 v87, v0 offset:1384
	s_cbranch_vccnz .LBB133_82
; %bb.79:                               ;   in Loop: Header=BB133_54 Depth=1
	ds_read_b32 v0, v86 offset:24
	s_waitcnt lgkmcnt(0)
	v_cmp_gt_i32_e32 vcc, 0, v0
	s_cbranch_vccnz .LBB133_81
; %bb.80:                               ;   in Loop: Header=BB133_54 Depth=1
	v_mul_lo_u32 v0, v0, s53
	v_readlane_b32 vcc_lo, v91, 22
	s_nop 1
	v_add_u32_e32 v0, vcc_lo, v0
	v_add_u32_e32 v74, v0, v89
	v_ashrrev_i32_e32 v75, 31, v74
	v_lshl_add_u64 v[74:75], v[74:75], 2, v[6:7]
	global_load_dwordx2 v[74:75], v[74:75], off
	s_branch .LBB133_82
.LBB133_81:                             ;   in Loop: Header=BB133_54 Depth=1
	v_mov_b32_e32 v74, 0
	v_mov_b32_e32 v75, 0
.LBB133_82:                             ;   in Loop: Header=BB133_54 Depth=1
	s_waitcnt vmcnt(0)
	v_cvt_pk_bf16_f32 v0, v74, v75
	s_andn2_b64 vcc, exec, s[22:23]
	v_mov_b32_e32 v74, 0
	v_mov_b32_e32 v75, 0
	ds_write_b32 v87, v0 offset:1648
	s_cbranch_vccnz .LBB133_86
; %bb.83:                               ;   in Loop: Header=BB133_54 Depth=1
	ds_read_b32 v0, v86 offset:28
	s_waitcnt lgkmcnt(0)
	v_cmp_gt_i32_e32 vcc, 0, v0
	s_cbranch_vccnz .LBB133_85
; %bb.84:                               ;   in Loop: Header=BB133_54 Depth=1
	v_mul_lo_u32 v0, v0, s53
	v_add_u32_e32 v0, s56, v0
	v_add_u32_e32 v74, v0, v89
	v_ashrrev_i32_e32 v75, 31, v74
	v_lshl_add_u64 v[74:75], v[74:75], 2, v[6:7]
	global_load_dwordx2 v[74:75], v[74:75], off
	s_branch .LBB133_86
.LBB133_85:                             ;   in Loop: Header=BB133_54 Depth=1
	v_mov_b32_e32 v74, 0
	v_mov_b32_e32 v75, 0
.LBB133_86:                             ;   in Loop: Header=BB133_54 Depth=1
	s_waitcnt vmcnt(0)
	v_cvt_pk_bf16_f32 v0, v74, v75
	v_mov_b32_e32 v76, 0
	s_andn2_b64 vcc, exec, s[24:25]
	v_mov_b32_e32 v79, 0
	ds_write_b32 v87, v0 offset:1912
	s_cbranch_vccnz .LBB133_90
; %bb.87:                               ;   in Loop: Header=BB133_54 Depth=1
	ds_read_b32 v0, v86 offset:32
	s_waitcnt lgkmcnt(0)
	v_cmp_gt_i32_e32 vcc, 0, v0
	s_cbranch_vccnz .LBB133_89
; %bb.88:                               ;   in Loop: Header=BB133_54 Depth=1
	v_mul_lo_u32 v0, v0, s53
	v_readlane_b32 vcc_lo, v91, 20
	s_nop 1
	v_add_u32_e32 v0, vcc_lo, v0
	v_add_u32_e32 v74, v0, v89
	v_ashrrev_i32_e32 v75, 31, v74
	v_lshl_add_u64 v[74:75], v[74:75], 2, v[6:7]
	global_load_dwordx2 v[78:79], v[74:75], off
	s_branch .LBB133_90
.LBB133_89:                             ;   in Loop: Header=BB133_54 Depth=1
	v_mov_b32_e32 v78, 0
	v_mov_b32_e32 v79, 0
.LBB133_90:                             ;   in Loop: Header=BB133_54 Depth=1
	s_waitcnt vmcnt(0)
	v_cvt_pk_bf16_f32 v0, v78, v79
	s_andn2_b64 vcc, exec, s[26:27]
	v_mov_b32_e32 v74, 0
	v_mov_b32_e32 v75, 0
	ds_write_b32 v87, v0 offset:2176
	s_cbranch_vccnz .LBB133_94
; %bb.91:                               ;   in Loop: Header=BB133_54 Depth=1
	ds_read_b32 v0, v86 offset:36
	s_waitcnt lgkmcnt(0)
	v_cmp_gt_i32_e32 vcc, 0, v0
	s_cbranch_vccnz .LBB133_93
; %bb.92:                               ;   in Loop: Header=BB133_54 Depth=1
	v_mul_lo_u32 v0, v0, s53
	v_readlane_b32 vcc_lo, v91, 26
	s_nop 1
	v_add_u32_e32 v0, vcc_lo, v0
	v_add_u32_e32 v74, v0, v89
	v_ashrrev_i32_e32 v75, 31, v74
	v_lshl_add_u64 v[74:75], v[74:75], 2, v[6:7]
	global_load_dwordx2 v[74:75], v[74:75], off
	s_branch .LBB133_94
.LBB133_93:                             ;   in Loop: Header=BB133_54 Depth=1
	v_mov_b32_e32 v74, 0
	v_mov_b32_e32 v75, 0
.LBB133_94:                             ;   in Loop: Header=BB133_54 Depth=1
	s_waitcnt vmcnt(0)
	v_cvt_pk_bf16_f32 v0, v74, v75
	v_mov_b32_e32 v74, 0
	s_andn2_b64 vcc, exec, s[28:29]
	v_mov_b32_e32 v77, 0
	ds_write_b32 v87, v0 offset:2440
	s_cbranch_vccnz .LBB133_98
; %bb.95:                               ;   in Loop: Header=BB133_54 Depth=1
	ds_read_b32 v0, v86 offset:40
	s_waitcnt lgkmcnt(0)
	v_cmp_gt_i32_e32 vcc, 0, v0
	s_cbranch_vccnz .LBB133_97
; %bb.96:                               ;   in Loop: Header=BB133_54 Depth=1
	v_mul_lo_u32 v0, v0, s53
	v_readlane_b32 vcc_lo, v91, 25
	s_nop 1
	v_add_u32_e32 v0, vcc_lo, v0
	v_add_u32_e32 v76, v0, v89
	v_ashrrev_i32_e32 v77, 31, v76
	v_lshl_add_u64 v[76:77], v[76:77], 2, v[6:7]
	global_load_dwordx2 v[76:77], v[76:77], off
	s_branch .LBB133_98
.LBB133_97:                             ;   in Loop: Header=BB133_54 Depth=1
	v_mov_b32_e32 v76, 0
	v_mov_b32_e32 v77, 0
.LBB133_98:                             ;   in Loop: Header=BB133_54 Depth=1
	s_waitcnt vmcnt(0)
	v_cvt_pk_bf16_f32 v0, v76, v77
	s_andn2_b64 vcc, exec, s[30:31]
	v_mov_b32_e32 v76, 0
	v_mov_b32_e32 v77, 0
	ds_write_b32 v87, v0 offset:2704
	s_cbranch_vccnz .LBB133_102
; %bb.99:                               ;   in Loop: Header=BB133_54 Depth=1
	ds_read_b32 v0, v86 offset:44
	s_waitcnt lgkmcnt(0)
	v_cmp_gt_i32_e32 vcc, 0, v0
	s_cbranch_vccnz .LBB133_101
; %bb.100:                              ;   in Loop: Header=BB133_54 Depth=1
	v_mul_lo_u32 v0, v0, s53
	v_readlane_b32 vcc_lo, v91, 24
	s_nop 1
	v_add_u32_e32 v0, vcc_lo, v0
	v_add_u32_e32 v76, v0, v89
	v_ashrrev_i32_e32 v77, 31, v76
	v_lshl_add_u64 v[76:77], v[76:77], 2, v[6:7]
	global_load_dwordx2 v[76:77], v[76:77], off
	s_branch .LBB133_102
.LBB133_101:                            ;   in Loop: Header=BB133_54 Depth=1
	v_mov_b32_e32 v76, 0
	v_mov_b32_e32 v77, 0
.LBB133_102:                            ;   in Loop: Header=BB133_54 Depth=1
	s_waitcnt vmcnt(0)
	v_cvt_pk_bf16_f32 v0, v76, v77
	s_andn2_b64 vcc, exec, s[34:35]
	v_mov_b32_e32 v75, 0
	ds_write_b32 v87, v0 offset:2968
	s_cbranch_vccnz .LBB133_53
; %bb.103:                              ;   in Loop: Header=BB133_54 Depth=1
	ds_read_b32 v0, v86 offset:48
	s_waitcnt lgkmcnt(0)
	v_cmp_gt_i32_e32 vcc, 0, v0
	s_cbranch_vccz .LBB133_52
; %bb.104:                              ;   in Loop: Header=BB133_54 Depth=1
	v_mov_b32_e32 v74, 0
	v_mov_b32_e32 v75, 0
	s_branch .LBB133_53
.LBB133_105:
	s_or_b64 exec, exec, s[46:47]
	v_readlane_b32 s24, v91, 10
	v_readlane_b32 s28, v91, 14
	;; [unrolled: 1-line block ×8, first 2 shown]
.LBB133_106:
	v_readlane_b32 s0, v91, 8
	v_readlane_b32 s1, v91, 9
	s_or_b64 exec, exec, s[0:1]
	v_mov_b32_e32 v1, 0x100
	v_lshl_add_u32 v0, v83, 2, v1
	v_mul_u32_u24_e32 v4, 0x408, v84
	v_and_b32_e32 v5, 0x3f0, v2
	v_add3_u32 v4, v0, v4, v5
	v_accvgpr_read_b32 v5, a13
	v_accvgpr_read_b32 v6, a12
	s_waitcnt lgkmcnt(0)
	s_barrier
	ds_write2_b32 v4, v6, v5 offset0:16 offset1:17
	v_accvgpr_read_b32 v5, a15
	v_accvgpr_read_b32 v6, a14
	ds_write2_b32 v4, v6, v5 offset0:18 offset1:19
	v_accvgpr_read_b32 v5, a9
	v_accvgpr_read_b32 v6, a8
	;; [unrolled: 3-line block ×5, first 2 shown]
	s_movk_i32 s0, 0x408
	ds_write2_b32 v4, v6, v5 offset0:50 offset1:51
	v_accvgpr_read_b32 v5, a1
	v_accvgpr_read_b32 v6, a0
	v_lshl_add_u32 v8, v2, 2, v1
	ds_write2_b32 v4, v6, v5 offset0:64 offset1:65
	v_accvgpr_read_b32 v5, a3
	v_accvgpr_read_b32 v6, a2
	v_mad_u32_u24 v1, v80, s0, v8
	ds_write2_b32 v4, v6, v5 offset0:66 offset1:67
	s_waitcnt lgkmcnt(0)
	s_barrier
	ds_read2_b32 v[6:7], v1 offset0:16 offset1:80
	ds_read2_b32 v[4:5], v1 offset0:144 offset1:208
	v_cmp_gt_u32_e32 vcc, 13, v80
	v_mov_b32_e32 v10, -1
	s_and_saveexec_b64 s[0:1], vcc
; %bb.107:
	s_movk_i32 s2, 0xff04
	v_mad_i32_i24 v0, v80, s2, v0
	ds_read_b32 v10, v0
; %bb.108:
	s_or_b64 exec, exec, s[0:1]
	s_mul_hi_i32 s1, s30, s22
	s_mul_i32 s0, s30, s22
	s_lshl_b64 s[0:1], s[0:1], 2
	v_readlane_b32 s2, v91, 6
	v_mul_hi_i32 v1, v3, s49
	v_mul_lo_u32 v0, v3, s49
	v_readlane_b32 s3, v91, 7
	s_add_u32 s0, s2, s0
	s_addc_u32 s1, s3, s1
	v_lshlrev_b64 v[0:1], 2, v[0:1]
	s_waitcnt lgkmcnt(0)
	v_cmp_lt_i32_e32 vcc, -1, v10
	v_mul_u32_u24_e32 v11, 0x408, v80
	v_add_u32_e32 v9, s7, v2
	v_lshl_add_u64 v[0:1], s[0:1], 0, v[0:1]
	s_and_b64 s[2:3], vcc, s[24:25]
	s_and_saveexec_b64 s[0:1], s[2:3]
	s_cbranch_execz .LBB133_110
; %bb.109:
	v_add_f32_e32 v2, 0, v6
	v_add_f32_e32 v2, v2, v7
	;; [unrolled: 1-line block ×4, first 2 shown]
	v_mul_lo_u32 v2, v10, s54
	v_mul_lo_u32 v3, v80, s49
	v_add3_u32 v2, v9, v3, v2
	v_mov_b32_e32 v3, 0
	v_lshl_add_u64 v[2:3], v[2:3], 2, v[0:1]
	global_store_dword v[2:3], v4, off
.LBB133_110:
	s_or_b64 exec, exec, s[0:1]
	v_add_u32_e32 v6, v11, v8
	v_add_u32_e32 v2, 0x60, v6
	ds_read2st64_b32 v[4:5], v2 offset0:16 offset1:17
	ds_read2st64_b32 v[2:3], v2 offset0:18 offset1:19
	v_cmp_gt_u32_e32 vcc, 9, v80
	v_mov_b32_e32 v7, -1
	s_and_saveexec_b64 s[0:1], vcc
; %bb.111:
	v_mov_b32_e32 v7, 0x100
	v_lshl_add_u32 v7, v80, 2, v7
	ds_read_b32 v7, v7 offset:16
; %bb.112:
	s_or_b64 exec, exec, s[0:1]
	v_readlane_b32 s0, v91, 0
	s_waitcnt lgkmcnt(0)
	v_cmp_lt_i32_e32 vcc, -1, v7
	v_readlane_b32 s1, v91, 1
	s_and_b64 s[2:3], vcc, s[0:1]
	s_and_saveexec_b64 s[0:1], s[2:3]
	s_cbranch_execz .LBB133_114
; %bb.113:
	v_add_f32_e32 v4, 0, v4
	v_add_f32_e32 v4, v4, v5
	;; [unrolled: 1-line block ×4, first 2 shown]
	v_mul_lo_u32 v2, v7, s54
	v_mul_lo_u32 v3, v81, s49
	v_add3_u32 v2, v9, v3, v2
	v_mov_b32_e32 v3, 0
	v_lshl_add_u64 v[2:3], v[2:3], 2, v[0:1]
	global_store_dword v[2:3], v4, off
.LBB133_114:
	s_or_b64 exec, exec, s[0:1]
	v_add_u32_e32 v2, 0x80, v6
	ds_read2st64_b32 v[4:5], v2 offset0:32 offset1:33
	ds_read2st64_b32 v[2:3], v2 offset0:34 offset1:35
	v_cmp_gt_u32_e32 vcc, 5, v80
	v_mov_b32_e32 v6, -1
	s_and_saveexec_b64 s[0:1], vcc
; %bb.115:
	v_mov_b32_e32 v6, 0x100
	v_lshl_add_u32 v6, v80, 2, v6
	ds_read_b32 v6, v6 offset:32
; %bb.116:
	s_or_b64 exec, exec, s[0:1]
	v_readlane_b32 s0, v91, 2
	s_waitcnt lgkmcnt(0)
	v_cmp_lt_i32_e32 vcc, -1, v6
	v_readlane_b32 s1, v91, 3
	s_and_b64 s[2:3], vcc, s[0:1]
	s_and_saveexec_b64 s[0:1], s[2:3]
	s_cbranch_execz .LBB133_118
; %bb.117:
	v_add_f32_e32 v4, 0, v4
	v_add_f32_e32 v4, v4, v5
	;; [unrolled: 1-line block ×4, first 2 shown]
	v_mul_lo_u32 v2, v6, s54
	v_mul_lo_u32 v3, v82, s49
	v_add3_u32 v2, v9, v3, v2
	v_mov_b32_e32 v3, 0
	v_lshl_add_u64 v[2:3], v[2:3], 2, v[0:1]
	global_store_dword v[2:3], v4, off
.LBB133_118:
	s_or_b64 exec, exec, s[0:1]
	v_cmp_eq_u32_e32 vcc, 0, v80
	s_and_saveexec_b64 s[0:1], vcc
	s_cbranch_execz .LBB133_121
; %bb.119:
	v_mov_b32_e32 v2, 0x100
	ds_read_b32 v2, v2 offset:48
	v_readlane_b32 s2, v91, 4
	v_readlane_b32 s3, v91, 5
	s_waitcnt lgkmcnt(0)
	v_readfirstlane_b32 s0, v2
	s_cmp_gt_i32 s0, -1
	s_cselect_b64 s[0:1], -1, 0
	s_and_b64 s[0:1], s[0:1], s[2:3]
	s_and_b64 exec, exec, s[0:1]
	s_cbranch_execz .LBB133_121
; %bb.120:
	v_add_u32_e32 v3, 0xa0, v8
	ds_read2st64_b32 v[4:5], v3 offset0:48 offset1:49
	v_mul_lo_u32 v6, v2, s54
	ds_read2st64_b32 v[2:3], v3 offset0:50 offset1:51
	s_mul_i32 s0, s49, 12
	v_add_u32_e32 v6, s0, v6
	s_waitcnt lgkmcnt(1)
	v_add_f32_e32 v4, 0, v4
	v_add_f32_e32 v4, v4, v5
	s_waitcnt lgkmcnt(0)
	v_add_f32_e32 v2, v4, v2
	v_add_f32_e32 v4, v2, v3
	v_add_u32_e32 v2, v6, v9
	v_mov_b32_e32 v3, 0
	v_lshl_add_u64 v[0:1], v[2:3], 2, v[0:1]
	global_store_dword v[0:1], v4, off
.LBB133_121:
	s_endpgm
	.section	.rodata,"a",@progbits
	.p2align	6, 0x0
	.amdhsa_kernel _ZL9mul_mat_fI15__hip_bfloat162Li64ELi13ELi4ELb1EEvPKT_PKfPKiPfiiiiiiiiiiiiiiii
		.amdhsa_group_segment_fixed_size 256
		.amdhsa_private_segment_fixed_size 0
		.amdhsa_kernarg_size 352
		.amdhsa_user_sgpr_count 2
		.amdhsa_user_sgpr_dispatch_ptr 0
		.amdhsa_user_sgpr_queue_ptr 0
		.amdhsa_user_sgpr_kernarg_segment_ptr 1
		.amdhsa_user_sgpr_dispatch_id 0
		.amdhsa_user_sgpr_kernarg_preload_length 0
		.amdhsa_user_sgpr_kernarg_preload_offset 0
		.amdhsa_user_sgpr_private_segment_size 0
		.amdhsa_uses_dynamic_stack 0
		.amdhsa_enable_private_segment 0
		.amdhsa_system_sgpr_workgroup_id_x 1
		.amdhsa_system_sgpr_workgroup_id_y 1
		.amdhsa_system_sgpr_workgroup_id_z 1
		.amdhsa_system_sgpr_workgroup_info 0
		.amdhsa_system_vgpr_workitem_id 2
		.amdhsa_next_free_vgpr 108
		.amdhsa_next_free_sgpr 100
		.amdhsa_accum_offset 92
		.amdhsa_reserve_vcc 1
		.amdhsa_float_round_mode_32 0
		.amdhsa_float_round_mode_16_64 0
		.amdhsa_float_denorm_mode_32 3
		.amdhsa_float_denorm_mode_16_64 3
		.amdhsa_dx10_clamp 1
		.amdhsa_ieee_mode 1
		.amdhsa_fp16_overflow 0
		.amdhsa_tg_split 0
		.amdhsa_exception_fp_ieee_invalid_op 0
		.amdhsa_exception_fp_denorm_src 0
		.amdhsa_exception_fp_ieee_div_zero 0
		.amdhsa_exception_fp_ieee_overflow 0
		.amdhsa_exception_fp_ieee_underflow 0
		.amdhsa_exception_fp_ieee_inexact 0
		.amdhsa_exception_int_div_zero 0
	.end_amdhsa_kernel
	.section	.text._ZL9mul_mat_fI15__hip_bfloat162Li64ELi13ELi4ELb1EEvPKT_PKfPKiPfiiiiiiiiiiiiiiii,"axG",@progbits,_ZL9mul_mat_fI15__hip_bfloat162Li64ELi13ELi4ELb1EEvPKT_PKfPKiPfiiiiiiiiiiiiiiii,comdat
.Lfunc_end133:
	.size	_ZL9mul_mat_fI15__hip_bfloat162Li64ELi13ELi4ELb1EEvPKT_PKfPKiPfiiiiiiiiiiiiiiii, .Lfunc_end133-_ZL9mul_mat_fI15__hip_bfloat162Li64ELi13ELi4ELb1EEvPKT_PKfPKiPfiiiiiiiiiiiiiiii
                                        ; -- End function
	.set _ZL9mul_mat_fI15__hip_bfloat162Li64ELi13ELi4ELb1EEvPKT_PKfPKiPfiiiiiiiiiiiiiiii.num_vgpr, 92
	.set _ZL9mul_mat_fI15__hip_bfloat162Li64ELi13ELi4ELb1EEvPKT_PKfPKiPfiiiiiiiiiiiiiiii.num_agpr, 16
	.set _ZL9mul_mat_fI15__hip_bfloat162Li64ELi13ELi4ELb1EEvPKT_PKfPKiPfiiiiiiiiiiiiiiii.numbered_sgpr, 100
	.set _ZL9mul_mat_fI15__hip_bfloat162Li64ELi13ELi4ELb1EEvPKT_PKfPKiPfiiiiiiiiiiiiiiii.num_named_barrier, 0
	.set _ZL9mul_mat_fI15__hip_bfloat162Li64ELi13ELi4ELb1EEvPKT_PKfPKiPfiiiiiiiiiiiiiiii.private_seg_size, 0
	.set _ZL9mul_mat_fI15__hip_bfloat162Li64ELi13ELi4ELb1EEvPKT_PKfPKiPfiiiiiiiiiiiiiiii.uses_vcc, 1
	.set _ZL9mul_mat_fI15__hip_bfloat162Li64ELi13ELi4ELb1EEvPKT_PKfPKiPfiiiiiiiiiiiiiiii.uses_flat_scratch, 0
	.set _ZL9mul_mat_fI15__hip_bfloat162Li64ELi13ELi4ELb1EEvPKT_PKfPKiPfiiiiiiiiiiiiiiii.has_dyn_sized_stack, 0
	.set _ZL9mul_mat_fI15__hip_bfloat162Li64ELi13ELi4ELb1EEvPKT_PKfPKiPfiiiiiiiiiiiiiiii.has_recursion, 0
	.set _ZL9mul_mat_fI15__hip_bfloat162Li64ELi13ELi4ELb1EEvPKT_PKfPKiPfiiiiiiiiiiiiiiii.has_indirect_call, 0
	.section	.AMDGPU.csdata,"",@progbits
; Kernel info:
; codeLenInByte = 8616
; TotalNumSgprs: 106
; NumVgprs: 92
; NumAgprs: 16
; TotalNumVgprs: 108
; ScratchSize: 0
; MemoryBound: 0
; FloatMode: 240
; IeeeMode: 1
; LDSByteSize: 256 bytes/workgroup (compile time only)
; SGPRBlocks: 13
; VGPRBlocks: 13
; NumSGPRsForWavesPerEU: 106
; NumVGPRsForWavesPerEU: 108
; AccumOffset: 92
; Occupancy: 4
; WaveLimiterHint : 0
; COMPUTE_PGM_RSRC2:SCRATCH_EN: 0
; COMPUTE_PGM_RSRC2:USER_SGPR: 2
; COMPUTE_PGM_RSRC2:TRAP_HANDLER: 0
; COMPUTE_PGM_RSRC2:TGID_X_EN: 1
; COMPUTE_PGM_RSRC2:TGID_Y_EN: 1
; COMPUTE_PGM_RSRC2:TGID_Z_EN: 1
; COMPUTE_PGM_RSRC2:TIDIG_COMP_CNT: 2
; COMPUTE_PGM_RSRC3_GFX90A:ACCUM_OFFSET: 22
; COMPUTE_PGM_RSRC3_GFX90A:TG_SPLIT: 0
	.section	.text._ZL9mul_mat_fI15__hip_bfloat162Li64ELi13ELi4ELb0EEvPKT_PKfPKiPfiiiiiiiiiiiiiiii,"axG",@progbits,_ZL9mul_mat_fI15__hip_bfloat162Li64ELi13ELi4ELb0EEvPKT_PKfPKiPfiiiiiiiiiiiiiiii,comdat
	.globl	_ZL9mul_mat_fI15__hip_bfloat162Li64ELi13ELi4ELb0EEvPKT_PKfPKiPfiiiiiiiiiiiiiiii ; -- Begin function _ZL9mul_mat_fI15__hip_bfloat162Li64ELi13ELi4ELb0EEvPKT_PKfPKiPfiiiiiiiiiiiiiiii
	.p2align	8
	.type	_ZL9mul_mat_fI15__hip_bfloat162Li64ELi13ELi4ELb0EEvPKT_PKfPKiPfiiiiiiiiiiiiiiii,@function
_ZL9mul_mat_fI15__hip_bfloat162Li64ELi13ELi4ELb0EEvPKT_PKfPKiPfiiiiiiiiiiiiiiii: ; @_ZL9mul_mat_fI15__hip_bfloat162Li64ELi13ELi4ELb0EEvPKT_PKfPKiPfiiiiiiiiiiiiiiii
; %bb.0:
	s_load_dword s5, s[0:1], 0x20
	s_load_dwordx4 s[16:19], s[0:1], 0x2c
	v_bfe_u32 v82, v0, 10, 10
	v_lshlrev_b32_e32 v84, 6, v82
	v_and_b32_e32 v83, 0x3ff, v0
	v_add_u32_e32 v86, v84, v83
	s_waitcnt lgkmcnt(0)
	s_ashr_i32 s19, s4, 31
	v_cmp_le_i32_e32 vcc, s5, v86
	v_and_b32_e32 v85, 15, v83
	s_and_saveexec_b64 s[6:7], vcc
	s_xor_b64 s[6:7], exec, s[6:7]
; %bb.1:
	v_and_b32_e32 v85, 15, v83
                                        ; implicit-def: $vgpr86
; %bb.2:
	s_or_saveexec_b64 s[24:25], s[6:7]
	s_load_dwordx8 s[8:15], s[0:1], 0x40
	s_load_dwordx2 s[6:7], s[0:1], 0x18
	s_lshl_b32 s2, s2, 6
	v_mov_b32_e32 v1, 0
	v_accvgpr_write_b32 a0, 0
	v_accvgpr_write_b32 a1, 0
	;; [unrolled: 1-line block ×16, first 2 shown]
	s_xor_b64 exec, exec, s[24:25]
	s_cbranch_execz .LBB134_6
; %bb.3:
	s_waitcnt lgkmcnt(0)
	s_abs_i32 s26, s8
	v_cvt_f32_u32_e32 v0, s26
	s_abs_i32 s27, s12
	v_cvt_f32_u32_e32 v2, s27
	s_sub_i32 s20, 0, s26
	v_rcp_iflag_f32_e32 v0, v0
	s_abs_i32 s28, s3
	v_rcp_iflag_f32_e32 v2, v2
	s_sub_i32 s21, 0, s27
	v_mul_f32_e32 v0, 0x4f7ffffe, v0
	v_cvt_u32_f32_e32 v0, v0
	v_mul_f32_e32 v2, 0x4f7ffffe, v2
	v_cvt_u32_f32_e32 v2, v2
	s_abs_i32 s29, s4
	v_mul_lo_u32 v3, s20, v0
	v_mul_hi_u32 v3, v0, v3
	v_add_u32_e32 v0, v0, v3
	v_mul_hi_u32 v0, s28, v0
	v_mul_lo_u32 v4, s21, v2
	v_mul_lo_u32 v3, v0, s26
	v_mul_hi_u32 v4, v2, v4
	v_sub_u32_e32 v3, s28, v3
	v_add_u32_e32 v2, v2, v4
	v_subrev_u32_e32 v5, s26, v3
	v_cmp_le_u32_e32 vcc, s26, v3
	v_mul_hi_u32 v2, s29, v2
	v_add_u32_e32 v4, 1, v0
	v_cndmask_b32_e32 v3, v3, v5, vcc
	v_cndmask_b32_e32 v0, v0, v4, vcc
	v_cmp_le_u32_e32 vcc, s26, v3
	v_mul_lo_u32 v3, v2, s27
	s_load_dwordx4 s[20:23], s[0:1], 0x0
	s_ashr_i32 s0, s3, 31
	s_ashr_i32 s1, s8, 31
	v_add_u32_e32 v4, 1, v0
	v_sub_u32_e32 v3, s29, v3
	s_xor_b32 s0, s0, s1
	v_cndmask_b32_e32 v0, v0, v4, vcc
	v_add_u32_e32 v4, 1, v2
	v_subrev_u32_e32 v5, s27, v3
	v_cmp_le_u32_e32 vcc, s27, v3
	v_xor_b32_e32 v0, s0, v0
	s_ashr_i32 s8, s12, 31
	v_cndmask_b32_e32 v2, v2, v4, vcc
	v_cndmask_b32_e32 v3, v3, v5, vcc
	v_subrev_u32_e32 v0, s0, v0
	v_add_u32_e32 v4, 1, v2
	v_cmp_le_u32_e32 vcc, s27, v3
	s_xor_b32 s0, s19, s8
	s_mul_i32 s8, s14, s4
	v_cndmask_b32_e32 v2, v2, v4, vcc
	v_mul_lo_u32 v4, v0, s9
	s_mul_hi_i32 s9, s14, s4
	v_xor_b32_e32 v2, s0, v2
	s_lshl_b64 s[26:27], s[8:9], 2
	v_subrev_u32_e32 v2, s0, v2
	s_mul_i32 s0, s16, s2
	s_mul_i32 s28, s10, s3
	s_waitcnt lgkmcnt(0)
	s_add_u32 s8, s22, s26
	v_mul_hi_i32 v3, v2, s13
	v_mul_lo_u32 v2, v2, s13
	s_addc_u32 s9, s23, s27
	s_ashr_i32 s1, s0, 31
	s_ashr_i32 s29, s28, 31
	v_ashrrev_i32_e32 v5, 31, v4
	v_lshlrev_b64 v[6:7], 2, v[2:3]
	s_lshl_b64 s[12:13], s[0:1], 2
	s_lshl_b64 s[28:29], s[28:29], 2
	v_lshl_add_u64 v[2:3], s[20:21], 0, v[6:7]
	v_lshlrev_b64 v[4:5], 2, v[4:5]
	s_add_u32 s0, s8, s28
	s_movk_i32 s8, 0x1080
	v_lshrrev_b32_e32 v10, 1, v83
	v_lshl_add_u64 v[2:3], v[2:3], 0, v[4:5]
	v_mad_u32_u24 v0, v82, s8, 0
	v_lshlrev_b32_e32 v8, 2, v83
	v_mul_u32_u24_e32 v9, 0x108, v85
	v_and_b32_e32 v10, 0x1f8, v10
	v_lshl_add_u64 v[4:5], v[4:5], 0, s[12:13]
	s_addc_u32 s1, s9, s29
	v_add_u32_e32 v87, v0, v8
	v_add3_u32 v88, v0, v9, v10
	s_ashr_i32 s9, s16, 31
	s_mov_b32 s8, s16
	s_ashr_i32 s31, s17, 31
	s_mov_b32 s30, s17
	v_lshlrev_b32_e32 v0, 8, v82
	v_lshl_add_u64 v[4:5], v[4:5], 0, v[6:7]
	v_lshl_add_u64 v[2:3], v[2:3], 0, s[12:13]
	s_add_i32 s10, s16, s16
	s_add_i32 s14, s17, s17
	s_lshl_b32 s33, s17, 2
	s_lshl_b32 s37, s17, 3
	;; [unrolled: 1-line block ×6, first 2 shown]
	s_lshl_b64 s[8:9], s[8:9], 2
	s_lshl_b64 s[12:13], s[30:31], 3
	v_lshl_add_u64 v[4:5], v[4:5], 0, v[0:1]
	v_lshlrev_b32_e32 v0, 9, v82
	s_add_u32 s22, s22, s28
	v_mov_b32_e32 v9, v1
	v_lshl_add_u64 v[6:7], s[26:27], 0, v[0:1]
	v_lshlrev_b32_e32 v0, 3, v83
	s_addc_u32 s23, s23, s29
	v_lshl_add_u64 v[4:5], v[4:5], 0, v[8:9]
	v_lshl_add_u64 v[6:7], v[6:7], 0, v[0:1]
	s_mul_i32 s19, s17, 3
	s_mul_i32 s34, s17, 5
	;; [unrolled: 1-line block ×39, first 2 shown]
	v_lshl_add_u64 v[4:5], s[20:21], 0, v[4:5]
	s_mul_i32 s30, s16, 38
	s_mul_i32 s31, s16, 39
	;; [unrolled: 1-line block ×6, first 2 shown]
	v_lshl_add_u64 v[6:7], s[22:23], 0, v[6:7]
	s_mul_i32 s77, s16, 44
	s_mul_i32 s78, s16, 45
	v_accvgpr_write_b32 a15, 0
	v_accvgpr_write_b32 a14, 0
	;; [unrolled: 1-line block ×16, first 2 shown]
	s_mul_i32 s79, s16, 46
	s_mul_i32 s80, s16, 47
	;; [unrolled: 1-line block ×18, first 2 shown]
	s_mov_b64 s[16:17], 0
	s_mov_b64 s[20:21], 0x400
	;; [unrolled: 1-line block ×3, first 2 shown]
.LBB134_4:                              ; =>This Inner Loop Header: Depth=1
	v_add_u32_e32 v80, s10, v86
	v_add_u32_e32 v10, s42, v86
	;; [unrolled: 1-line block ×3, first 2 shown]
	v_lshl_add_u64 v[8:9], v[4:5], 0, s[8:9]
	v_add_u32_e32 v12, s44, v86
	v_add_u32_e32 v76, s45, v86
	v_ashrrev_i32_e32 v81, 31, v80
	v_ashrrev_i32_e32 v11, 31, v10
	v_ashrrev_i32_e32 v79, 31, v78
	v_add_u32_e32 v14, s46, v86
	v_add_u32_e32 v74, s47, v86
	global_load_dword v89, v[8:9], off
	v_lshl_add_u64 v[8:9], v[80:81], 2, v[2:3]
	v_lshl_add_u64 v[10:11], v[10:11], 2, v[2:3]
	v_lshl_add_u64 v[90:91], v[78:79], 2, v[2:3]
	v_ashrrev_i32_e32 v13, 31, v12
	v_ashrrev_i32_e32 v77, 31, v76
	v_add_u32_e32 v18, s48, v86
	v_add_u32_e32 v72, s49, v86
	global_load_dword v80, v[8:9], off
	global_load_dword v79, v[10:11], off
	;; [unrolled: 1-line block ×3, first 2 shown]
	v_lshl_add_u64 v[12:13], v[12:13], 2, v[2:3]
	v_lshl_add_u64 v[90:91], v[76:77], 2, v[2:3]
	v_ashrrev_i32_e32 v15, 31, v14
	v_ashrrev_i32_e32 v75, 31, v74
	v_add_u32_e32 v40, s50, v86
	v_add_u32_e32 v70, s51, v86
	global_load_dword v77, v[12:13], off
	global_load_dword v76, v[90:91], off
	v_lshl_add_u64 v[14:15], v[14:15], 2, v[2:3]
	v_lshl_add_u64 v[90:91], v[74:75], 2, v[2:3]
	v_ashrrev_i32_e32 v19, 31, v18
	v_ashrrev_i32_e32 v73, 31, v72
	v_add_u32_e32 v44, s52, v86
	v_add_u32_e32 v68, s53, v86
	global_load_dword v75, v[14:15], off
	global_load_dword v74, v[90:91], off
	;; [unrolled: 8-line block ×10, first 2 shown]
	v_lshl_add_u64 v[42:43], v[42:43], 2, v[2:3]
	v_lshl_add_u64 v[90:91], v[46:47], 2, v[2:3]
	v_ashrrev_i32_e32 v31, 31, v30
	v_ashrrev_i32_e32 v39, 31, v38
	v_add_u32_e32 v16, s70, v86
	v_add_u32_e32 v32, s71, v86
	;; [unrolled: 1-line block ×8, first 2 shown]
	global_load_dword v46, v[42:43], off
	global_load_dword v47, v[90:91], off
	v_lshl_add_u64 v[30:31], v[30:31], 2, v[2:3]
	v_lshl_add_u64 v[90:91], v[38:39], 2, v[2:3]
	v_ashrrev_i32_e32 v21, 31, v20
	v_ashrrev_i32_e32 v29, 31, v28
	v_add_u32_e32 v36, s28, v86
	v_add_u32_e32 v12, s75, v86
	;; [unrolled: 1-line block ×3, first 2 shown]
	global_load_dword v38, v[30:31], off
	global_load_dword v39, v[90:91], off
	v_lshl_add_u64 v[20:21], v[20:21], 2, v[2:3]
	v_lshl_add_u64 v[90:91], v[28:29], 2, v[2:3]
	v_ashrrev_i32_e32 v17, 31, v16
	v_ashrrev_i32_e32 v33, 31, v32
	;; [unrolled: 1-line block ×8, first 2 shown]
	v_add_u32_e32 v18, s26, v86
	v_add_u32_e32 v40, s27, v86
	global_load_dword v28, v[20:21], off
	global_load_dword v29, v[90:91], off
	v_lshl_add_u64 v[16:17], v[16:17], 2, v[2:3]
	v_lshl_add_u64 v[90:91], v[32:33], 2, v[2:3]
	;; [unrolled: 1-line block ×4, first 2 shown]
	v_ashrrev_i32_e32 v37, 31, v36
	v_lshl_add_u64 v[24:25], v[24:25], 2, v[2:3]
	v_lshl_add_u64 v[26:27], v[26:27], 2, v[2:3]
	;; [unrolled: 1-line block ×4, first 2 shown]
	v_ashrrev_i32_e32 v13, 31, v12
	v_ashrrev_i32_e32 v15, 31, v14
	v_add_u32_e32 v44, s77, v86
	v_add_u32_e32 v52, s78, v86
	global_load_dword v32, v[16:17], off
	global_load_dword v69, v[90:91], off
	;; [unrolled: 1-line block ×3, first 2 shown]
	s_nop 0
	global_load_dword v90, v[34:35], off
	v_lshl_add_u64 v[34:35], v[36:37], 2, v[2:3]
	global_load_dword v91, v[24:25], off
	global_load_dword v92, v[34:35], off
	s_nop 0
	global_load_dword v26, v[26:27], off
	s_nop 0
	global_load_dword v33, v[4:5], off
	global_load_dword v27, v[8:9], off
	;; [unrolled: 1-line block ×3, first 2 shown]
	s_nop 0
	global_load_dwordx2 v[8:9], v[6:7], off
	v_lshl_add_u64 v[10:11], v[12:13], 2, v[2:3]
	v_lshl_add_u64 v[12:13], v[14:15], 2, v[2:3]
	v_ashrrev_i32_e32 v19, 31, v18
	v_ashrrev_i32_e32 v41, 31, v40
	v_add_u32_e32 v56, s79, v86
	v_add_u32_e32 v60, s80, v86
	global_load_dword v94, v[10:11], off
	global_load_dword v95, v[12:13], off
	v_lshl_add_u64 v[12:13], v[18:19], 2, v[2:3]
	v_lshl_add_u64 v[14:15], v[40:41], 2, v[2:3]
	v_ashrrev_i32_e32 v45, 31, v44
	v_ashrrev_i32_e32 v53, 31, v52
	v_add_u32_e32 v54, s81, v86
	v_add_u32_e32 v48, s82, v86
	global_load_dword v96, v[12:13], off
	global_load_dword v97, v[14:15], off
	v_lshl_add_u64 v[14:15], v[44:45], 2, v[2:3]
	v_lshl_add_u64 v[18:19], v[52:53], 2, v[2:3]
	v_ashrrev_i32_e32 v57, 31, v56
	v_ashrrev_i32_e32 v61, 31, v60
	v_add_u32_e32 v42, s83, v86
	v_add_u32_e32 v30, s84, v86
	;; [unrolled: 1-line block ×4, first 2 shown]
	global_load_dword v44, v[14:15], off
	global_load_dword v45, v[18:19], off
	v_lshl_add_u64 v[18:19], v[56:57], 2, v[2:3]
	v_lshl_add_u64 v[34:35], v[60:61], 2, v[2:3]
	v_ashrrev_i32_e32 v55, 31, v54
	v_ashrrev_i32_e32 v49, 31, v48
	v_add_u32_e32 v22, s87, v86
	v_add_u32_e32 v10, s89, v86
	;; [unrolled: 1-line block ×3, first 2 shown]
	global_load_dword v52, v[18:19], off
	global_load_dword v53, v[34:35], off
	v_lshl_add_u64 v[34:35], v[54:55], 2, v[2:3]
	v_lshl_add_u64 v[36:37], v[48:49], 2, v[2:3]
	v_ashrrev_i32_e32 v43, 31, v42
	v_ashrrev_i32_e32 v31, 31, v30
	;; [unrolled: 1-line block ×4, first 2 shown]
	v_add_u32_e32 v24, s88, v86
	v_add_u32_e32 v14, s91, v86
	;; [unrolled: 1-line block ×3, first 2 shown]
	global_load_dword v56, v[34:35], off
	global_load_dword v57, v[36:37], off
	v_lshl_add_u64 v[36:37], v[42:43], 2, v[2:3]
	v_lshl_add_u64 v[30:31], v[30:31], 2, v[2:3]
	;; [unrolled: 1-line block ×4, first 2 shown]
	v_ashrrev_i32_e32 v23, 31, v22
	v_ashrrev_i32_e32 v11, 31, v10
	v_ashrrev_i32_e32 v13, 31, v12
	v_add_u32_e32 v34, s93, v86
	global_load_dword v42, v[36:37], off
	global_load_dword v43, v[30:31], off
	v_add_u32_e32 v30, s94, v86
	global_load_dword v98, v[20:21], off
	global_load_dword v99, v[16:17], off
	v_add_u32_e32 v16, s95, v86
	v_ashrrev_i32_e32 v25, 31, v24
	v_lshl_add_u64 v[20:21], v[22:23], 2, v[2:3]
	v_lshl_add_u64 v[10:11], v[10:11], 2, v[2:3]
	;; [unrolled: 1-line block ×3, first 2 shown]
	v_ashrrev_i32_e32 v15, 31, v14
	v_ashrrev_i32_e32 v19, 31, v18
	v_lshl_add_u64 v[22:23], v[24:25], 2, v[2:3]
	global_load_dword v100, v[20:21], off
	global_load_dword v101, v[22:23], off
	v_add_u32_e32 v20, s96, v86
	global_load_dword v102, v[10:11], off
	global_load_dword v103, v[12:13], off
	v_lshl_add_u64 v[12:13], v[14:15], 2, v[2:3]
	v_lshl_add_u64 v[14:15], v[18:19], 2, v[2:3]
	v_ashrrev_i32_e32 v35, 31, v34
	v_ashrrev_i32_e32 v31, 31, v30
	;; [unrolled: 1-line block ×3, first 2 shown]
	v_lshl_add_u64 v[10:11], v[6:7], 0, s[12:13]
	global_load_dword v104, v[12:13], off
	global_load_dword v105, v[14:15], off
	v_lshl_add_u64 v[14:15], v[34:35], 2, v[2:3]
	v_lshl_add_u64 v[18:19], v[30:31], 2, v[2:3]
	v_ashrrev_i32_e32 v21, 31, v20
	v_lshl_add_u64 v[16:17], v[16:17], 2, v[2:3]
	global_load_dword v106, v[14:15], off
	global_load_dword v107, v[18:19], off
	v_lshl_add_u64 v[18:19], v[20:21], 2, v[2:3]
	global_load_dword v108, v[16:17], off
	global_load_dword v109, v[18:19], off
	v_add_u32_e32 v12, s14, v86
	global_load_dwordx2 v[10:11], v[10:11], off
	v_add_u32_e32 v14, s19, v86
	v_add_u32_e32 v16, s33, v86
	s_waitcnt vmcnt(25)
	v_cvt_pk_bf16_f32 v110, v8, v9
	v_add_u32_e32 v8, s34, v86
	ds_write_b32 v87, v89 offset:264
	v_add_u32_e32 v18, s36, v86
	v_add_u32_e32 v20, s37, v86
	;; [unrolled: 1-line block ×6, first 2 shown]
	v_ashrrev_i32_e32 v13, 31, v12
	v_ashrrev_i32_e32 v15, 31, v14
	;; [unrolled: 1-line block ×10, first 2 shown]
	ds_write_b32 v87, v33
	ds_write_b32 v87, v80 offset:528
	ds_write_b32 v87, v79 offset:792
	;; [unrolled: 1-line block ×12, first 2 shown]
	v_lshl_add_u64 v[12:13], v[12:13], 3, s[0:1]
	v_lshl_add_u64 v[14:15], v[14:15], 3, s[0:1]
	;; [unrolled: 1-line block ×10, first 2 shown]
	v_accvgpr_mov_b32 a17, a3
	v_accvgpr_mov_b32 a16, a2
	v_lshl_add_u64 v[4:5], v[4:5], 0, s[20:21]
	v_lshl_add_u64 v[6:7], v[6:7], 0, s[22:23]
	s_waitcnt vmcnt(0)
	v_cvt_pk_bf16_f32 v89, v10, v11
	v_add_u32_e32 v10, s35, v86
	v_ashrrev_i32_e32 v11, 31, v10
	v_lshl_add_u64 v[10:11], v[10:11], 3, s[0:1]
	global_load_dwordx2 v[12:13], v[12:13], off
	s_nop 0
	global_load_dwordx2 v[14:15], v[14:15], off
	s_nop 0
	;; [unrolled: 2-line block ×10, first 2 shown]
	global_load_dwordx2 v[34:35], v[34:35], off
	ds_write_b32 v87, v0 offset:3696
	ds_write_b32 v87, v67 offset:3960
	v_add_u32_e32 v86, 0x100, v86
	v_cmp_le_i32_e32 vcc, s5, v86
	s_or_b64 s[16:17], vcc, s[16:17]
	s_waitcnt vmcnt(10)
	v_cvt_pk_bf16_f32 v0, v12, v13
	s_waitcnt vmcnt(9)
	v_cvt_pk_bf16_f32 v72, v14, v15
	;; [unrolled: 2-line block ×9, first 2 shown]
	ds_read_b64 v[54:55], v88
	ds_read_b64 v[40:41], v88 offset:32
	ds_read_b64 v[36:37], v88 offset:64
	;; [unrolled: 1-line block ×7, first 2 shown]
	ds_write_b32 v87, v66
	ds_write_b32 v87, v64 offset:264
	ds_write_b32 v87, v65 offset:528
	;; [unrolled: 1-line block ×15, first 2 shown]
	s_waitcnt vmcnt(0)
	v_cvt_pk_bf16_f32 v111, v34, v35
	ds_read_b64 v[62:63], v88
	ds_read_b64 v[50:51], v88 offset:32
	ds_read_b64 v[48:49], v88 offset:64
	;; [unrolled: 1-line block ×7, first 2 shown]
	ds_write_b32 v87, v69
	ds_write_b32 v87, v81 offset:264
	ds_write_b32 v87, v90 offset:528
	;; [unrolled: 1-line block ×15, first 2 shown]
	v_cvt_pk_bf16_f32 v80, v30, v31
	ds_read_b64 v[68:69], v88
	ds_read_b64 v[60:61], v88 offset:32
	ds_read_b64 v[58:59], v88 offset:64
	;; [unrolled: 1-line block ×7, first 2 shown]
	ds_write_b32 v87, v56
	ds_write_b32 v87, v57 offset:264
	ds_write_b32 v87, v42 offset:528
	;; [unrolled: 1-line block ×15, first 2 shown]
	ds_read_b64 v[70:71], v88
	ds_read_b64 v[66:67], v88 offset:32
	ds_read_b64 v[64:65], v88 offset:64
	;; [unrolled: 1-line block ×7, first 2 shown]
	ds_write_b32 v87, v110
	ds_write_b32 v87, v89 offset:264
	ds_write_b32 v87, v0 offset:528
	;; [unrolled: 1-line block ×15, first 2 shown]
	ds_read_b64 v[72:73], v88
	v_accvgpr_read_b32 v91, a9
	v_accvgpr_read_b32 v90, a8
	;; [unrolled: 1-line block ×4, first 2 shown]
	v_accvgpr_mov_b32 a6, a12
	v_accvgpr_mov_b32 a7, a13
	;; [unrolled: 1-line block ×4, first 2 shown]
	v_accvgpr_read_b32 v94, a4
	v_accvgpr_read_b32 v95, a5
	s_waitcnt lgkmcnt(0)
	v_mfma_f32_16x16x16_bf16 a[6:9], v[54:55], v[72:73], a[6:9]
	ds_read_b64 v[54:55], v88 offset:32
	v_accvgpr_write_b32 a2, v94
	v_accvgpr_read_b32 v93, a11
	v_accvgpr_read_b32 v92, a10
	v_accvgpr_write_b32 a10, v90
	v_accvgpr_write_b32 a3, v95
	;; [unrolled: 1-line block ×4, first 2 shown]
	s_waitcnt lgkmcnt(0)
	v_mfma_f32_16x16x16_bf16 a[6:9], v[40:41], v[54:55], a[6:9]
	ds_read_b64 v[40:41], v88 offset:64
	v_accvgpr_write_b32 a11, v91
	v_accvgpr_write_b32 a12, v92
	;; [unrolled: 1-line block ×3, first 2 shown]
	v_mfma_f32_16x16x16_bf16 a[2:5], v[68:69], v[72:73], a[2:5]
	v_accvgpr_mov_b32 a15, a1
	v_accvgpr_mov_b32 a14, a0
	v_mfma_f32_16x16x16_bf16 a[10:13], v[62:63], v[72:73], a[10:13]
	s_nop 0
	v_mfma_f32_16x16x16_bf16 a[14:17], v[70:71], v[72:73], a[14:17]
	v_mfma_f32_16x16x16_bf16 a[0:3], v[60:61], v[54:55], a[2:5]
	s_waitcnt lgkmcnt(0)
	v_mfma_f32_16x16x16_bf16 a[4:7], v[36:37], v[40:41], a[6:9]
	ds_read_b64 v[36:37], v88 offset:96
	v_mfma_f32_16x16x16_bf16 a[10:13], v[50:51], v[54:55], a[10:13]
	v_mfma_f32_16x16x16_bf16 a[14:17], v[66:67], v[54:55], a[14:17]
	;; [unrolled: 1-line block ×5, first 2 shown]
	s_waitcnt lgkmcnt(0)
	v_mfma_f32_16x16x16_bf16 a[4:7], v[24:25], v[36:37], a[4:7]
	ds_read_b64 v[24:25], v88 offset:128
	v_mfma_f32_16x16x16_bf16 a[8:11], v[34:35], v[36:37], a[8:11]
	v_mfma_f32_16x16x16_bf16 a[0:3], v[46:47], v[36:37], a[0:3]
	v_mfma_f32_16x16x16_bf16 a[12:15], v[56:57], v[36:37], a[12:15]
	s_waitcnt lgkmcnt(0)
	v_mfma_f32_16x16x16_bf16 a[4:7], v[22:23], v[24:25], a[4:7]
	ds_read_b64 v[22:23], v88 offset:160
	v_mfma_f32_16x16x16_bf16 a[8:11], v[32:33], v[24:25], a[8:11]
	v_mfma_f32_16x16x16_bf16 a[0:3], v[44:45], v[24:25], a[0:3]
	v_mfma_f32_16x16x16_bf16 a[12:15], v[52:53], v[24:25], a[12:15]
	;; [unrolled: 6-line block ×4, first 2 shown]
	s_waitcnt lgkmcnt(0)
	v_mfma_f32_16x16x16_bf16 a[12:15], v[8:9], v[10:11], a[4:7]
	v_mfma_f32_16x16x16_bf16 a[8:11], v[12:13], v[10:11], a[8:11]
	;; [unrolled: 1-line block ×4, first 2 shown]
	s_andn2_b64 exec, exec, s[16:17]
	s_cbranch_execnz .LBB134_4
; %bb.5:
	s_or_b64 exec, exec, s[16:17]
.LBB134_6:
	s_or_b64 exec, exec, s[24:25]
	v_lshl_add_u32 v0, v84, 2, 0
	v_mul_u32_u24_e32 v1, 0x408, v85
	v_and_b32_e32 v2, 0x3f0, v83
	v_add3_u32 v0, v0, v1, v2
	v_accvgpr_read_b32 v1, a13
	v_accvgpr_read_b32 v2, a12
	s_waitcnt lgkmcnt(0)
	s_barrier
	ds_write2_b32 v0, v2, v1 offset1:1
	v_accvgpr_read_b32 v1, a15
	v_accvgpr_read_b32 v2, a14
	ds_write2_b32 v0, v2, v1 offset0:2 offset1:3
	v_accvgpr_read_b32 v1, a9
	v_accvgpr_read_b32 v2, a8
	ds_write2_b32 v0, v2, v1 offset0:16 offset1:17
	v_accvgpr_read_b32 v1, a11
	v_accvgpr_read_b32 v2, a10
	s_mul_hi_i32 s1, s15, s4
	s_mul_i32 s0, s15, s4
	ds_write2_b32 v0, v2, v1 offset0:18 offset1:19
	v_accvgpr_read_b32 v1, a5
	v_accvgpr_read_b32 v2, a4
	s_lshl_b64 s[0:1], s[0:1], 2
	ds_write2_b32 v0, v2, v1 offset0:32 offset1:33
	v_accvgpr_read_b32 v1, a7
	v_accvgpr_read_b32 v2, a6
	s_mul_i32 s4, s11, s3
	s_add_u32 s3, s6, s0
	ds_write2_b32 v0, v2, v1 offset0:34 offset1:35
	v_accvgpr_read_b32 v1, a1
	v_accvgpr_read_b32 v2, a0
	s_addc_u32 s6, s7, s1
	s_ashr_i32 s5, s4, 31
	ds_write2_b32 v0, v2, v1 offset0:48 offset1:49
	v_accvgpr_read_b32 v1, a3
	v_accvgpr_read_b32 v2, a2
	s_lshl_b64 s[0:1], s[4:5], 2
	s_movk_i32 s4, 0x408
	ds_write2_b32 v0, v2, v1 offset0:50 offset1:51
	v_lshl_add_u32 v1, v83, 2, 0
	v_mad_u32_u24 v10, v82, s4, v1
	s_waitcnt lgkmcnt(0)
	s_barrier
	ds_read2st64_b32 v[2:3], v10 offset1:1
	ds_read2st64_b32 v[4:5], v10 offset0:2 offset1:3
	v_add_u32_e32 v6, 32, v10
	v_add_u32_e32 v0, s2, v83
	s_add_u32 s0, s3, s0
	s_waitcnt lgkmcnt(1)
	v_add_f32_e32 v2, 0, v2
	v_add_f32_e32 v2, v2, v3
	s_waitcnt lgkmcnt(0)
	v_add_f32_e32 v2, v2, v4
	v_add_f32_e32 v11, v2, v5
	ds_read2st64_b32 v[4:5], v6 offset0:16 offset1:17
	ds_read2st64_b32 v[6:7], v6 offset0:18 offset1:19
	v_mad_u64_u32 v[2:3], s[2:3], v82, s18, v[0:1]
	s_addc_u32 s1, s6, s1
	s_waitcnt lgkmcnt(1)
	v_add_f32_e32 v4, 0, v4
	v_mov_b32_e32 v3, 0
	v_add_f32_e32 v4, v4, v5
	v_lshl_add_u64 v[8:9], v[2:3], 2, s[0:1]
	s_waitcnt lgkmcnt(0)
	v_add_f32_e32 v4, v4, v6
	v_add_u32_e32 v6, 64, v10
	global_store_dword v[8:9], v11, off
	v_add_f32_e32 v11, v4, v7
	ds_read2st64_b32 v[4:5], v6 offset0:32 offset1:33
	ds_read2st64_b32 v[6:7], v6 offset0:34 offset1:35
	s_lshl_b32 s2, s18, 2
	v_add_u32_e32 v2, s2, v2
	v_lshl_add_u64 v[8:9], v[2:3], 2, s[0:1]
	s_waitcnt lgkmcnt(1)
	v_add_f32_e32 v4, 0, v4
	v_add_f32_e32 v4, v4, v5
	s_waitcnt lgkmcnt(0)
	v_add_f32_e32 v4, v4, v6
	v_add_u32_e32 v2, s2, v2
	v_add_f32_e32 v6, v4, v7
	v_lshl_add_u64 v[4:5], v[2:3], 2, s[0:1]
	v_cmp_eq_u32_e32 vcc, 0, v82
	global_store_dword v[8:9], v11, off
	global_store_dword v[4:5], v6, off
	s_and_saveexec_b64 s[2:3], vcc
	s_cbranch_execz .LBB134_8
; %bb.7:
	v_add_u32_e32 v1, 0x60, v1
	ds_read2st64_b32 v[4:5], v1 offset0:48 offset1:49
	ds_read2st64_b32 v[6:7], v1 offset0:50 offset1:51
	v_mad_u64_u32 v[0:1], s[2:3], s18, 12, v[0:1]
	v_mov_b32_e32 v1, v3
	s_waitcnt lgkmcnt(1)
	v_add_f32_e32 v2, 0, v4
	v_add_f32_e32 v2, v2, v5
	s_waitcnt lgkmcnt(0)
	v_add_f32_e32 v2, v2, v6
	v_add_f32_e32 v2, v2, v7
	v_lshl_add_u64 v[0:1], v[0:1], 2, s[0:1]
	global_store_dword v[0:1], v2, off
.LBB134_8:
	s_endpgm
	.section	.rodata,"a",@progbits
	.p2align	6, 0x0
	.amdhsa_kernel _ZL9mul_mat_fI15__hip_bfloat162Li64ELi13ELi4ELb0EEvPKT_PKfPKiPfiiiiiiiiiiiiiiii
		.amdhsa_group_segment_fixed_size 0
		.amdhsa_private_segment_fixed_size 0
		.amdhsa_kernarg_size 96
		.amdhsa_user_sgpr_count 2
		.amdhsa_user_sgpr_dispatch_ptr 0
		.amdhsa_user_sgpr_queue_ptr 0
		.amdhsa_user_sgpr_kernarg_segment_ptr 1
		.amdhsa_user_sgpr_dispatch_id 0
		.amdhsa_user_sgpr_kernarg_preload_length 0
		.amdhsa_user_sgpr_kernarg_preload_offset 0
		.amdhsa_user_sgpr_private_segment_size 0
		.amdhsa_uses_dynamic_stack 0
		.amdhsa_enable_private_segment 0
		.amdhsa_system_sgpr_workgroup_id_x 1
		.amdhsa_system_sgpr_workgroup_id_y 1
		.amdhsa_system_sgpr_workgroup_id_z 1
		.amdhsa_system_sgpr_workgroup_info 0
		.amdhsa_system_vgpr_workitem_id 1
		.amdhsa_next_free_vgpr 132
		.amdhsa_next_free_sgpr 97
		.amdhsa_accum_offset 112
		.amdhsa_reserve_vcc 1
		.amdhsa_float_round_mode_32 0
		.amdhsa_float_round_mode_16_64 0
		.amdhsa_float_denorm_mode_32 3
		.amdhsa_float_denorm_mode_16_64 3
		.amdhsa_dx10_clamp 1
		.amdhsa_ieee_mode 1
		.amdhsa_fp16_overflow 0
		.amdhsa_tg_split 0
		.amdhsa_exception_fp_ieee_invalid_op 0
		.amdhsa_exception_fp_denorm_src 0
		.amdhsa_exception_fp_ieee_div_zero 0
		.amdhsa_exception_fp_ieee_overflow 0
		.amdhsa_exception_fp_ieee_underflow 0
		.amdhsa_exception_fp_ieee_inexact 0
		.amdhsa_exception_int_div_zero 0
	.end_amdhsa_kernel
	.section	.text._ZL9mul_mat_fI15__hip_bfloat162Li64ELi13ELi4ELb0EEvPKT_PKfPKiPfiiiiiiiiiiiiiiii,"axG",@progbits,_ZL9mul_mat_fI15__hip_bfloat162Li64ELi13ELi4ELb0EEvPKT_PKfPKiPfiiiiiiiiiiiiiiii,comdat
.Lfunc_end134:
	.size	_ZL9mul_mat_fI15__hip_bfloat162Li64ELi13ELi4ELb0EEvPKT_PKfPKiPfiiiiiiiiiiiiiiii, .Lfunc_end134-_ZL9mul_mat_fI15__hip_bfloat162Li64ELi13ELi4ELb0EEvPKT_PKfPKiPfiiiiiiiiiiiiiiii
                                        ; -- End function
	.set _ZL9mul_mat_fI15__hip_bfloat162Li64ELi13ELi4ELb0EEvPKT_PKfPKiPfiiiiiiiiiiiiiiii.num_vgpr, 112
	.set _ZL9mul_mat_fI15__hip_bfloat162Li64ELi13ELi4ELb0EEvPKT_PKfPKiPfiiiiiiiiiiiiiiii.num_agpr, 20
	.set _ZL9mul_mat_fI15__hip_bfloat162Li64ELi13ELi4ELb0EEvPKT_PKfPKiPfiiiiiiiiiiiiiiii.numbered_sgpr, 97
	.set _ZL9mul_mat_fI15__hip_bfloat162Li64ELi13ELi4ELb0EEvPKT_PKfPKiPfiiiiiiiiiiiiiiii.num_named_barrier, 0
	.set _ZL9mul_mat_fI15__hip_bfloat162Li64ELi13ELi4ELb0EEvPKT_PKfPKiPfiiiiiiiiiiiiiiii.private_seg_size, 0
	.set _ZL9mul_mat_fI15__hip_bfloat162Li64ELi13ELi4ELb0EEvPKT_PKfPKiPfiiiiiiiiiiiiiiii.uses_vcc, 1
	.set _ZL9mul_mat_fI15__hip_bfloat162Li64ELi13ELi4ELb0EEvPKT_PKfPKiPfiiiiiiiiiiiiiiii.uses_flat_scratch, 0
	.set _ZL9mul_mat_fI15__hip_bfloat162Li64ELi13ELi4ELb0EEvPKT_PKfPKiPfiiiiiiiiiiiiiiii.has_dyn_sized_stack, 0
	.set _ZL9mul_mat_fI15__hip_bfloat162Li64ELi13ELi4ELb0EEvPKT_PKfPKiPfiiiiiiiiiiiiiiii.has_recursion, 0
	.set _ZL9mul_mat_fI15__hip_bfloat162Li64ELi13ELi4ELb0EEvPKT_PKfPKiPfiiiiiiiiiiiiiiii.has_indirect_call, 0
	.section	.AMDGPU.csdata,"",@progbits
; Kernel info:
; codeLenInByte = 5276
; TotalNumSgprs: 103
; NumVgprs: 112
; NumAgprs: 20
; TotalNumVgprs: 132
; ScratchSize: 0
; MemoryBound: 0
; FloatMode: 240
; IeeeMode: 1
; LDSByteSize: 0 bytes/workgroup (compile time only)
; SGPRBlocks: 12
; VGPRBlocks: 16
; NumSGPRsForWavesPerEU: 103
; NumVGPRsForWavesPerEU: 132
; AccumOffset: 112
; Occupancy: 3
; WaveLimiterHint : 0
; COMPUTE_PGM_RSRC2:SCRATCH_EN: 0
; COMPUTE_PGM_RSRC2:USER_SGPR: 2
; COMPUTE_PGM_RSRC2:TRAP_HANDLER: 0
; COMPUTE_PGM_RSRC2:TGID_X_EN: 1
; COMPUTE_PGM_RSRC2:TGID_Y_EN: 1
; COMPUTE_PGM_RSRC2:TGID_Z_EN: 1
; COMPUTE_PGM_RSRC2:TIDIG_COMP_CNT: 1
; COMPUTE_PGM_RSRC3_GFX90A:ACCUM_OFFSET: 27
; COMPUTE_PGM_RSRC3_GFX90A:TG_SPLIT: 0
	.section	.text._ZL13mul_mat_f_idsI15__hip_bfloat162Li64ELi13ELi5EEvPKT_PKfPKiS7_S7_Pfiiiiiiiiiiiiii15HIP_vector_typeIjLj3EESA_,"axG",@progbits,_ZL13mul_mat_f_idsI15__hip_bfloat162Li64ELi13ELi5EEvPKT_PKfPKiS7_S7_Pfiiiiiiiiiiiiii15HIP_vector_typeIjLj3EESA_,comdat
	.globl	_ZL13mul_mat_f_idsI15__hip_bfloat162Li64ELi13ELi5EEvPKT_PKfPKiS7_S7_Pfiiiiiiiiiiiiii15HIP_vector_typeIjLj3EESA_ ; -- Begin function _ZL13mul_mat_f_idsI15__hip_bfloat162Li64ELi13ELi5EEvPKT_PKfPKiS7_S7_Pfiiiiiiiiiiiiii15HIP_vector_typeIjLj3EESA_
	.p2align	8
	.type	_ZL13mul_mat_f_idsI15__hip_bfloat162Li64ELi13ELi5EEvPKT_PKfPKiS7_S7_Pfiiiiiiiiiiiiii15HIP_vector_typeIjLj3EESA_,@function
_ZL13mul_mat_f_idsI15__hip_bfloat162Li64ELi13ELi5EEvPKT_PKfPKiS7_S7_Pfiiiiiiiiiiiiii15HIP_vector_typeIjLj3EESA_: ; @_ZL13mul_mat_f_idsI15__hip_bfloat162Li64ELi13ELi5EEvPKT_PKfPKiS7_S7_Pfiiiiiiiiiiiiii15HIP_vector_typeIjLj3EESA_
; %bb.0:
	s_load_dwordx2 s[6:7], s[0:1], 0x20
	s_mov_b32 s34, s3
	s_ashr_i32 s35, s3, 31
	s_lshl_b64 s[8:9], s[34:35], 2
	s_waitcnt lgkmcnt(0)
	s_add_u32 s6, s6, s8
	s_addc_u32 s7, s7, s9
	s_load_dwordx2 s[30:31], s[6:7], 0x0
	s_waitcnt lgkmcnt(0)
	s_sub_i32 s26, s31, s30
	s_add_i32 s3, s26, 12
	s_mul_hi_i32 s3, s3, 0x4ec4ec4f
	s_lshr_b32 s5, s3, 31
	s_ashr_i32 s3, s3, 2
	s_add_i32 s3, s3, s5
	s_cmp_ge_i32 s4, s3
	s_cbranch_scc1 .LBB135_56
; %bb.1:
	v_bfe_u32 v16, v0, 10, 10
	v_lshlrev_b32_e32 v86, 6, v16
	v_and_b32_e32 v17, 0x3ff, v0
	s_load_dwordx4 s[12:15], s[0:1], 0x30
	s_load_dwordx2 s[20:21], s[0:1], 0x40
	s_load_dwordx4 s[8:11], s[0:1], 0x4c
	s_load_dwordx4 s[16:19], s[0:1], 0x68
	s_load_dwordx2 s[24:25], s[0:1], 0x78
	v_add_u32_e32 v88, v86, v17
	s_ashr_i32 s31, s30, 31
	s_waitcnt lgkmcnt(0)
	v_cmp_le_i32_e32 vcc, s12, v88
	v_and_b32_e32 v87, 15, v17
	s_and_saveexec_b64 s[6:7], vcc
	s_xor_b64 s[6:7], exec, s[6:7]
; %bb.2:
	v_and_b32_e32 v87, 15, v17
                                        ; implicit-def: $vgpr88
; %bb.3:
	s_or_saveexec_b64 s[36:37], s[6:7]
	s_load_dwordx2 s[22:23], s[0:1], 0x18
	s_load_dwordx2 s[6:7], s[0:1], 0x28
                                        ; implicit-def: $vgpr118 : SGPR spill to VGPR lane
	v_mov_b32_e32 v15, 0
	s_lshl_b32 s11, s2, 6
	s_mul_i32 s28, s4, 13
	v_mov_b32_e32 v14, v15
	s_waitcnt lgkmcnt(0)
	v_writelane_b32 v118, s6, 0
	v_mov_b32_e32 v13, v15
	v_mov_b32_e32 v12, v15
	;; [unrolled: 1-line block ×14, first 2 shown]
	v_writelane_b32 v118, s7, 1
	s_xor_b64 exec, exec, s[36:37]
	s_cbranch_execz .LBB135_46
; %bb.4:
	s_load_dwordx4 s[4:7], s[0:1], 0x0
	s_load_dwordx2 s[2:3], s[0:1], 0x10
	v_writelane_b32 v118, s36, 2
	s_mul_i32 s0, s8, s34
	s_ashr_i32 s1, s0, 31
	v_writelane_b32 v118, s37, 3
	v_writelane_b32 v118, s22, 4
	s_lshl_b64 s[64:65], s[0:1], 2
	s_waitcnt lgkmcnt(0)
	s_add_u32 s0, s4, s64
	v_writelane_b32 v118, s23, 5
	s_mul_i32 s22, s15, s11
	v_writelane_b32 v118, s24, 6
	s_addc_u32 s1, s5, s65
	s_ashr_i32 s23, s22, 31
	v_writelane_b32 v118, s25, 7
	s_lshl_b64 s[66:67], s[22:23], 2
	v_writelane_b32 v118, s11, 8
	s_add_u32 s0, s0, s66
	s_addc_u32 s1, s1, s67
	v_writelane_b32 v118, s30, 9
	s_lshl_b64 s[22:23], s[30:31], 2
	s_add_u32 s8, s2, s22
	s_addc_u32 s11, s3, s23
	s_movk_i32 s2, 0x1080
	s_cmp_lt_i32 s28, s26
	v_writelane_b32 v118, s31, 10
	v_mad_u32_u24 v1, v16, s2, 0
	s_cselect_b64 s[2:3], -1, 0
	v_writelane_b32 v118, s2, 11
	s_ashr_i32 s29, s28, 31
	s_mov_b32 s22, s15
	v_writelane_b32 v118, s3, 12
	s_lshl_b64 s[2:3], s[28:29], 2
	s_add_u32 s36, s8, s2
	s_addc_u32 s37, s11, s3
	s_add_i32 s2, s28, 1
	s_cmp_lt_i32 s2, s26
	s_cselect_b64 s[2:3], -1, 0
	v_writelane_b32 v118, s2, 13
	v_lshrrev_b32_e32 v3, 1, v17
	v_mov_b32_e32 v19, 0
	v_writelane_b32 v118, s3, 14
	s_add_i32 s2, s28, 2
	s_cmp_lt_i32 s2, s26
	s_cselect_b64 s[2:3], -1, 0
	v_writelane_b32 v118, s2, 15
	v_lshlrev_b32_e32 v0, 2, v17
	v_mul_u32_u24_e32 v2, 0x108, v87
	v_writelane_b32 v118, s3, 16
	s_add_i32 s2, s28, 3
	s_cmp_lt_i32 s2, s26
	s_cselect_b64 s[2:3], -1, 0
	v_writelane_b32 v118, s2, 17
	v_and_b32_e32 v3, 0x1f8, v3
	v_lshlrev_b32_e32 v18, 8, v16
	v_writelane_b32 v118, s3, 18
	s_add_i32 s2, s28, 4
	s_cmp_lt_i32 s2, s26
	s_cselect_b64 s[2:3], -1, 0
	v_writelane_b32 v118, s2, 19
	v_add_u32_e32 v89, v1, v0
	v_add3_u32 v90, v1, v2, v3
	v_writelane_b32 v118, s3, 20
	s_add_i32 s2, s28, 5
	s_cmp_lt_i32 s2, s26
	s_cselect_b64 s[2:3], -1, 0
	v_writelane_b32 v118, s2, 21
	v_mov_b32_e32 v1, v19
	s_mul_i32 s8, s15, 3
	v_writelane_b32 v118, s3, 22
	s_add_i32 s2, s28, 6
	s_cmp_lt_i32 s2, s26
	s_cselect_b64 s[48:49], -1, 0
	s_add_i32 s2, s28, 7
	s_cmp_lt_i32 s2, s26
	s_cselect_b64 s[50:51], -1, 0
	;; [unrolled: 3-line block ×5, first 2 shown]
	s_add_i32 s2, s28, 11
	s_cmp_lt_i32 s2, s26
	s_mov_b32 s2, s28
	v_writelane_b32 v118, s2, 23
	s_cselect_b64 s[58:59], -1, 0
	s_mul_i32 s69, s15, 5
	v_writelane_b32 v118, s3, 24
	s_add_i32 s2, s28, 12
	s_cmp_lt_i32 s2, s26
	s_cselect_b64 s[60:61], -1, 0
	s_ashr_i32 s23, s15, 31
	s_add_i32 s3, s15, s15
	s_lshl_b32 s68, s15, 2
	s_lshl_b32 s72, s15, 3
	;; [unrolled: 1-line block ×4, first 2 shown]
	s_lshl_b64 s[62:63], s[22:23], 2
	s_add_u32 s22, s64, s66
	s_addc_u32 s23, s65, s67
	v_lshl_add_u64 v[2:3], s[22:23], 0, v[18:19]
	v_lshl_add_u64 v[0:1], v[2:3], 0, v[0:1]
	v_writelane_b32 v118, s26, 25
	s_mul_i32 s70, s15, 6
	s_mul_i32 s71, s15, 7
	;; [unrolled: 1-line block ×21, first 2 shown]
	v_lshl_add_u64 v[20:21], s[4:5], 0, v[0:1]
	v_mov_b32_e32 v8, 0
	v_mov_b32_e32 v9, v19
	v_mov_b32_e32 v10, v19
	v_mov_b32_e32 v11, v19
	v_mov_b32_e32 v0, 0
	v_mov_b32_e32 v1, v19
	v_mov_b32_e32 v2, v19
	v_mov_b32_e32 v3, v19
	v_mov_b32_e32 v4, 0
	v_mov_b32_e32 v5, v19
	v_mov_b32_e32 v6, v19
	v_mov_b32_e32 v7, v19
	v_mov_b32_e32 v12, 0
	v_mov_b32_e32 v13, v19
	v_mov_b32_e32 v14, v19
	v_mov_b32_e32 v15, v19
	s_mul_i32 s90, s15, 29
	s_mul_i32 s91, s15, 30
	;; [unrolled: 1-line block ×34, first 2 shown]
	s_mov_b32 s46, 0x5040100
	s_mov_b64 s[4:5], 0
	s_branch .LBB135_6
.LBB135_5:                              ;   in Loop: Header=BB135_6 Depth=1
	v_perm_b32 v18, v18, v91, s46
	v_perm_b32 v91, v93, v94, s46
	ds_write2_b32 v89, v18, v91 offset1:66
	v_perm_b32 v18, v95, v92, s46
	v_perm_b32 v91, v97, v98, s46
	ds_write2_b32 v89, v18, v91 offset0:132 offset1:198
	v_perm_b32 v18, v99, v96, s46
	v_perm_b32 v91, v101, v102, s46
	v_add_u32_e32 v92, 0x400, v89
	ds_write2_b32 v92, v18, v91 offset0:8 offset1:74
	v_perm_b32 v18, v103, v100, s46
	v_perm_b32 v91, v105, v106, s46
	ds_write2_b32 v92, v18, v91 offset0:140 offset1:206
	v_perm_b32 v18, v107, v104, s46
	v_perm_b32 v91, v109, v110, s46
	v_add_u32_e32 v92, 0x800, v89
	ds_write2_b32 v92, v18, v91 offset0:16 offset1:82
	v_perm_b32 v18, v111, v108, s46
	v_perm_b32 v91, v113, v114, s46
	ds_write2_b32 v92, v18, v91 offset0:148 offset1:214
	v_perm_b32 v18, v115, v112, s46
	v_add_u32_e32 v91, 0xc00, v89
	ds_write2_b32 v91, v18, v19 offset0:24 offset1:90
	ds_write2_b32 v91, v19, v19 offset0:156 offset1:222
	ds_read2_b64 v[92:95], v90 offset1:4
	s_waitcnt lgkmcnt(0)
	v_mfma_f32_16x16x16_bf16 v[0:3], v[54:55], v[92:93], v[0:3]
	v_add_u32_e32 v88, 0x140, v88
	s_mov_b64 vcc, 0x500
	v_lshl_add_u64 v[20:21], v[20:21], 0, vcc
	v_mfma_f32_16x16x16_bf16 v[8:11], v[38:39], v[92:93], v[8:11]
	v_cmp_le_i32_e32 vcc, s12, v88
	s_or_b64 s[4:5], vcc, s[4:5]
	v_mfma_f32_16x16x16_bf16 v[4:7], v[70:71], v[92:93], v[4:7]
	v_mfma_f32_16x16x16_bf16 v[12:15], v[84:85], v[92:93], v[12:15]
	v_mfma_f32_16x16x16_bf16 v[0:3], v[52:53], v[94:95], v[0:3]
	ds_read2_b64 v[52:55], v90 offset0:8 offset1:12
	v_mfma_f32_16x16x16_bf16 v[8:11], v[34:35], v[94:95], v[8:11]
	v_mfma_f32_16x16x16_bf16 v[4:7], v[68:69], v[94:95], v[4:7]
	v_mfma_f32_16x16x16_bf16 v[12:15], v[82:83], v[94:95], v[12:15]
	s_waitcnt lgkmcnt(0)
	v_mfma_f32_16x16x16_bf16 v[8:11], v[32:33], v[52:53], v[8:11]
	v_mfma_f32_16x16x16_bf16 v[0:3], v[48:49], v[52:53], v[0:3]
	v_mfma_f32_16x16x16_bf16 v[4:7], v[66:67], v[52:53], v[4:7]
	v_mfma_f32_16x16x16_bf16 v[12:15], v[78:79], v[52:53], v[12:15]
	v_mfma_f32_16x16x16_bf16 v[8:11], v[30:31], v[54:55], v[8:11]
	ds_read2_b64 v[30:33], v90 offset0:16 offset1:20
	v_mfma_f32_16x16x16_bf16 v[0:3], v[46:47], v[54:55], v[0:3]
	v_mfma_f32_16x16x16_bf16 v[4:7], v[64:65], v[54:55], v[4:7]
	v_mfma_f32_16x16x16_bf16 v[12:15], v[74:75], v[54:55], v[12:15]
	s_waitcnt lgkmcnt(0)
	v_mfma_f32_16x16x16_bf16 v[8:11], v[28:29], v[30:31], v[8:11]
	v_mfma_f32_16x16x16_bf16 v[0:3], v[44:45], v[30:31], v[0:3]
	;; [unrolled: 10-line block ×3, first 2 shown]
	v_mfma_f32_16x16x16_bf16 v[4:7], v[56:57], v[26:27], v[4:7]
	v_mfma_f32_16x16x16_bf16 v[12:15], v[72:73], v[26:27], v[12:15]
	;; [unrolled: 1-line block ×6, first 2 shown]
	s_andn2_b64 exec, exec, s[4:5]
	s_cbranch_execz .LBB135_45
.LBB135_6:                              ; =>This Inner Loop Header: Depth=1
	v_lshl_add_u64 v[22:23], v[20:21], 0, s[62:63]
	global_load_dword v18, v[20:21], off
	global_load_dword v48, v[22:23], off
	v_add_u32_e32 v22, s3, v88
	v_ashrrev_i32_e32 v23, 31, v22
	v_add_u32_e32 v24, s8, v88
	v_add_u32_e32 v26, s68, v88
	;; [unrolled: 1-line block ×5, first 2 shown]
	v_lshl_add_u64 v[22:23], v[22:23], 2, s[0:1]
	v_ashrrev_i32_e32 v25, 31, v24
	v_ashrrev_i32_e32 v27, 31, v26
	;; [unrolled: 1-line block ×5, first 2 shown]
	v_lshl_add_u64 v[24:25], v[24:25], 2, s[0:1]
	v_lshl_add_u64 v[26:27], v[26:27], 2, s[0:1]
	;; [unrolled: 1-line block ×5, first 2 shown]
	global_load_dword v49, v[22:23], off
	global_load_dword v50, v[24:25], off
	;; [unrolled: 1-line block ×6, first 2 shown]
	v_add_u32_e32 v22, s72, v88
	v_add_u32_e32 v40, s81, v88
	;; [unrolled: 1-line block ×10, first 2 shown]
	v_ashrrev_i32_e32 v23, 31, v22
	v_ashrrev_i32_e32 v41, 31, v40
	v_ashrrev_i32_e32 v25, 31, v24
	v_ashrrev_i32_e32 v27, 31, v26
	v_ashrrev_i32_e32 v29, 31, v28
	v_ashrrev_i32_e32 v31, 31, v30
	v_ashrrev_i32_e32 v33, 31, v32
	v_ashrrev_i32_e32 v35, 31, v34
	v_ashrrev_i32_e32 v37, 31, v36
	v_ashrrev_i32_e32 v39, 31, v38
	v_lshl_add_u64 v[22:23], v[22:23], 2, s[0:1]
	v_lshl_add_u64 v[40:41], v[40:41], 2, s[0:1]
	v_add_u32_e32 v42, s82, v88
	v_add_u32_e32 v44, s83, v88
	;; [unrolled: 1-line block ×3, first 2 shown]
	v_lshl_add_u64 v[24:25], v[24:25], 2, s[0:1]
	v_lshl_add_u64 v[26:27], v[26:27], 2, s[0:1]
	;; [unrolled: 1-line block ×8, first 2 shown]
	global_load_dword v55, v[22:23], off
	global_load_dword v56, v[24:25], off
	;; [unrolled: 1-line block ×9, first 2 shown]
	s_nop 0
	global_load_dword v40, v[40:41], off
	v_add_u32_e32 v22, s64, v88
	v_ashrrev_i32_e32 v43, 31, v42
	v_ashrrev_i32_e32 v45, 31, v44
	;; [unrolled: 1-line block ×4, first 2 shown]
	v_add_u32_e32 v24, s65, v88
	v_add_u32_e32 v26, s66, v88
	;; [unrolled: 1-line block ×4, first 2 shown]
	v_lshl_add_u64 v[42:43], v[42:43], 2, s[0:1]
	v_lshl_add_u64 v[44:45], v[44:45], 2, s[0:1]
	;; [unrolled: 1-line block ×4, first 2 shown]
	v_ashrrev_i32_e32 v25, 31, v24
	v_ashrrev_i32_e32 v27, 31, v26
	;; [unrolled: 1-line block ×4, first 2 shown]
	v_lshl_add_u64 v[24:25], v[24:25], 2, s[0:1]
	v_lshl_add_u64 v[26:27], v[26:27], 2, s[0:1]
	;; [unrolled: 1-line block ×4, first 2 shown]
	v_add_u32_e32 v32, s92, v88
	v_add_u32_e32 v34, s85, v88
	;; [unrolled: 1-line block ×3, first 2 shown]
	v_ashrrev_i32_e32 v33, 31, v32
	v_ashrrev_i32_e32 v35, 31, v34
	;; [unrolled: 1-line block ×3, first 2 shown]
	v_lshl_add_u64 v[32:33], v[32:33], 2, s[0:1]
	s_waitcnt vmcnt(17)
	ds_write_b32 v89, v18
	s_waitcnt vmcnt(16)
	ds_write_b32 v89, v48 offset:264
	s_waitcnt vmcnt(15)
	ds_write_b32 v89, v49 offset:528
	;; [unrolled: 2-line block ×7, first 2 shown]
	global_load_dword v18, v[42:43], off
	global_load_dword v41, v[44:45], off
	s_nop 0
	global_load_dword v42, v[46:47], off
	global_load_dword v43, v[22:23], off
	global_load_dword v44, v[24:25], off
	global_load_dword v45, v[26:27], off
	s_nop 0
	global_load_dword v46, v[28:29], off
	global_load_dword v47, v[30:31], off
	v_add_u32_e32 v22, s87, v88
	v_ashrrev_i32_e32 v23, 31, v22
	v_add_u32_e32 v24, s88, v88
	v_add_u32_e32 v26, s89, v88
	;; [unrolled: 1-line block ×4, first 2 shown]
	v_lshl_add_u64 v[22:23], v[22:23], 2, s[0:1]
	v_ashrrev_i32_e32 v25, 31, v24
	v_ashrrev_i32_e32 v27, 31, v26
	v_ashrrev_i32_e32 v29, 31, v28
	v_ashrrev_i32_e32 v31, 31, v30
	v_lshl_add_u64 v[24:25], v[24:25], 2, s[0:1]
	v_lshl_add_u64 v[26:27], v[26:27], 2, s[0:1]
	v_lshl_add_u64 v[28:29], v[28:29], 2, s[0:1]
	v_lshl_add_u64 v[30:31], v[30:31], 2, s[0:1]
	v_lshl_add_u64 v[34:35], v[34:35], 2, s[0:1]
	v_lshl_add_u64 v[36:37], v[36:37], 2, s[0:1]
	global_load_dword v48, v[22:23], off
	global_load_dword v49, v[24:25], off
	global_load_dword v50, v[26:27], off
	global_load_dword v51, v[28:29], off
	global_load_dword v52, v[30:31], off
	global_load_dword v53, v[32:33], off
	global_load_dword v64, v[34:35], off
	global_load_dword v65, v[36:37], off
	v_add_u32_e32 v22, s94, v88
	v_ashrrev_i32_e32 v23, 31, v22
	v_add_u32_e32 v24, s95, v88
	v_add_u32_e32 v26, s96, v88
	v_add_u32_e32 v28, s97, v88
	v_add_u32_e32 v30, s98, v88
	v_add_u32_e32 v32, s99, v88
	v_add_u32_e32 v34, s24, v88
	v_add_u32_e32 v36, s25, v88
	v_lshl_add_u64 v[22:23], v[22:23], 2, s[0:1]
	v_ashrrev_i32_e32 v25, 31, v24
	v_ashrrev_i32_e32 v27, 31, v26
	v_ashrrev_i32_e32 v29, 31, v28
	v_ashrrev_i32_e32 v31, 31, v30
	v_ashrrev_i32_e32 v33, 31, v32
	v_ashrrev_i32_e32 v35, 31, v34
	v_ashrrev_i32_e32 v37, 31, v36
	v_lshl_add_u64 v[24:25], v[24:25], 2, s[0:1]
	v_lshl_add_u64 v[26:27], v[26:27], 2, s[0:1]
	v_lshl_add_u64 v[28:29], v[28:29], 2, s[0:1]
	v_lshl_add_u64 v[30:31], v[30:31], 2, s[0:1]
	v_lshl_add_u64 v[32:33], v[32:33], 2, s[0:1]
	v_lshl_add_u64 v[34:35], v[34:35], 2, s[0:1]
	v_lshl_add_u64 v[36:37], v[36:37], 2, s[0:1]
	global_load_dword v66, v[22:23], off
	global_load_dword v67, v[24:25], off
	global_load_dword v68, v[26:27], off
	global_load_dword v69, v[28:29], off
	global_load_dword v70, v[30:31], off
	global_load_dword v71, v[32:33], off
	global_load_dword v72, v[34:35], off
	global_load_dword v73, v[36:37], off
	v_add_u32_e32 v22, s11, v88
	v_ashrrev_i32_e32 v23, 31, v22
	v_add_u32_e32 v24, s22, v88
	v_add_u32_e32 v26, s23, v88
	v_add_u32_e32 v28, s28, v88
	v_add_u32_e32 v30, s29, v88
	v_add_u32_e32 v32, s30, v88
	v_add_u32_e32 v34, s31, v88
	v_add_u32_e32 v36, s26, v88
	v_lshl_add_u64 v[22:23], v[22:23], 2, s[0:1]
	v_ashrrev_i32_e32 v25, 31, v24
	v_ashrrev_i32_e32 v27, 31, v26
	v_ashrrev_i32_e32 v29, 31, v28
	v_ashrrev_i32_e32 v31, 31, v30
	v_ashrrev_i32_e32 v33, 31, v32
	v_ashrrev_i32_e32 v35, 31, v34
	v_ashrrev_i32_e32 v37, 31, v36
	v_lshl_add_u64 v[24:25], v[24:25], 2, s[0:1]
	;; [unrolled: 32-line block ×3, first 2 shown]
	v_lshl_add_u64 v[26:27], v[26:27], 2, s[0:1]
	v_lshl_add_u64 v[28:29], v[28:29], 2, s[0:1]
	;; [unrolled: 1-line block ×6, first 2 shown]
	global_load_dword v82, v[22:23], off
	global_load_dword v83, v[24:25], off
	;; [unrolled: 1-line block ×8, first 2 shown]
	v_add_u32_e32 v22, s41, v88
	v_ashrrev_i32_e32 v23, 31, v22
	v_add_u32_e32 v24, s42, v88
	v_add_u32_e32 v26, s43, v88
	;; [unrolled: 1-line block ×5, first 2 shown]
	v_lshl_add_u64 v[22:23], v[22:23], 2, s[0:1]
	v_ashrrev_i32_e32 v25, 31, v24
	v_ashrrev_i32_e32 v27, 31, v26
	;; [unrolled: 1-line block ×5, first 2 shown]
	v_lshl_add_u64 v[24:25], v[24:25], 2, s[0:1]
	v_lshl_add_u64 v[26:27], v[26:27], 2, s[0:1]
	v_lshl_add_u64 v[28:29], v[28:29], 2, s[0:1]
	v_lshl_add_u64 v[30:31], v[30:31], 2, s[0:1]
	v_lshl_add_u64 v[32:33], v[32:33], 2, s[0:1]
	global_load_dword v95, v[22:23], off
	global_load_dword v96, v[24:25], off
	;; [unrolled: 1-line block ×6, first 2 shown]
	s_waitcnt vmcnt(55)
	ds_write_b32 v89, v55 offset:2112
	s_waitcnt vmcnt(54)
	ds_write_b32 v89, v56 offset:2376
	s_waitcnt vmcnt(53)
	ds_write_b32 v89, v57 offset:2640
	s_waitcnt vmcnt(52)
	ds_write_b32 v89, v58 offset:2904
	s_waitcnt vmcnt(51)
	ds_write_b32 v89, v59 offset:3168
	s_waitcnt vmcnt(50)
	ds_write_b32 v89, v60 offset:3432
	s_waitcnt vmcnt(49)
	ds_write_b32 v89, v61 offset:3696
	s_waitcnt vmcnt(48)
	ds_write_b32 v89, v62 offset:3960
	ds_read_b64 v[38:39], v90
	ds_read_b64 v[34:35], v90 offset:32
	ds_read_b64 v[32:33], v90 offset:64
	ds_read_b64 v[30:31], v90 offset:96
	ds_read_b64 v[28:29], v90 offset:128
	ds_read_b64 v[26:27], v90 offset:160
	ds_read_b64 v[24:25], v90 offset:192
	ds_read_b64 v[22:23], v90 offset:224
	s_waitcnt vmcnt(47)
	ds_write_b32 v89, v63
	s_waitcnt vmcnt(46)
	ds_write_b32 v89, v40 offset:264
	s_waitcnt vmcnt(45)
	ds_write_b32 v89, v18 offset:528
	s_waitcnt vmcnt(44)
	ds_write_b32 v89, v41 offset:792
	s_waitcnt vmcnt(43)
	ds_write_b32 v89, v42 offset:1056
	s_waitcnt vmcnt(42)
	ds_write_b32 v89, v43 offset:1320
	s_waitcnt vmcnt(41)
	ds_write_b32 v89, v44 offset:1584
	s_waitcnt vmcnt(40)
	ds_write_b32 v89, v45 offset:1848
	s_waitcnt vmcnt(39)
	ds_write_b32 v89, v46 offset:2112
	s_waitcnt vmcnt(38)
	ds_write_b32 v89, v47 offset:2376
	s_waitcnt vmcnt(37)
	ds_write_b32 v89, v48 offset:2640
	s_waitcnt vmcnt(36)
	ds_write_b32 v89, v49 offset:2904
	s_waitcnt vmcnt(35)
	ds_write_b32 v89, v50 offset:3168
	s_waitcnt vmcnt(34)
	ds_write_b32 v89, v51 offset:3432
	s_waitcnt vmcnt(33)
	ds_write_b32 v89, v52 offset:3696
	s_waitcnt vmcnt(32)
	ds_write_b32 v89, v53 offset:3960
	ds_read_b64 v[54:55], v90
	ds_read_b64 v[52:53], v90 offset:32
	ds_read_b64 v[48:49], v90 offset:64
	ds_read_b64 v[46:47], v90 offset:96
	ds_read_b64 v[44:45], v90 offset:128
	ds_read_b64 v[42:43], v90 offset:160
	ds_read_b64 v[40:41], v90 offset:192
	ds_read_b64 v[36:37], v90 offset:224
	s_waitcnt vmcnt(31)
	ds_write_b32 v89, v64
	s_waitcnt vmcnt(30)
	ds_write_b32 v89, v65 offset:264
	s_waitcnt vmcnt(29)
	ds_write_b32 v89, v66 offset:528
	s_waitcnt vmcnt(28)
	ds_write_b32 v89, v67 offset:792
	s_waitcnt vmcnt(27)
	ds_write_b32 v89, v68 offset:1056
	s_waitcnt vmcnt(26)
	ds_write_b32 v89, v69 offset:1320
	s_waitcnt vmcnt(25)
	ds_write_b32 v89, v70 offset:1584
	s_waitcnt vmcnt(24)
	ds_write_b32 v89, v71 offset:1848
	;; [unrolled: 40-line block ×3, first 2 shown]
	s_waitcnt vmcnt(7)
	ds_write_b32 v89, v93 offset:2112
	s_waitcnt vmcnt(6)
	ds_write_b32 v89, v94 offset:2376
	s_waitcnt vmcnt(5)
	ds_write_b32 v89, v95 offset:2640
	s_waitcnt vmcnt(4)
	ds_write_b32 v89, v96 offset:2904
	s_waitcnt vmcnt(3)
	ds_write_b32 v89, v97 offset:3168
	s_waitcnt vmcnt(2)
	ds_write_b32 v89, v98 offset:3432
	s_waitcnt vmcnt(1)
	ds_write_b32 v89, v99 offset:3696
	s_waitcnt vmcnt(0)
	ds_write_b32 v89, v100 offset:3960
	ds_read_b64 v[84:85], v90
	ds_read_b64 v[82:83], v90 offset:32
	ds_read_b64 v[78:79], v90 offset:64
	;; [unrolled: 1-line block ×7, first 2 shown]
	v_readlane_b32 vcc_lo, v118, 11
	v_readlane_b32 vcc_hi, v118, 12
	s_andn2_b64 vcc, exec, vcc
	v_mov_b32_e32 v91, 0
	v_mov_b32_e32 v18, 0
	s_cbranch_vccnz .LBB135_9
; %bb.7:                                ;   in Loop: Header=BB135_6 Depth=1
	s_load_dword s47, s[36:37], 0x0
	v_mov_b32_e32 v18, 0
	v_mov_b32_e32 v91, 0
	s_waitcnt lgkmcnt(0)
	s_mul_hi_u32 vcc_lo, s47, s16
	s_add_i32 vcc_lo, s47, vcc_lo
	s_lshr_b32 vcc_lo, vcc_lo, s17
	s_cmp_ge_i32 vcc_lo, s13
	s_cbranch_scc1 .LBB135_9
; %bb.8:                                ;   in Loop: Header=BB135_6 Depth=1
	s_mul_i32 vcc_hi, vcc_lo, s18
	s_sub_i32 s47, s47, vcc_hi
	s_mul_i32 vcc_lo, vcc_lo, s20
	s_mul_i32 s47, s47, s9
	v_add_u32_e32 v18, vcc_lo, v88
	v_lshl_add_u32 v92, v18, 1, s47
	v_ashrrev_i32_e32 v93, 31, v92
	v_lshl_add_u64 v[92:93], v[92:93], 2, s[6:7]
	global_load_dwordx2 v[92:93], v[92:93], off
	s_waitcnt vmcnt(0)
	v_cvt_pk_bf16_f32 v91, v92, s0
	v_cvt_pk_bf16_f32 v18, v93, s0
.LBB135_9:                              ;   in Loop: Header=BB135_6 Depth=1
	v_readlane_b32 vcc_lo, v118, 13
	v_readlane_b32 vcc_hi, v118, 14
	v_mov_b32_e32 v92, 0
	s_andn2_b64 vcc, exec, vcc
	v_mov_b32_e32 v94, 0
	v_mov_b32_e32 v93, 0
	s_cbranch_vccnz .LBB135_12
; %bb.10:                               ;   in Loop: Header=BB135_6 Depth=1
	s_load_dword s47, s[36:37], 0x4
	v_mov_b32_e32 v93, 0
	v_mov_b32_e32 v94, 0
	s_waitcnt lgkmcnt(0)
	s_mul_hi_u32 vcc_lo, s47, s16
	s_add_i32 vcc_lo, s47, vcc_lo
	s_lshr_b32 vcc_lo, vcc_lo, s17
	s_cmp_ge_i32 vcc_lo, s13
	s_cbranch_scc1 .LBB135_12
; %bb.11:                               ;   in Loop: Header=BB135_6 Depth=1
	s_mul_i32 vcc_hi, vcc_lo, s18
	s_sub_i32 s47, s47, vcc_hi
	s_mul_i32 vcc_lo, vcc_lo, s20
	s_mul_i32 s47, s47, s9
	v_add_u32_e32 v93, vcc_lo, v88
	v_lshl_add_u32 v94, v93, 1, s47
	v_ashrrev_i32_e32 v95, 31, v94
	v_lshl_add_u64 v[94:95], v[94:95], 2, s[6:7]
	global_load_dwordx2 v[94:95], v[94:95], off
	s_waitcnt vmcnt(0)
	v_cvt_pk_bf16_f32 v94, v94, s0
	v_cvt_pk_bf16_f32 v93, v95, s0
.LBB135_12:                             ;   in Loop: Header=BB135_6 Depth=1
	v_readlane_b32 vcc_lo, v118, 15
	v_readlane_b32 vcc_hi, v118, 16
	s_andn2_b64 vcc, exec, vcc
	v_mov_b32_e32 v95, 0
	s_cbranch_vccnz .LBB135_15
; %bb.13:                               ;   in Loop: Header=BB135_6 Depth=1
	s_load_dword s47, s[36:37], 0x8
	v_mov_b32_e32 v95, 0
	v_mov_b32_e32 v92, 0
	s_waitcnt lgkmcnt(0)
	s_mul_hi_u32 vcc_lo, s47, s16
	s_add_i32 vcc_lo, s47, vcc_lo
	s_lshr_b32 vcc_lo, vcc_lo, s17
	s_cmp_ge_i32 vcc_lo, s13
	s_cbranch_scc1 .LBB135_15
; %bb.14:                               ;   in Loop: Header=BB135_6 Depth=1
	s_mul_i32 vcc_hi, vcc_lo, s18
	s_sub_i32 s47, s47, vcc_hi
	s_mul_i32 vcc_lo, vcc_lo, s20
	s_mul_i32 s47, s47, s9
	v_add_u32_e32 v92, vcc_lo, v88
	v_lshl_add_u32 v96, v92, 1, s47
	v_ashrrev_i32_e32 v97, 31, v96
	v_lshl_add_u64 v[96:97], v[96:97], 2, s[6:7]
	global_load_dwordx2 v[96:97], v[96:97], off
	s_waitcnt vmcnt(0)
	v_cvt_pk_bf16_f32 v92, v96, s0
	v_cvt_pk_bf16_f32 v95, v97, s0
.LBB135_15:                             ;   in Loop: Header=BB135_6 Depth=1
	v_readlane_b32 vcc_lo, v118, 17
	v_readlane_b32 vcc_hi, v118, 18
	v_mov_b32_e32 v96, 0
	s_andn2_b64 vcc, exec, vcc
	v_mov_b32_e32 v98, 0
	v_mov_b32_e32 v97, 0
	s_cbranch_vccnz .LBB135_18
; %bb.16:                               ;   in Loop: Header=BB135_6 Depth=1
	s_load_dword s47, s[36:37], 0xc
	v_mov_b32_e32 v97, 0
	v_mov_b32_e32 v98, 0
	s_waitcnt lgkmcnt(0)
	s_mul_hi_u32 vcc_lo, s47, s16
	s_add_i32 vcc_lo, s47, vcc_lo
	s_lshr_b32 vcc_lo, vcc_lo, s17
	s_cmp_ge_i32 vcc_lo, s13
	s_cbranch_scc1 .LBB135_18
; %bb.17:                               ;   in Loop: Header=BB135_6 Depth=1
	s_mul_i32 vcc_hi, vcc_lo, s18
	s_sub_i32 s47, s47, vcc_hi
	s_mul_i32 vcc_lo, vcc_lo, s20
	s_mul_i32 s47, s47, s9
	v_add_u32_e32 v97, vcc_lo, v88
	v_lshl_add_u32 v98, v97, 1, s47
	v_ashrrev_i32_e32 v99, 31, v98
	v_lshl_add_u64 v[98:99], v[98:99], 2, s[6:7]
	global_load_dwordx2 v[98:99], v[98:99], off
	s_waitcnt vmcnt(0)
	v_cvt_pk_bf16_f32 v98, v98, s0
	v_cvt_pk_bf16_f32 v97, v99, s0
.LBB135_18:                             ;   in Loop: Header=BB135_6 Depth=1
	v_readlane_b32 vcc_lo, v118, 19
	v_readlane_b32 vcc_hi, v118, 20
	s_andn2_b64 vcc, exec, vcc
	v_mov_b32_e32 v99, 0
	s_cbranch_vccnz .LBB135_21
; %bb.19:                               ;   in Loop: Header=BB135_6 Depth=1
	s_load_dword s47, s[36:37], 0x10
	v_mov_b32_e32 v99, 0
	v_mov_b32_e32 v96, 0
	s_waitcnt lgkmcnt(0)
	s_mul_hi_u32 vcc_lo, s47, s16
	s_add_i32 vcc_lo, s47, vcc_lo
	s_lshr_b32 vcc_lo, vcc_lo, s17
	s_cmp_ge_i32 vcc_lo, s13
	s_cbranch_scc1 .LBB135_21
; %bb.20:                               ;   in Loop: Header=BB135_6 Depth=1
	s_mul_i32 vcc_hi, vcc_lo, s18
	s_sub_i32 s47, s47, vcc_hi
	s_mul_i32 vcc_lo, vcc_lo, s20
	s_mul_i32 s47, s47, s9
	v_add_u32_e32 v96, vcc_lo, v88
	v_lshl_add_u32 v100, v96, 1, s47
	v_ashrrev_i32_e32 v101, 31, v100
	v_lshl_add_u64 v[100:101], v[100:101], 2, s[6:7]
	global_load_dwordx2 v[100:101], v[100:101], off
	s_waitcnt vmcnt(0)
	v_cvt_pk_bf16_f32 v96, v100, s0
	v_cvt_pk_bf16_f32 v99, v101, s0
.LBB135_21:                             ;   in Loop: Header=BB135_6 Depth=1
	v_readlane_b32 vcc_lo, v118, 21
	v_readlane_b32 vcc_hi, v118, 22
	v_mov_b32_e32 v100, 0
	s_andn2_b64 vcc, exec, vcc
	v_mov_b32_e32 v102, 0
	v_mov_b32_e32 v101, 0
	s_cbranch_vccnz .LBB135_24
; %bb.22:                               ;   in Loop: Header=BB135_6 Depth=1
	s_load_dword s47, s[36:37], 0x14
	v_mov_b32_e32 v101, 0
	v_mov_b32_e32 v102, 0
	s_waitcnt lgkmcnt(0)
	s_mul_hi_u32 vcc_lo, s47, s16
	s_add_i32 vcc_lo, s47, vcc_lo
	s_lshr_b32 vcc_lo, vcc_lo, s17
	s_cmp_ge_i32 vcc_lo, s13
	s_cbranch_scc1 .LBB135_24
; %bb.23:                               ;   in Loop: Header=BB135_6 Depth=1
	s_mul_i32 vcc_hi, vcc_lo, s18
	s_sub_i32 s47, s47, vcc_hi
	s_mul_i32 vcc_lo, vcc_lo, s20
	s_mul_i32 s47, s47, s9
	v_add_u32_e32 v101, vcc_lo, v88
	v_lshl_add_u32 v102, v101, 1, s47
	v_ashrrev_i32_e32 v103, 31, v102
	v_lshl_add_u64 v[102:103], v[102:103], 2, s[6:7]
	global_load_dwordx2 v[102:103], v[102:103], off
	s_waitcnt vmcnt(0)
	v_cvt_pk_bf16_f32 v102, v102, s0
	v_cvt_pk_bf16_f32 v101, v103, s0
.LBB135_24:                             ;   in Loop: Header=BB135_6 Depth=1
	s_andn2_b64 vcc, exec, s[48:49]
	v_mov_b32_e32 v103, 0
	s_cbranch_vccnz .LBB135_27
; %bb.25:                               ;   in Loop: Header=BB135_6 Depth=1
	s_load_dword s47, s[36:37], 0x18
	v_mov_b32_e32 v103, 0
	v_mov_b32_e32 v100, 0
	s_waitcnt lgkmcnt(0)
	s_mul_hi_u32 vcc_lo, s47, s16
	s_add_i32 vcc_lo, s47, vcc_lo
	s_lshr_b32 vcc_lo, vcc_lo, s17
	s_cmp_ge_i32 vcc_lo, s13
	s_cbranch_scc1 .LBB135_27
; %bb.26:                               ;   in Loop: Header=BB135_6 Depth=1
	s_mul_i32 vcc_hi, vcc_lo, s18
	s_sub_i32 s47, s47, vcc_hi
	s_mul_i32 vcc_lo, vcc_lo, s20
	s_mul_i32 s47, s47, s9
	v_add_u32_e32 v100, vcc_lo, v88
	v_lshl_add_u32 v104, v100, 1, s47
	v_ashrrev_i32_e32 v105, 31, v104
	v_lshl_add_u64 v[104:105], v[104:105], 2, s[6:7]
	global_load_dwordx2 v[104:105], v[104:105], off
	s_waitcnt vmcnt(0)
	v_cvt_pk_bf16_f32 v100, v104, s0
	v_cvt_pk_bf16_f32 v103, v105, s0
.LBB135_27:                             ;   in Loop: Header=BB135_6 Depth=1
	v_mov_b32_e32 v104, 0
	s_andn2_b64 vcc, exec, s[50:51]
	v_mov_b32_e32 v106, 0
	v_mov_b32_e32 v105, 0
	s_cbranch_vccnz .LBB135_30
; %bb.28:                               ;   in Loop: Header=BB135_6 Depth=1
	s_load_dword s47, s[36:37], 0x1c
	v_mov_b32_e32 v105, 0
	v_mov_b32_e32 v106, 0
	s_waitcnt lgkmcnt(0)
	s_mul_hi_u32 vcc_lo, s47, s16
	s_add_i32 vcc_lo, s47, vcc_lo
	s_lshr_b32 vcc_lo, vcc_lo, s17
	s_cmp_ge_i32 vcc_lo, s13
	s_cbranch_scc1 .LBB135_30
; %bb.29:                               ;   in Loop: Header=BB135_6 Depth=1
	s_mul_i32 vcc_hi, vcc_lo, s18
	s_sub_i32 s47, s47, vcc_hi
	s_mul_i32 vcc_lo, vcc_lo, s20
	s_mul_i32 s47, s47, s9
	v_add_u32_e32 v105, vcc_lo, v88
	v_lshl_add_u32 v106, v105, 1, s47
	v_ashrrev_i32_e32 v107, 31, v106
	v_lshl_add_u64 v[106:107], v[106:107], 2, s[6:7]
	global_load_dwordx2 v[106:107], v[106:107], off
	s_waitcnt vmcnt(0)
	v_cvt_pk_bf16_f32 v106, v106, s0
	v_cvt_pk_bf16_f32 v105, v107, s0
.LBB135_30:                             ;   in Loop: Header=BB135_6 Depth=1
	s_andn2_b64 vcc, exec, s[52:53]
	v_mov_b32_e32 v107, 0
	s_cbranch_vccnz .LBB135_33
; %bb.31:                               ;   in Loop: Header=BB135_6 Depth=1
	s_load_dword s47, s[36:37], 0x20
	v_mov_b32_e32 v107, 0
	v_mov_b32_e32 v104, 0
	s_waitcnt lgkmcnt(0)
	s_mul_hi_u32 vcc_lo, s47, s16
	s_add_i32 vcc_lo, s47, vcc_lo
	s_lshr_b32 vcc_lo, vcc_lo, s17
	s_cmp_ge_i32 vcc_lo, s13
	s_cbranch_scc1 .LBB135_33
; %bb.32:                               ;   in Loop: Header=BB135_6 Depth=1
	s_mul_i32 vcc_hi, vcc_lo, s18
	s_sub_i32 s47, s47, vcc_hi
	s_mul_i32 vcc_lo, vcc_lo, s20
	s_mul_i32 s47, s47, s9
	v_add_u32_e32 v104, vcc_lo, v88
	v_lshl_add_u32 v108, v104, 1, s47
	v_ashrrev_i32_e32 v109, 31, v108
	v_lshl_add_u64 v[108:109], v[108:109], 2, s[6:7]
	global_load_dwordx2 v[108:109], v[108:109], off
	s_waitcnt vmcnt(0)
	v_cvt_pk_bf16_f32 v104, v108, s0
	v_cvt_pk_bf16_f32 v107, v109, s0
.LBB135_33:                             ;   in Loop: Header=BB135_6 Depth=1
	v_mov_b32_e32 v108, 0
	s_andn2_b64 vcc, exec, s[54:55]
	;; [unrolled: 56-line block ×3, first 2 shown]
	v_mov_b32_e32 v114, 0
	v_mov_b32_e32 v113, 0
	s_cbranch_vccnz .LBB135_42
; %bb.40:                               ;   in Loop: Header=BB135_6 Depth=1
	s_load_dword s47, s[36:37], 0x2c
	v_mov_b32_e32 v113, 0
	v_mov_b32_e32 v114, 0
	s_waitcnt lgkmcnt(0)
	s_mul_hi_u32 vcc_lo, s47, s16
	s_add_i32 vcc_lo, s47, vcc_lo
	s_lshr_b32 vcc_lo, vcc_lo, s17
	s_cmp_ge_i32 vcc_lo, s13
	s_cbranch_scc1 .LBB135_42
; %bb.41:                               ;   in Loop: Header=BB135_6 Depth=1
	s_mul_i32 vcc_hi, vcc_lo, s18
	s_sub_i32 s47, s47, vcc_hi
	s_mul_i32 vcc_lo, vcc_lo, s20
	s_mul_i32 s47, s47, s9
	v_add_u32_e32 v113, vcc_lo, v88
	v_lshl_add_u32 v114, v113, 1, s47
	v_ashrrev_i32_e32 v115, 31, v114
	v_lshl_add_u64 v[114:115], v[114:115], 2, s[6:7]
	global_load_dwordx2 v[114:115], v[114:115], off
	s_waitcnt vmcnt(0)
	v_cvt_pk_bf16_f32 v114, v114, s0
	v_cvt_pk_bf16_f32 v113, v115, s0
.LBB135_42:                             ;   in Loop: Header=BB135_6 Depth=1
	s_andn2_b64 vcc, exec, s[60:61]
	v_mov_b32_e32 v115, 0
	s_cbranch_vccnz .LBB135_5
; %bb.43:                               ;   in Loop: Header=BB135_6 Depth=1
	s_load_dword s47, s[36:37], 0x30
	v_mov_b32_e32 v115, 0
	v_mov_b32_e32 v112, 0
	s_waitcnt lgkmcnt(0)
	s_mul_hi_u32 vcc_lo, s47, s16
	s_add_i32 vcc_lo, s47, vcc_lo
	s_lshr_b32 vcc_lo, vcc_lo, s17
	s_cmp_ge_i32 vcc_lo, s13
	s_cbranch_scc1 .LBB135_5
; %bb.44:                               ;   in Loop: Header=BB135_6 Depth=1
	s_mul_i32 vcc_hi, vcc_lo, s18
	s_sub_i32 s47, s47, vcc_hi
	s_mul_i32 vcc_lo, vcc_lo, s20
	s_mul_i32 s47, s47, s9
	v_add_u32_e32 v112, vcc_lo, v88
	v_lshl_add_u32 v116, v112, 1, s47
	v_ashrrev_i32_e32 v117, 31, v116
	v_lshl_add_u64 v[116:117], v[116:117], 2, s[6:7]
	global_load_dwordx2 v[116:117], v[116:117], off
	s_waitcnt vmcnt(0)
	v_cvt_pk_bf16_f32 v112, v116, s0
	v_cvt_pk_bf16_f32 v115, v117, s0
	s_branch .LBB135_5
.LBB135_45:
	s_or_b64 exec, exec, s[4:5]
	v_readlane_b32 s24, v118, 6
	v_readlane_b32 s30, v118, 9
	;; [unrolled: 1-line block ×12, first 2 shown]
.LBB135_46:
	s_or_b64 exec, exec, s[36:37]
	s_lshl_b64 s[0:1], s[30:31], 2
	s_add_u32 s4, s22, s0
	v_lshl_add_u32 v18, v86, 2, 0
	v_mul_u32_u24_e32 v19, 0x508, v87
	v_and_b32_e32 v20, 0x3f0, v17
	s_addc_u32 s5, s23, s1
	v_add3_u32 v18, v18, v19, v20
	s_barrier
	ds_write2_b32 v18, v8, v9 offset1:1
	ds_write2_b32 v18, v10, v11 offset0:2 offset1:3
	ds_write2_b32 v18, v0, v1 offset0:16 offset1:17
	ds_write2_b32 v18, v2, v3 offset0:18 offset1:19
	ds_write2_b32 v18, v4, v5 offset0:32 offset1:33
	ds_write2_b32 v18, v6, v7 offset0:34 offset1:35
	ds_write2_b32 v18, v12, v13 offset0:48 offset1:49
	ds_write2_b32 v18, v14, v15 offset0:50 offset1:51
	s_cmp_gt_i32 s14, 0
	v_add_u32_e32 v0, s28, v16
	s_cselect_b64 s[6:7], -1, 0
	v_cmp_gt_i32_e64 s[0:1], s26, v0
	v_cmp_gt_u32_e32 vcc, 13, v16
	s_and_b64 s[0:1], s[6:7], s[0:1]
	v_lshl_add_u32 v3, v17, 2, 0
	v_add_u32_e32 v2, s11, v17
	v_mul_u32_u24_e32 v4, 0x508, v16
	s_and_b64 s[2:3], vcc, s[0:1]
	s_waitcnt lgkmcnt(0)
	s_barrier
	s_and_saveexec_b64 s[0:1], s[2:3]
	s_cbranch_execz .LBB135_49
; %bb.47:
	v_ashrrev_i32_e32 v1, 31, v0
	v_lshl_add_u64 v[6:7], v[0:1], 2, s[4:5]
	global_load_dword v5, v[6:7], off
	s_waitcnt vmcnt(0)
	v_mul_hi_u32 v1, v5, s19
	v_add_u32_e32 v1, v5, v1
	v_lshrrev_b32_e32 v1, s24, v1
	v_cmp_gt_i32_e32 vcc, s13, v1
	s_and_b64 exec, exec, vcc
	s_cbranch_execz .LBB135_49
; %bb.48:
	v_add_u32_e32 v10, v3, v4
	ds_read2st64_b32 v[6:7], v10 offset1:1
	ds_read2st64_b32 v[8:9], v10 offset0:2 offset1:3
	ds_read_b32 v10, v10 offset:1024
	v_mul_lo_u32 v11, v1, s25
	v_sub_u32_e32 v5, v5, v11
	v_mul_lo_u32 v5, v5, s10
	s_waitcnt lgkmcnt(2)
	v_add_f32_e32 v6, 0, v6
	v_add_f32_e32 v6, v6, v7
	s_waitcnt lgkmcnt(1)
	v_add_f32_e32 v6, v6, v8
	v_add_f32_e32 v6, v6, v9
	v_mul_lo_u32 v1, v1, s21
	v_readlane_b32 s2, v118, 0
	s_waitcnt lgkmcnt(0)
	v_add_f32_e32 v8, v6, v10
	v_add3_u32 v6, v2, v1, v5
	v_mov_b32_e32 v7, 0
	v_readlane_b32 s3, v118, 1
	s_nop 1
	v_lshl_add_u64 v[6:7], v[6:7], 2, s[2:3]
	global_store_dword v[6:7], v8, off
.LBB135_49:
	s_or_b64 exec, exec, s[0:1]
	v_add_u32_e32 v1, 5, v0
	v_cmp_gt_i32_e64 s[0:1], s26, v1
	v_cmp_gt_u32_e32 vcc, 8, v16
	s_and_b64 s[0:1], s[6:7], s[0:1]
	s_and_b64 s[2:3], vcc, s[0:1]
	s_and_saveexec_b64 s[0:1], s[2:3]
	s_cbranch_execz .LBB135_52
; %bb.50:
	s_ashr_i32 s29, s28, 31
	v_mov_b32_e32 v17, 0
	v_lshl_add_u64 v[6:7], v[16:17], 0, s[28:29]
	v_lshl_add_u64 v[6:7], v[6:7], 2, s[4:5]
	global_load_dword v5, v[6:7], off offset:20
	s_waitcnt vmcnt(0)
	v_mul_hi_u32 v1, v5, s19
	v_add_u32_e32 v1, v5, v1
	v_lshrrev_b32_e32 v1, s24, v1
	v_cmp_gt_i32_e32 vcc, s13, v1
	s_and_b64 exec, exec, vcc
	s_cbranch_execz .LBB135_52
; %bb.51:
	v_add_u32_e32 v10, v4, v3
	v_add_u32_e32 v8, 40, v10
	ds_read2st64_b32 v[6:7], v8 offset0:25 offset1:26
	ds_read2st64_b32 v[8:9], v8 offset0:27 offset1:28
	ds_read_b32 v10, v10 offset:7464
	v_mul_lo_u32 v11, v1, s25
	v_sub_u32_e32 v5, v5, v11
	v_mul_lo_u32 v5, v5, s10
	s_waitcnt lgkmcnt(2)
	v_add_f32_e32 v6, 0, v6
	v_add_f32_e32 v6, v6, v7
	s_waitcnt lgkmcnt(1)
	v_add_f32_e32 v6, v6, v8
	v_add_f32_e32 v6, v6, v9
	v_mul_lo_u32 v1, v1, s21
	v_readlane_b32 s2, v118, 0
	s_waitcnt lgkmcnt(0)
	v_add_f32_e32 v8, v6, v10
	v_add3_u32 v6, v2, v1, v5
	v_mov_b32_e32 v7, v17
	v_readlane_b32 s3, v118, 1
	s_nop 1
	v_lshl_add_u64 v[6:7], v[6:7], 2, s[2:3]
	global_store_dword v[6:7], v8, off
.LBB135_52:
	s_or_b64 exec, exec, s[0:1]
	v_cmp_gt_u32_e32 vcc, 3, v16
	s_and_saveexec_b64 s[0:1], vcc
	s_cbranch_execz .LBB135_56
; %bb.53:
	v_add_u32_e32 v0, 10, v0
	v_cmp_gt_i32_e32 vcc, s26, v0
	s_and_b64 s[0:1], s[6:7], vcc
	s_and_b64 exec, exec, s[0:1]
	s_cbranch_execz .LBB135_56
; %bb.54:
	s_ashr_i32 s29, s28, 31
	v_mov_b32_e32 v17, 0
	v_lshl_add_u64 v[0:1], v[16:17], 0, s[28:29]
	v_lshl_add_u64 v[0:1], v[0:1], 2, s[4:5]
	global_load_dword v1, v[0:1], off offset:40
	s_waitcnt vmcnt(0)
	v_mul_hi_u32 v0, v1, s19
	v_add_u32_e32 v0, v1, v0
	v_lshrrev_b32_e32 v0, s24, v0
	v_cmp_gt_i32_e32 vcc, s13, v0
	s_and_b64 exec, exec, vcc
	s_cbranch_execz .LBB135_56
; %bb.55:
	v_add_u32_e32 v3, v3, v4
	v_add_u32_e32 v6, 0x50, v3
	ds_read2st64_b32 v[4:5], v6 offset0:50 offset1:51
	ds_read2st64_b32 v[6:7], v6 offset0:52 offset1:53
	ds_read_b32 v3, v3 offset:13904
	v_mul_lo_u32 v8, v0, s25
	v_sub_u32_e32 v1, v1, v8
	v_mul_lo_u32 v1, v1, s10
	s_waitcnt lgkmcnt(2)
	v_add_f32_e32 v4, 0, v4
	v_add_f32_e32 v4, v4, v5
	s_waitcnt lgkmcnt(1)
	v_add_f32_e32 v4, v4, v6
	v_mul_lo_u32 v0, v0, s21
	v_readlane_b32 s0, v118, 0
	v_add_f32_e32 v4, v4, v7
	v_add3_u32 v16, v2, v0, v1
	v_readlane_b32 s1, v118, 1
	s_waitcnt lgkmcnt(0)
	v_add_f32_e32 v3, v4, v3
	v_lshl_add_u64 v[0:1], v[16:17], 2, s[0:1]
	global_store_dword v[0:1], v3, off
.LBB135_56:
	s_endpgm
	.section	.rodata,"a",@progbits
	.p2align	6, 0x0
	.amdhsa_kernel _ZL13mul_mat_f_idsI15__hip_bfloat162Li64ELi13ELi5EEvPKT_PKfPKiS7_S7_Pfiiiiiiiiiiiiii15HIP_vector_typeIjLj3EESA_
		.amdhsa_group_segment_fixed_size 0
		.amdhsa_private_segment_fixed_size 0
		.amdhsa_kernarg_size 128
		.amdhsa_user_sgpr_count 2
		.amdhsa_user_sgpr_dispatch_ptr 0
		.amdhsa_user_sgpr_queue_ptr 0
		.amdhsa_user_sgpr_kernarg_segment_ptr 1
		.amdhsa_user_sgpr_dispatch_id 0
		.amdhsa_user_sgpr_kernarg_preload_length 0
		.amdhsa_user_sgpr_kernarg_preload_offset 0
		.amdhsa_user_sgpr_private_segment_size 0
		.amdhsa_uses_dynamic_stack 0
		.amdhsa_enable_private_segment 0
		.amdhsa_system_sgpr_workgroup_id_x 1
		.amdhsa_system_sgpr_workgroup_id_y 1
		.amdhsa_system_sgpr_workgroup_id_z 1
		.amdhsa_system_sgpr_workgroup_info 0
		.amdhsa_system_vgpr_workitem_id 1
		.amdhsa_next_free_vgpr 119
		.amdhsa_next_free_sgpr 100
		.amdhsa_accum_offset 120
		.amdhsa_reserve_vcc 1
		.amdhsa_float_round_mode_32 0
		.amdhsa_float_round_mode_16_64 0
		.amdhsa_float_denorm_mode_32 3
		.amdhsa_float_denorm_mode_16_64 3
		.amdhsa_dx10_clamp 1
		.amdhsa_ieee_mode 1
		.amdhsa_fp16_overflow 0
		.amdhsa_tg_split 0
		.amdhsa_exception_fp_ieee_invalid_op 0
		.amdhsa_exception_fp_denorm_src 0
		.amdhsa_exception_fp_ieee_div_zero 0
		.amdhsa_exception_fp_ieee_overflow 0
		.amdhsa_exception_fp_ieee_underflow 0
		.amdhsa_exception_fp_ieee_inexact 0
		.amdhsa_exception_int_div_zero 0
	.end_amdhsa_kernel
	.section	.text._ZL13mul_mat_f_idsI15__hip_bfloat162Li64ELi13ELi5EEvPKT_PKfPKiS7_S7_Pfiiiiiiiiiiiiii15HIP_vector_typeIjLj3EESA_,"axG",@progbits,_ZL13mul_mat_f_idsI15__hip_bfloat162Li64ELi13ELi5EEvPKT_PKfPKiS7_S7_Pfiiiiiiiiiiiiii15HIP_vector_typeIjLj3EESA_,comdat
.Lfunc_end135:
	.size	_ZL13mul_mat_f_idsI15__hip_bfloat162Li64ELi13ELi5EEvPKT_PKfPKiS7_S7_Pfiiiiiiiiiiiiii15HIP_vector_typeIjLj3EESA_, .Lfunc_end135-_ZL13mul_mat_f_idsI15__hip_bfloat162Li64ELi13ELi5EEvPKT_PKfPKiS7_S7_Pfiiiiiiiiiiiiii15HIP_vector_typeIjLj3EESA_
                                        ; -- End function
	.set _ZL13mul_mat_f_idsI15__hip_bfloat162Li64ELi13ELi5EEvPKT_PKfPKiS7_S7_Pfiiiiiiiiiiiiii15HIP_vector_typeIjLj3EESA_.num_vgpr, 119
	.set _ZL13mul_mat_f_idsI15__hip_bfloat162Li64ELi13ELi5EEvPKT_PKfPKiS7_S7_Pfiiiiiiiiiiiiii15HIP_vector_typeIjLj3EESA_.num_agpr, 0
	.set _ZL13mul_mat_f_idsI15__hip_bfloat162Li64ELi13ELi5EEvPKT_PKfPKiS7_S7_Pfiiiiiiiiiiiiii15HIP_vector_typeIjLj3EESA_.numbered_sgpr, 100
	.set _ZL13mul_mat_f_idsI15__hip_bfloat162Li64ELi13ELi5EEvPKT_PKfPKiS7_S7_Pfiiiiiiiiiiiiii15HIP_vector_typeIjLj3EESA_.num_named_barrier, 0
	.set _ZL13mul_mat_f_idsI15__hip_bfloat162Li64ELi13ELi5EEvPKT_PKfPKiS7_S7_Pfiiiiiiiiiiiiii15HIP_vector_typeIjLj3EESA_.private_seg_size, 0
	.set _ZL13mul_mat_f_idsI15__hip_bfloat162Li64ELi13ELi5EEvPKT_PKfPKiS7_S7_Pfiiiiiiiiiiiiii15HIP_vector_typeIjLj3EESA_.uses_vcc, 1
	.set _ZL13mul_mat_f_idsI15__hip_bfloat162Li64ELi13ELi5EEvPKT_PKfPKiS7_S7_Pfiiiiiiiiiiiiii15HIP_vector_typeIjLj3EESA_.uses_flat_scratch, 0
	.set _ZL13mul_mat_f_idsI15__hip_bfloat162Li64ELi13ELi5EEvPKT_PKfPKiS7_S7_Pfiiiiiiiiiiiiii15HIP_vector_typeIjLj3EESA_.has_dyn_sized_stack, 0
	.set _ZL13mul_mat_f_idsI15__hip_bfloat162Li64ELi13ELi5EEvPKT_PKfPKiS7_S7_Pfiiiiiiiiiiiiii15HIP_vector_typeIjLj3EESA_.has_recursion, 0
	.set _ZL13mul_mat_f_idsI15__hip_bfloat162Li64ELi13ELi5EEvPKT_PKfPKiS7_S7_Pfiiiiiiiiiiiiii15HIP_vector_typeIjLj3EESA_.has_indirect_call, 0
	.section	.AMDGPU.csdata,"",@progbits
; Kernel info:
; codeLenInByte = 6908
; TotalNumSgprs: 106
; NumVgprs: 119
; NumAgprs: 0
; TotalNumVgprs: 119
; ScratchSize: 0
; MemoryBound: 0
; FloatMode: 240
; IeeeMode: 1
; LDSByteSize: 0 bytes/workgroup (compile time only)
; SGPRBlocks: 13
; VGPRBlocks: 14
; NumSGPRsForWavesPerEU: 106
; NumVGPRsForWavesPerEU: 119
; AccumOffset: 120
; Occupancy: 4
; WaveLimiterHint : 1
; COMPUTE_PGM_RSRC2:SCRATCH_EN: 0
; COMPUTE_PGM_RSRC2:USER_SGPR: 2
; COMPUTE_PGM_RSRC2:TRAP_HANDLER: 0
; COMPUTE_PGM_RSRC2:TGID_X_EN: 1
; COMPUTE_PGM_RSRC2:TGID_Y_EN: 1
; COMPUTE_PGM_RSRC2:TGID_Z_EN: 1
; COMPUTE_PGM_RSRC2:TIDIG_COMP_CNT: 1
; COMPUTE_PGM_RSRC3_GFX90A:ACCUM_OFFSET: 29
; COMPUTE_PGM_RSRC3_GFX90A:TG_SPLIT: 0
	.section	.text._ZL9mul_mat_fI15__hip_bfloat162Li64ELi13ELi5ELb1EEvPKT_PKfPKiPfiiiiiiiiiiiiiiii,"axG",@progbits,_ZL9mul_mat_fI15__hip_bfloat162Li64ELi13ELi5ELb1EEvPKT_PKfPKiPfiiiiiiiiiiiiiiii,comdat
	.globl	_ZL9mul_mat_fI15__hip_bfloat162Li64ELi13ELi5ELb1EEvPKT_PKfPKiPfiiiiiiiiiiiiiiii ; -- Begin function _ZL9mul_mat_fI15__hip_bfloat162Li64ELi13ELi5ELb1EEvPKT_PKfPKiPfiiiiiiiiiiiiiiii
	.p2align	8
	.type	_ZL9mul_mat_fI15__hip_bfloat162Li64ELi13ELi5ELb1EEvPKT_PKfPKiPfiiiiiiiiiiiiiiii,@function
_ZL9mul_mat_fI15__hip_bfloat162Li64ELi13ELi5ELb1EEvPKT_PKfPKiPfiiiiiiiiiiiiiiii: ; @_ZL9mul_mat_fI15__hip_bfloat162Li64ELi13ELi5ELb1EEvPKT_PKfPKiPfiiiiiiiiiiiiiiii
; %bb.0:
	s_load_dwordx8 s[40:47], s[0:1], 0x20
	s_mov_b32 s22, s4
	v_and_b32_e32 v16, 0x3ff, v0
	v_bfe_u32 v17, v0, 10, 10
	s_waitcnt lgkmcnt(0)
	s_add_i32 s4, s41, 12
	s_mul_hi_i32 s4, s4, 0x4ec4ec4f
	s_lshr_b32 s5, s4, 31
	s_ashr_i32 s4, s4, 2
	s_add_i32 s4, s4, s5
	v_cvt_f32_u32_e32 v1, s4
	s_load_dword s5, s[0:1], 0x64
	s_add_u32 s12, s0, 0x60
	s_addc_u32 s13, s1, 0
	v_rcp_iflag_f32_e32 v1, v1
	s_sub_i32 s6, 0, s4
	s_load_dwordx4 s[48:51], s[0:1], 0x44
	s_load_dwordx2 s[8:9], s[0:1], 0x10
	v_mul_f32_e32 v1, 0x4f7ffffe, v1
	v_cvt_u32_f32_e32 v1, v1
	v_mul_lo_u32 v2, s6, v1
	v_mul_hi_u32 v2, v1, v2
	v_add_u32_e32 v1, v1, v2
	s_waitcnt lgkmcnt(0)
	v_mul_hi_u32 v1, s5, v1
	v_mul_lo_u32 v2, v1, s4
	v_sub_u32_e32 v2, s5, v2
	v_add_u32_e32 v3, 1, v1
	v_subrev_u32_e32 v4, s4, v2
	v_cmp_le_u32_e32 vcc, s4, v2
	s_nop 1
	v_cndmask_b32_e32 v1, v1, v3, vcc
	v_cndmask_b32_e32 v2, v2, v4, vcc
	v_add_u32_e32 v3, 1, v1
	v_cmp_le_u32_e32 vcc, s4, v2
	s_abs_i32 s4, s51
	s_nop 0
	v_cndmask_b32_e32 v1, v1, v3, vcc
	v_cvt_f32_u32_e32 v2, v1
	v_cvt_f32_u32_e32 v3, s4
	v_sub_u32_e32 v4, 0, v1
	v_cmp_eq_u32_e32 vcc, 0, v16
	v_rcp_iflag_f32_e32 v2, v2
	v_rcp_iflag_f32_e32 v3, v3
	v_mul_f32_e32 v2, 0x4f7ffffe, v2
	v_cvt_u32_f32_e32 v2, v2
	v_mul_lo_u32 v4, v4, v2
	v_mul_hi_u32 v4, v2, v4
	v_add_u32_e32 v2, v2, v4
	v_mul_hi_u32 v2, s3, v2
	s_and_saveexec_b64 s[6:7], vcc
; %bb.1:
	v_mov_b32_e32 v4, 0x100
	v_lshl_add_u32 v4, v17, 2, v4
	v_mov_b32_e32 v5, -1
	ds_write_b32 v4, v5
; %bb.2:
	s_or_b64 exec, exec, s[6:7]
	v_mul_f32_e32 v8, 0x4f7ffffe, v3
	v_mul_lo_u32 v3, v2, v1
	v_sub_u32_e32 v3, s3, v3
	v_add_u32_e32 v4, 1, v2
	v_sub_u32_e32 v5, v3, v1
	v_cmp_ge_u32_e64 s[6:7], v3, v1
	s_nop 1
	v_cndmask_b32_e64 v2, v2, v4, s[6:7]
	v_cndmask_b32_e64 v3, v3, v5, s[6:7]
	v_add_u32_e32 v4, 1, v2
	v_cmp_ge_u32_e64 s[6:7], v3, v1
	s_nop 1
	v_cndmask_b32_e64 v2, v2, v4, s[6:7]
	v_mul_lo_u32 v94, v2, 13
	v_mul_lo_u32 v1, v2, v1
	v_mul_hi_i32 v3, v94, s47
	v_mul_lo_u32 v2, v94, s47
	v_sub_u32_e32 v18, s3, v1
	v_lshlrev_b64 v[2:3], 2, v[2:3]
	v_add_u32_e32 v1, v17, v94
	v_lshl_add_u64 v[2:3], s[8:9], 0, v[2:3]
	v_cmp_gt_i32_e64 s[6:7], s42, v16
	v_cmp_gt_i32_e64 s[24:25], s41, v1
	v_mov_b32_e32 v1, 0
	s_and_saveexec_b64 s[14:15], s[24:25]
	s_cbranch_execz .LBB136_10
; %bb.3:
	v_mov_b32_e32 v1, 0
	s_and_saveexec_b64 s[16:17], s[6:7]
	s_cbranch_execz .LBB136_9
; %bb.4:
	v_mul_lo_u32 v4, v17, s47
	v_ashrrev_i32_e32 v5, 31, v4
	v_mov_b32_e32 v1, 0x100
	v_lshl_add_u64 v[4:5], v[4:5], 2, v[2:3]
	v_lshl_add_u32 v9, v17, 2, v1
	v_mul_lo_u32 v6, v16, s46
	s_lshl_b32 s3, s46, 6
	v_mov_b32_e32 v1, 0
	s_mov_b64 s[18:19], 0
	v_mov_b32_e32 v10, v16
	s_branch .LBB136_6
.LBB136_5:                              ;   in Loop: Header=BB136_6 Depth=1
	s_or_b64 exec, exec, s[20:21]
	v_add_u32_e32 v10, 64, v10
	v_cmp_le_i32_e64 s[10:11], s42, v10
	s_xor_b64 s[8:9], s[8:9], -1
	s_or_b64 s[8:9], s[8:9], s[10:11]
	s_and_b64 s[8:9], exec, s[8:9]
	s_or_b64 s[18:19], s[8:9], s[18:19]
	v_add_u32_e32 v6, s3, v6
	s_andn2_b64 exec, exec, s[18:19]
	s_cbranch_execz .LBB136_8
.LBB136_6:                              ; =>This Inner Loop Header: Depth=1
	v_ashrrev_i32_e32 v7, 31, v6
	v_lshl_add_u64 v[12:13], v[6:7], 2, v[4:5]
	global_load_dword v7, v[12:13], off
	s_waitcnt vmcnt(0)
	v_cmp_ne_u32_e64 s[8:9], v7, v18
	v_cmp_eq_u32_e64 s[10:11], v7, v18
	s_and_saveexec_b64 s[20:21], s[10:11]
	s_cbranch_execz .LBB136_5
; %bb.7:                                ;   in Loop: Header=BB136_6 Depth=1
	v_mov_b32_e32 v1, 1
	ds_write_b32 v9, v10
	s_branch .LBB136_5
.LBB136_8:
	s_or_b64 exec, exec, s[18:19]
.LBB136_9:
	s_or_b64 exec, exec, s[16:17]
.LBB136_10:
	s_or_b64 exec, exec, s[14:15]
	v_cvt_u32_f32_e32 v8, v8
	s_sub_i32 s3, 0, s4
	s_and_saveexec_b64 s[8:9], vcc
; %bb.11:
	v_mov_b32_e32 v4, 0x100
	v_lshl_add_u32 v4, v17, 2, v4
	v_mov_b32_e32 v5, -1
	ds_write_b32 v4, v5 offset:20
; %bb.12:
	s_or_b64 exec, exec, s[8:9]
	v_add_u32_e32 v95, 5, v17
	v_mul_lo_u32 v9, s3, v8
	v_add_u32_e32 v4, v95, v94
	v_cmp_gt_i32_e64 s[8:9], s41, v4
	s_mov_b64 s[14:15], exec
                                        ; implicit-def: $vgpr110 : SGPR spill to VGPR lane
	s_nop 0
	v_writelane_b32 v110, s8, 0
	s_nop 1
	v_writelane_b32 v110, s9, 1
	s_and_b64 s[8:9], s[14:15], s[8:9]
	s_mov_b64 exec, s[8:9]
	s_cbranch_execz .LBB136_20
; %bb.13:
	s_and_saveexec_b64 s[16:17], s[6:7]
	s_cbranch_execz .LBB136_19
; %bb.14:
	v_mul_lo_u32 v4, v95, s47
	v_ashrrev_i32_e32 v5, 31, v4
	v_mov_b32_e32 v6, 0x100
	v_lshl_add_u64 v[4:5], v[4:5], 2, v[2:3]
	v_lshl_add_u32 v10, v17, 2, v6
	v_mul_lo_u32 v6, v16, s46
	s_lshl_b32 s3, s46, 6
	s_mov_b64 s[18:19], 0
	v_mov_b32_e32 v11, v16
	s_branch .LBB136_16
.LBB136_15:                             ;   in Loop: Header=BB136_16 Depth=1
	s_or_b64 exec, exec, s[20:21]
	v_add_u32_e32 v11, 64, v11
	v_cmp_le_i32_e64 s[10:11], s42, v11
	s_xor_b64 s[8:9], s[8:9], -1
	s_or_b64 s[8:9], s[8:9], s[10:11]
	s_and_b64 s[8:9], exec, s[8:9]
	s_or_b64 s[18:19], s[8:9], s[18:19]
	v_add_u32_e32 v6, s3, v6
	s_andn2_b64 exec, exec, s[18:19]
	s_cbranch_execz .LBB136_18
.LBB136_16:                             ; =>This Inner Loop Header: Depth=1
	v_ashrrev_i32_e32 v7, 31, v6
	v_lshl_add_u64 v[12:13], v[6:7], 2, v[4:5]
	global_load_dword v7, v[12:13], off
	s_waitcnt vmcnt(0)
	v_cmp_ne_u32_e64 s[8:9], v7, v18
	v_cmp_eq_u32_e64 s[10:11], v7, v18
	s_and_saveexec_b64 s[20:21], s[10:11]
	s_cbranch_execz .LBB136_15
; %bb.17:                               ;   in Loop: Header=BB136_16 Depth=1
	v_mov_b32_e32 v1, 1
	ds_write_b32 v10, v11 offset:20
	s_branch .LBB136_15
.LBB136_18:
	s_or_b64 exec, exec, s[18:19]
.LBB136_19:
	s_or_b64 exec, exec, s[16:17]
.LBB136_20:
	s_or_b64 exec, exec, s[14:15]
	v_mul_hi_u32 v4, v8, v9
	s_and_saveexec_b64 s[8:9], vcc
; %bb.21:
	v_mov_b32_e32 v5, 0x100
	v_lshl_add_u32 v5, v17, 2, v5
	v_mov_b32_e32 v6, -1
	ds_write_b32 v5, v6 offset:40
; %bb.22:
	s_or_b64 exec, exec, s[8:9]
	s_load_dwordx4 s[28:31], s[0:1], 0x54
	v_add_u32_e32 v96, 10, v17
	s_abs_i32 s3, s22
	v_add_u32_e32 v6, v8, v4
	v_add_u32_e32 v4, v96, v94
	v_cmp_gt_i32_e64 s[10:11], s41, v4
	s_mov_b64 s[8:9], exec
	s_nop 0
	v_writelane_b32 v110, s10, 2
	s_nop 1
	v_writelane_b32 v110, s11, 3
	s_and_b64 s[10:11], s[8:9], s[10:11]
	s_mov_b64 exec, s[10:11]
	s_cbranch_execz .LBB136_30
; %bb.23:
	s_and_saveexec_b64 s[10:11], s[6:7]
	s_cbranch_execz .LBB136_29
; %bb.24:
	v_mul_lo_u32 v4, v96, s47
	v_ashrrev_i32_e32 v5, 31, v4
	v_lshl_add_u64 v[2:3], v[4:5], 2, v[2:3]
	v_mov_b32_e32 v4, 0x100
	v_lshl_add_u32 v7, v17, 2, v4
	v_mul_lo_u32 v4, v16, s46
	s_lshl_b32 s5, s46, 6
	s_mov_b64 s[14:15], 0
	v_mov_b32_e32 v8, v16
	s_branch .LBB136_26
.LBB136_25:                             ;   in Loop: Header=BB136_26 Depth=1
	s_or_b64 exec, exec, s[16:17]
	v_add_u32_e32 v8, 64, v8
	v_cmp_le_i32_e64 s[6:7], s42, v8
	s_xor_b64 s[16:17], vcc, -1
	s_or_b64 s[6:7], s[16:17], s[6:7]
	s_and_b64 s[6:7], exec, s[6:7]
	s_or_b64 s[14:15], s[6:7], s[14:15]
	v_add_u32_e32 v4, s5, v4
	s_andn2_b64 exec, exec, s[14:15]
	s_cbranch_execz .LBB136_28
.LBB136_26:                             ; =>This Inner Loop Header: Depth=1
	v_ashrrev_i32_e32 v5, 31, v4
	v_lshl_add_u64 v[10:11], v[4:5], 2, v[2:3]
	global_load_dword v5, v[10:11], off
	s_waitcnt vmcnt(0)
	v_cmp_ne_u32_e32 vcc, v5, v18
	v_cmp_eq_u32_e64 s[6:7], v5, v18
	s_and_saveexec_b64 s[16:17], s[6:7]
	s_cbranch_execz .LBB136_25
; %bb.27:                               ;   in Loop: Header=BB136_26 Depth=1
	v_mov_b32_e32 v1, 1
	ds_write_b32 v7, v8 offset:40
	s_branch .LBB136_25
.LBB136_28:
	s_or_b64 exec, exec, s[14:15]
.LBB136_29:
	s_or_b64 exec, exec, s[10:11]
.LBB136_30:
	s_or_b64 exec, exec, s[8:9]
	s_load_dwordx2 s[6:7], s[12:13], 0xc
	s_load_dwordx2 s[8:9], s[0:1], 0x8
	s_load_dwordx2 s[10:11], s[0:1], 0x18
	v_or_b32_dpp v1, v1, v1 row_shl:1 row_mask:0xf bank_mask:0xf bound_ctrl:1
	v_mul_hi_u32 v19, s3, v6
	s_waitcnt lgkmcnt(0)
	s_and_b32 s5, s7, 0xffff
	s_lshr_b32 s7, s6, 16
	v_writelane_b32 v110, s10, 4
	s_and_b32 s6, s6, 0xffff
	v_or_b32_dpp v1, v1, v1 row_shl:2 row_mask:0xf bank_mask:0xf bound_ctrl:1
	v_writelane_b32 v110, s11, 5
	s_mul_i32 s10, s7, s6
	v_or_b32_dpp v1, v1, v1 row_shl:4 row_mask:0xf bank_mask:0xf bound_ctrl:1
	s_bfe_i32 s10, s10, 0x180000
	s_mul_i32 s5, s10, s5
	v_or_b32_dpp v1, v1, v1 row_shl:8 row_mask:0xf bank_mask:0xf bound_ctrl:1
	s_add_i32 s10, s5, 63
	s_bitcmp1_b32 exec_hi, 0
	v_mov_b32_dpp v2, v1 wave_shl:1 row_mask:0xf bank_mask:0xf bound_ctrl:1
                                        ; kill: killed $sgpr12 killed $sgpr13
	s_nop 1
	v_or_b32_dpp v1, v2, v1 row_mirror row_mask:0xf bank_mask:0xf bound_ctrl:1
	s_nop 0
	v_readlane_b32 s5, v1, 32
	s_cselect_b32 s5, s5, 0
	v_readlane_b32 s11, v1, 0
	s_or_b32 s5, s5, s11
	s_andn2_b32 s10, s10, 63
	s_cmp_lg_u32 s10, 64
	v_mov_b32_e32 v1, s5
	s_cbranch_scc0 .LBB136_37
; %bb.31:
	v_bfe_u32 v0, v0, 20, 10
	v_mbcnt_lo_u32_b32 v1, -1, 0
	v_mad_u32_u24 v0, v0, s7, v17
	v_mbcnt_hi_u32_b32 v2, -1, v1
	v_mad_u64_u32 v[0:1], s[6:7], v0, s6, v[16:17]
	v_lshrrev_b32_e32 v1, 6, v0
	v_or_b32_e32 v1, v2, v1
	v_cmp_eq_u32_e32 vcc, 0, v1
	s_and_saveexec_b64 s[6:7], vcc
; %bb.32:
	v_mov_b32_e32 v1, 0
	v_mov_b32_e32 v3, s5
	ds_write_b32 v1, v3
; %bb.33:
	s_or_b64 exec, exec, s[6:7]
	v_cmp_eq_u32_e32 vcc, 0, v2
	v_cmp_lt_u32_e64 s[6:7], 63, v0
	s_and_b64 s[10:11], s[6:7], vcc
	s_waitcnt lgkmcnt(0)
	s_barrier
	s_and_saveexec_b64 s[6:7], s[10:11]
	s_cbranch_execz .LBB136_36
; %bb.34:
	v_mbcnt_lo_u32_b32 v0, exec_lo, 0
	v_mbcnt_hi_u32_b32 v0, exec_hi, v0
	v_cmp_eq_u32_e32 vcc, 0, v0
	s_and_b64 exec, exec, vcc
; %bb.35:
	v_mov_b32_e32 v0, 0
	v_mov_b32_e32 v1, s5
	ds_or_b32 v0, v1
.LBB136_36:
	s_or_b64 exec, exec, s[6:7]
	v_mov_b32_e32 v0, 0
	s_waitcnt lgkmcnt(0)
	s_barrier
	ds_read_b32 v1, v0
	s_waitcnt lgkmcnt(0)
	s_barrier
.LBB136_37:
	s_load_dwordx2 s[6:7], s[0:1], 0x0
	v_cmp_ne_u32_e32 vcc, 0, v1
	s_ashr_i32 s5, s22, 31
	s_ashr_i32 s10, s51, 31
	s_cbranch_vccz .LBB136_107
; %bb.38:
	v_lshlrev_b32_e32 v97, 6, v17
	v_add_u32_e32 v99, v97, v16
	v_cmp_le_i32_e32 vcc, s40, v99
	v_and_b32_e32 v98, 15, v16
	s_and_saveexec_b64 s[0:1], vcc
	s_xor_b64 s[0:1], exec, s[0:1]
; %bb.39:
	v_and_b32_e32 v98, 15, v16
                                        ; implicit-def: $vgpr99
                                        ; implicit-def: $vgpr19
                                        ; implicit-def: $vgpr18
; %bb.40:
	s_or_saveexec_b64 s[0:1], s[0:1]
	v_mov_b32_e32 v7, 0
	s_lshl_b32 s11, s2, 6
	v_mov_b32_e32 v6, v7
	v_mov_b32_e32 v5, v7
	v_mov_b32_e32 v4, v7
	v_mov_b32_e32 v3, v7
	v_mov_b32_e32 v2, v7
	v_mov_b32_e32 v1, v7
	v_mov_b32_e32 v0, v7
	v_mov_b32_e32 v11, v7
	v_mov_b32_e32 v10, v7
	v_mov_b32_e32 v9, v7
	v_mov_b32_e32 v8, v7
	v_mov_b32_e32 v15, v7
	v_mov_b32_e32 v14, v7
	v_mov_b32_e32 v13, v7
	v_mov_b32_e32 v12, v7
	v_writelane_b32 v110, s0, 6
	s_nop 1
	v_writelane_b32 v110, s1, 7
	s_xor_b64 exec, exec, s[0:1]
	s_cbranch_execz .LBB136_96
; %bb.41:
	v_mul_lo_u32 v0, v19, s4
	v_sub_u32_e32 v0, s3, v0
	v_add_u32_e32 v1, 1, v19
	v_subrev_u32_e32 v2, s4, v0
	v_cmp_le_u32_e32 vcc, s4, v0
	s_xor_b32 s0, s5, s10
	v_writelane_b32 v110, s24, 8
	v_cndmask_b32_e32 v1, v19, v1, vcc
	v_cndmask_b32_e32 v0, v0, v2, vcc
	v_add_u32_e32 v2, 1, v1
	v_cmp_le_u32_e32 vcc, s4, v0
	v_writelane_b32 v110, s25, 9
	v_writelane_b32 v110, s11, 10
	v_cndmask_b32_e32 v0, v1, v2, vcc
	v_xor_b32_e32 v0, s0, v0
	v_subrev_u32_e32 v0, s0, v0
	s_mul_i32 s0, s43, s11
	v_mul_hi_i32 v1, v0, s28
	v_mul_lo_u32 v0, v0, s28
	v_mul_lo_u32 v2, v18, s48
	s_ashr_i32 s1, s0, 31
	v_ashrrev_i32_e32 v3, 31, v2
	v_lshlrev_b64 v[0:1], 2, v[0:1]
	s_lshl_b64 s[2:3], s[0:1], 2
	s_movk_i32 s0, 0x1080
	v_mov_b32_e32 v100, 0x100
	v_writelane_b32 v110, s22, 11
	s_waitcnt lgkmcnt(0)
	v_lshl_add_u64 v[4:5], s[6:7], 0, v[0:1]
	v_lshlrev_b64 v[2:3], 2, v[2:3]
	v_mad_u32_u24 v6, v17, s0, v100
	s_mul_hi_i32 s1, s29, s22
	v_writelane_b32 v110, s28, 12
	s_mul_i32 s0, s29, s22
	v_lshl_add_u64 v[4:5], v[4:5], 0, v[2:3]
	s_lshl_b64 s[0:1], s[0:1], 2
	v_lshl_add_u64 v[18:19], v[4:5], 0, s[2:3]
	v_writelane_b32 v110, s29, 13
	v_mul_hi_i32 v5, s44, v94
	v_mul_lo_u32 v4, s44, v94
	s_add_u32 s0, s8, s0
	v_writelane_b32 v110, s30, 14
	v_lshlrev_b64 v[4:5], 3, v[4:5]
	s_addc_u32 s1, s9, s1
	v_writelane_b32 v110, s31, 15
	v_lshl_add_u64 v[20:21], s[0:1], 0, v[4:5]
	s_lshl_b32 s0, s44, 3
	v_writelane_b32 v110, s0, 16
	s_mul_i32 s0, s44, 6
	v_writelane_b32 v110, s0, 17
	s_lshl_b32 s0, s44, 4
	v_writelane_b32 v110, s0, 18
	s_mul_i32 s0, s44, 10
	v_writelane_b32 v110, s0, 19
	s_mul_i32 s0, s44, 12
	s_ashr_i32 s9, s43, 31
	s_mov_b32 s8, s43
	v_writelane_b32 v110, s0, 20
	v_lshl_add_u64 v[0:1], v[0:1], 0, s[2:3]
	s_lshl_b64 s[2:3], s[8:9], 2
	s_mul_i32 s8, s44, 24
	v_writelane_b32 v110, s8, 21
	s_mul_i32 s8, s44, 22
	v_lshrrev_b32_e32 v5, 1, v16
	v_lshl_add_u64 v[0:1], v[0:1], 0, v[2:3]
	v_writelane_b32 v110, s8, 22
	s_mul_i32 s8, s44, 20
	v_mul_u32_u24_e32 v4, 0x108, v98
	v_and_b32_e32 v5, 0x1f8, v5
	v_add_u32_e32 v26, 1, v94
	v_add_u32_e32 v27, 2, v94
	s_lshl_b32 s42, s44, 2
	v_add_u32_e32 v28, 3, v94
	v_add_u32_e32 v29, 4, v94
	;; [unrolled: 1-line block ×10, first 2 shown]
	v_lshl_add_u64 v[0:1], s[6:7], 0, v[0:1]
	v_lshlrev_b32_e32 v2, 1, v16
	v_lshlrev_b32_e32 v22, 2, v99
	v_mov_b32_e32 v23, 0
	v_writelane_b32 v110, s8, 23
	s_mul_i32 s8, s44, 18
	v_lshl_add_u32 v101, v16, 2, v6
	v_add3_u32 v102, v6, v4, v5
	s_add_i32 s56, s43, s43
	s_mul_i32 s57, s43, 3
	s_lshl_b32 s58, s43, 2
	s_mul_i32 s59, s43, 5
	s_mul_i32 s60, s43, 6
	;; [unrolled: 1-line block ×3, first 2 shown]
	s_lshl_b32 s62, s43, 3
	s_mul_i32 s63, s43, 9
	s_mul_i32 s64, s43, 10
	;; [unrolled: 1-line block ×7, first 2 shown]
	s_lshl_b32 s70, s43, 4
	s_mul_i32 s71, s43, 17
	s_mul_i32 s72, s43, 18
	;; [unrolled: 1-line block ×15, first 2 shown]
	s_lshl_b32 s86, s43, 5
	s_mul_i32 s87, s43, 33
	s_mul_i32 s88, s43, 34
	;; [unrolled: 1-line block ×17, first 2 shown]
	v_cmp_gt_i32_e64 s[6:7], s41, v94
	s_mul_i32 s37, s43, 50
	s_mul_i32 s46, s43, 51
	v_lshl_add_u32 v103, v17, 7, v2
	v_lshl_add_u64 v[24:25], v[0:1], 0, v[22:23]
	v_mov_b32_e32 v12, 0
	v_mov_b32_e32 v13, v23
	;; [unrolled: 1-line block ×16, first 2 shown]
	s_mul_i32 s47, s43, 52
	s_mul_i32 s34, s43, 53
	;; [unrolled: 1-line block ×12, first 2 shown]
	v_writelane_b32 v110, s8, 24
	s_mul_i32 s55, s44, 14
	s_lshl_b32 s44, s44, 1
	v_cmp_gt_i32_e64 s[8:9], s41, v26
	v_cmp_gt_i32_e64 s[10:11], s41, v27
	;; [unrolled: 1-line block ×12, first 2 shown]
	s_mov_b32 s41, s42
	s_mov_b64 s[42:43], 0
	s_branch .LBB136_44
.LBB136_42:                             ;   in Loop: Header=BB136_44 Depth=1
	v_mul_lo_u32 v22, v22, s49
	v_readlane_b32 vcc_lo, v110, 21
	s_nop 1
	v_add_u32_e32 v22, vcc_lo, v22
	v_add_u32_e32 v90, v22, v103
	v_ashrrev_i32_e32 v91, 31, v90
	v_lshl_add_u64 v[90:91], v[90:91], 2, v[20:21]
	global_load_dwordx2 v[90:91], v[90:91], off
.LBB136_43:                             ;   in Loop: Header=BB136_44 Depth=1
	s_waitcnt vmcnt(0)
	v_cvt_pk_bf16_f32 v22, v90, v91
	v_add_u32_e32 v90, 0xc00, v101
	ds_write2_b32 v90, v22, v23 offset0:40 offset1:106
	ds_write2_b32 v90, v23, v23 offset0:172 offset1:238
	ds_read2_b64 v[90:93], v102 offset0:8 offset1:12
	v_add_u32_e32 v99, 0x140, v99
	s_mov_b64 vcc, 0x500
	v_lshl_add_u64 v[24:25], v[24:25], 0, vcc
	s_waitcnt lgkmcnt(0)
	v_mfma_f32_16x16x16_bf16 v[0:3], v[58:59], v[90:91], v[0:3]
	v_cmp_le_i32_e32 vcc, s40, v99
	v_add_u32_e32 v103, 0x280, v103
	s_or_b64 s[42:43], vcc, s[42:43]
	v_mfma_f32_16x16x16_bf16 v[4:7], v[42:43], v[90:91], v[4:7]
	v_mfma_f32_16x16x16_bf16 v[8:11], v[74:75], v[90:91], v[8:11]
	v_mfma_f32_16x16x16_bf16 v[12:15], v[88:89], v[90:91], v[12:15]
	v_mfma_f32_16x16x16_bf16 v[0:3], v[56:57], v[92:93], v[0:3]
	ds_read2_b64 v[56:59], v102 offset0:16 offset1:20
	v_mfma_f32_16x16x16_bf16 v[4:7], v[38:39], v[92:93], v[4:7]
	v_mfma_f32_16x16x16_bf16 v[8:11], v[72:73], v[92:93], v[8:11]
	v_mfma_f32_16x16x16_bf16 v[12:15], v[86:87], v[92:93], v[12:15]
	s_waitcnt lgkmcnt(0)
	v_mfma_f32_16x16x16_bf16 v[4:7], v[36:37], v[56:57], v[4:7]
	v_mfma_f32_16x16x16_bf16 v[0:3], v[54:55], v[56:57], v[0:3]
	v_mfma_f32_16x16x16_bf16 v[8:11], v[70:71], v[56:57], v[8:11]
	v_mfma_f32_16x16x16_bf16 v[12:15], v[82:83], v[56:57], v[12:15]
	v_mfma_f32_16x16x16_bf16 v[4:7], v[34:35], v[58:59], v[4:7]
	ds_read2_b64 v[34:37], v102 offset0:24 offset1:28
	v_mfma_f32_16x16x16_bf16 v[0:3], v[52:53], v[58:59], v[0:3]
	v_mfma_f32_16x16x16_bf16 v[8:11], v[68:69], v[58:59], v[8:11]
	v_mfma_f32_16x16x16_bf16 v[12:15], v[78:79], v[58:59], v[12:15]
	s_waitcnt lgkmcnt(0)
	v_mfma_f32_16x16x16_bf16 v[4:7], v[32:33], v[34:35], v[4:7]
	;; [unrolled: 10-line block ×3, first 2 shown]
	v_mfma_f32_16x16x16_bf16 v[0:3], v[46:47], v[30:31], v[0:3]
	v_mfma_f32_16x16x16_bf16 v[8:11], v[60:61], v[30:31], v[8:11]
	;; [unrolled: 1-line block ×7, first 2 shown]
	s_andn2_b64 exec, exec, s[42:43]
	s_cbranch_execz .LBB136_95
.LBB136_44:                             ; =>This Inner Loop Header: Depth=1
	v_lshl_add_u64 v[26:27], v[24:25], 0, s[2:3]
	global_load_dword v22, v[24:25], off
	global_load_dword v52, v[26:27], off
	v_add_u32_e32 v26, s56, v99
	v_ashrrev_i32_e32 v27, 31, v26
	v_add_u32_e32 v28, s57, v99
	v_add_u32_e32 v30, s58, v99
	;; [unrolled: 1-line block ×5, first 2 shown]
	v_lshl_add_u64 v[26:27], v[26:27], 2, v[18:19]
	v_ashrrev_i32_e32 v29, 31, v28
	v_ashrrev_i32_e32 v31, 31, v30
	;; [unrolled: 1-line block ×5, first 2 shown]
	v_lshl_add_u64 v[28:29], v[28:29], 2, v[18:19]
	v_lshl_add_u64 v[30:31], v[30:31], 2, v[18:19]
	;; [unrolled: 1-line block ×5, first 2 shown]
	global_load_dword v53, v[26:27], off
	global_load_dword v54, v[28:29], off
	;; [unrolled: 1-line block ×6, first 2 shown]
	v_add_u32_e32 v26, s62, v99
	v_add_u32_e32 v44, s71, v99
	;; [unrolled: 1-line block ×10, first 2 shown]
	v_ashrrev_i32_e32 v27, 31, v26
	v_ashrrev_i32_e32 v45, 31, v44
	;; [unrolled: 1-line block ×10, first 2 shown]
	v_lshl_add_u64 v[26:27], v[26:27], 2, v[18:19]
	v_lshl_add_u64 v[44:45], v[44:45], 2, v[18:19]
	v_add_u32_e32 v46, s72, v99
	v_add_u32_e32 v48, s73, v99
	v_add_u32_e32 v50, s74, v99
	v_lshl_add_u64 v[28:29], v[28:29], 2, v[18:19]
	v_lshl_add_u64 v[30:31], v[30:31], 2, v[18:19]
	v_lshl_add_u64 v[32:33], v[32:33], 2, v[18:19]
	v_lshl_add_u64 v[34:35], v[34:35], 2, v[18:19]
	v_lshl_add_u64 v[36:37], v[36:37], 2, v[18:19]
	v_lshl_add_u64 v[38:39], v[38:39], 2, v[18:19]
	v_lshl_add_u64 v[40:41], v[40:41], 2, v[18:19]
	v_lshl_add_u64 v[42:43], v[42:43], 2, v[18:19]
	global_load_dword v59, v[26:27], off
	global_load_dword v60, v[28:29], off
	;; [unrolled: 1-line block ×9, first 2 shown]
	s_nop 0
	global_load_dword v44, v[44:45], off
	v_add_u32_e32 v26, s75, v99
	v_ashrrev_i32_e32 v47, 31, v46
	v_ashrrev_i32_e32 v49, 31, v48
	;; [unrolled: 1-line block ×4, first 2 shown]
	v_add_u32_e32 v28, s76, v99
	v_add_u32_e32 v30, s77, v99
	;; [unrolled: 1-line block ×4, first 2 shown]
	v_lshl_add_u64 v[46:47], v[46:47], 2, v[18:19]
	v_lshl_add_u64 v[48:49], v[48:49], 2, v[18:19]
	;; [unrolled: 1-line block ×4, first 2 shown]
	v_ashrrev_i32_e32 v29, 31, v28
	v_ashrrev_i32_e32 v31, 31, v30
	;; [unrolled: 1-line block ×4, first 2 shown]
	v_lshl_add_u64 v[28:29], v[28:29], 2, v[18:19]
	v_lshl_add_u64 v[30:31], v[30:31], 2, v[18:19]
	;; [unrolled: 1-line block ×4, first 2 shown]
	v_add_u32_e32 v36, s85, v99
	v_add_u32_e32 v38, s86, v99
	;; [unrolled: 1-line block ×3, first 2 shown]
	v_ashrrev_i32_e32 v37, 31, v36
	v_ashrrev_i32_e32 v39, 31, v38
	;; [unrolled: 1-line block ×3, first 2 shown]
	v_lshl_add_u64 v[36:37], v[36:37], 2, v[18:19]
	s_waitcnt vmcnt(17)
	ds_write_b32 v101, v22 offset:64
	s_waitcnt vmcnt(16)
	ds_write_b32 v101, v52 offset:328
	s_waitcnt vmcnt(15)
	ds_write_b32 v101, v53 offset:592
	s_waitcnt vmcnt(14)
	ds_write_b32 v101, v54 offset:856
	s_waitcnt vmcnt(13)
	ds_write_b32 v101, v55 offset:1120
	s_waitcnt vmcnt(12)
	ds_write_b32 v101, v56 offset:1384
	s_waitcnt vmcnt(11)
	ds_write_b32 v101, v57 offset:1648
	s_waitcnt vmcnt(10)
	ds_write_b32 v101, v58 offset:1912
	global_load_dword v22, v[46:47], off
	global_load_dword v45, v[48:49], off
	s_nop 0
	global_load_dword v46, v[50:51], off
	global_load_dword v47, v[26:27], off
	;; [unrolled: 1-line block ×4, first 2 shown]
	s_nop 0
	global_load_dword v50, v[32:33], off
	global_load_dword v51, v[34:35], off
	v_add_u32_e32 v26, s80, v99
	v_ashrrev_i32_e32 v27, 31, v26
	v_add_u32_e32 v28, s81, v99
	v_add_u32_e32 v30, s82, v99
	;; [unrolled: 1-line block ×4, first 2 shown]
	v_lshl_add_u64 v[26:27], v[26:27], 2, v[18:19]
	v_ashrrev_i32_e32 v29, 31, v28
	v_ashrrev_i32_e32 v31, 31, v30
	v_ashrrev_i32_e32 v33, 31, v32
	v_ashrrev_i32_e32 v35, 31, v34
	v_lshl_add_u64 v[28:29], v[28:29], 2, v[18:19]
	v_lshl_add_u64 v[30:31], v[30:31], 2, v[18:19]
	v_lshl_add_u64 v[32:33], v[32:33], 2, v[18:19]
	v_lshl_add_u64 v[34:35], v[34:35], 2, v[18:19]
	v_lshl_add_u64 v[38:39], v[38:39], 2, v[18:19]
	v_lshl_add_u64 v[40:41], v[40:41], 2, v[18:19]
	global_load_dword v52, v[26:27], off
	global_load_dword v53, v[28:29], off
	global_load_dword v54, v[30:31], off
	global_load_dword v55, v[32:33], off
	global_load_dword v56, v[34:35], off
	global_load_dword v57, v[36:37], off
	global_load_dword v68, v[38:39], off
	global_load_dword v69, v[40:41], off
	v_add_u32_e32 v26, s88, v99
	v_ashrrev_i32_e32 v27, 31, v26
	v_add_u32_e32 v28, s89, v99
	v_add_u32_e32 v30, s90, v99
	v_add_u32_e32 v32, s91, v99
	v_add_u32_e32 v34, s92, v99
	v_add_u32_e32 v36, s93, v99
	v_add_u32_e32 v38, s94, v99
	v_add_u32_e32 v40, s95, v99
	v_lshl_add_u64 v[26:27], v[26:27], 2, v[18:19]
	v_ashrrev_i32_e32 v29, 31, v28
	v_ashrrev_i32_e32 v31, 31, v30
	v_ashrrev_i32_e32 v33, 31, v32
	v_ashrrev_i32_e32 v35, 31, v34
	v_ashrrev_i32_e32 v37, 31, v36
	v_ashrrev_i32_e32 v39, 31, v38
	v_ashrrev_i32_e32 v41, 31, v40
	v_lshl_add_u64 v[28:29], v[28:29], 2, v[18:19]
	v_lshl_add_u64 v[30:31], v[30:31], 2, v[18:19]
	v_lshl_add_u64 v[32:33], v[32:33], 2, v[18:19]
	v_lshl_add_u64 v[34:35], v[34:35], 2, v[18:19]
	v_lshl_add_u64 v[36:37], v[36:37], 2, v[18:19]
	v_lshl_add_u64 v[38:39], v[38:39], 2, v[18:19]
	v_lshl_add_u64 v[40:41], v[40:41], 2, v[18:19]
	global_load_dword v70, v[26:27], off
	global_load_dword v71, v[28:29], off
	global_load_dword v72, v[30:31], off
	global_load_dword v73, v[32:33], off
	global_load_dword v74, v[34:35], off
	global_load_dword v75, v[36:37], off
	global_load_dword v76, v[38:39], off
	global_load_dword v77, v[40:41], off
	v_add_u32_e32 v26, s96, v99
	v_ashrrev_i32_e32 v27, 31, v26
	v_add_u32_e32 v28, s97, v99
	v_add_u32_e32 v30, s98, v99
	v_add_u32_e32 v32, s99, v99
	v_add_u32_e32 v34, s5, v99
	v_add_u32_e32 v36, s0, v99
	v_add_u32_e32 v38, s1, v99
	v_add_u32_e32 v40, s36, v99
	v_lshl_add_u64 v[26:27], v[26:27], 2, v[18:19]
	v_ashrrev_i32_e32 v29, 31, v28
	v_ashrrev_i32_e32 v31, 31, v30
	v_ashrrev_i32_e32 v33, 31, v32
	v_ashrrev_i32_e32 v35, 31, v34
	v_ashrrev_i32_e32 v37, 31, v36
	v_ashrrev_i32_e32 v39, 31, v38
	v_ashrrev_i32_e32 v41, 31, v40
	v_lshl_add_u64 v[28:29], v[28:29], 2, v[18:19]
	v_lshl_add_u64 v[30:31], v[30:31], 2, v[18:19]
	v_lshl_add_u64 v[32:33], v[32:33], 2, v[18:19]
	v_lshl_add_u64 v[34:35], v[34:35], 2, v[18:19]
	v_lshl_add_u64 v[36:37], v[36:37], 2, v[18:19]
	v_lshl_add_u64 v[38:39], v[38:39], 2, v[18:19]
	v_lshl_add_u64 v[40:41], v[40:41], 2, v[18:19]
	global_load_dword v78, v[26:27], off
	global_load_dword v79, v[28:29], off
	global_load_dword v80, v[30:31], off
	global_load_dword v81, v[32:33], off
	global_load_dword v82, v[34:35], off
	global_load_dword v83, v[36:37], off
	global_load_dword v84, v[38:39], off
	global_load_dword v85, v[40:41], off
	v_add_u32_e32 v26, s37, v99
	v_ashrrev_i32_e32 v27, 31, v26
	v_add_u32_e32 v28, s46, v99
	v_add_u32_e32 v30, s47, v99
	v_add_u32_e32 v32, s34, v99
	v_add_u32_e32 v34, s35, v99
	v_add_u32_e32 v36, s38, v99
	v_add_u32_e32 v38, s39, v99
	v_add_u32_e32 v40, s54, v99
	v_lshl_add_u64 v[26:27], v[26:27], 2, v[18:19]
	v_ashrrev_i32_e32 v29, 31, v28
	v_ashrrev_i32_e32 v31, 31, v30
	v_ashrrev_i32_e32 v33, 31, v32
	v_ashrrev_i32_e32 v35, 31, v34
	v_ashrrev_i32_e32 v37, 31, v36
	v_ashrrev_i32_e32 v39, 31, v38
	v_ashrrev_i32_e32 v41, 31, v40
	v_lshl_add_u64 v[28:29], v[28:29], 2, v[18:19]
	v_lshl_add_u64 v[30:31], v[30:31], 2, v[18:19]
	v_lshl_add_u64 v[32:33], v[32:33], 2, v[18:19]
	;; [unrolled: 1-line block ×6, first 2 shown]
	global_load_dword v86, v[26:27], off
	global_load_dword v87, v[28:29], off
	;; [unrolled: 1-line block ×8, first 2 shown]
	v_add_u32_e32 v26, s33, v99
	v_ashrrev_i32_e32 v27, 31, v26
	v_add_u32_e32 v28, s4, v99
	v_add_u32_e32 v30, s48, v99
	;; [unrolled: 1-line block ×5, first 2 shown]
	v_lshl_add_u64 v[26:27], v[26:27], 2, v[18:19]
	v_ashrrev_i32_e32 v29, 31, v28
	v_ashrrev_i32_e32 v31, 31, v30
	;; [unrolled: 1-line block ×5, first 2 shown]
	v_lshl_add_u64 v[28:29], v[28:29], 2, v[18:19]
	v_lshl_add_u64 v[30:31], v[30:31], 2, v[18:19]
	;; [unrolled: 1-line block ×5, first 2 shown]
	global_load_dword v104, v[26:27], off
	global_load_dword v105, v[28:29], off
	global_load_dword v106, v[30:31], off
	global_load_dword v107, v[32:33], off
	global_load_dword v108, v[34:35], off
	global_load_dword v109, v[36:37], off
	s_waitcnt vmcnt(55)
	ds_write_b32 v101, v59 offset:2176
	s_waitcnt vmcnt(54)
	ds_write_b32 v101, v60 offset:2440
	s_waitcnt vmcnt(53)
	ds_write_b32 v101, v61 offset:2704
	s_waitcnt vmcnt(52)
	ds_write_b32 v101, v62 offset:2968
	s_waitcnt vmcnt(51)
	ds_write_b32 v101, v63 offset:3232
	s_waitcnt vmcnt(50)
	ds_write_b32 v101, v64 offset:3496
	s_waitcnt vmcnt(49)
	ds_write_b32 v101, v65 offset:3760
	s_waitcnt vmcnt(48)
	ds_write_b32 v101, v66 offset:4024
	ds_read_b64 v[42:43], v102 offset:64
	ds_read_b64 v[38:39], v102 offset:96
	ds_read_b64 v[36:37], v102 offset:128
	ds_read_b64 v[34:35], v102 offset:160
	ds_read_b64 v[32:33], v102 offset:192
	ds_read_b64 v[30:31], v102 offset:224
	ds_read_b64 v[28:29], v102 offset:256
	ds_read_b64 v[26:27], v102 offset:288
	s_waitcnt vmcnt(47)
	ds_write_b32 v101, v67 offset:64
	s_waitcnt vmcnt(46)
	ds_write_b32 v101, v44 offset:328
	s_waitcnt vmcnt(45)
	ds_write_b32 v101, v22 offset:592
	s_waitcnt vmcnt(44)
	ds_write_b32 v101, v45 offset:856
	s_waitcnt vmcnt(43)
	ds_write_b32 v101, v46 offset:1120
	s_waitcnt vmcnt(42)
	ds_write_b32 v101, v47 offset:1384
	s_waitcnt vmcnt(41)
	ds_write_b32 v101, v48 offset:1648
	s_waitcnt vmcnt(40)
	ds_write_b32 v101, v49 offset:1912
	s_waitcnt vmcnt(39)
	ds_write_b32 v101, v50 offset:2176
	s_waitcnt vmcnt(38)
	ds_write_b32 v101, v51 offset:2440
	s_waitcnt vmcnt(37)
	ds_write_b32 v101, v52 offset:2704
	s_waitcnt vmcnt(36)
	ds_write_b32 v101, v53 offset:2968
	s_waitcnt vmcnt(35)
	ds_write_b32 v101, v54 offset:3232
	s_waitcnt vmcnt(34)
	ds_write_b32 v101, v55 offset:3496
	s_waitcnt vmcnt(33)
	ds_write_b32 v101, v56 offset:3760
	s_waitcnt vmcnt(32)
	ds_write_b32 v101, v57 offset:4024
	ds_read_b64 v[58:59], v102 offset:64
	ds_read_b64 v[56:57], v102 offset:96
	ds_read_b64 v[54:55], v102 offset:128
	ds_read_b64 v[52:53], v102 offset:160
	ds_read_b64 v[50:51], v102 offset:192
	ds_read_b64 v[48:49], v102 offset:224
	ds_read_b64 v[46:47], v102 offset:256
	ds_read_b64 v[40:41], v102 offset:288
	s_waitcnt vmcnt(31)
	ds_write_b32 v101, v68 offset:64
	s_waitcnt vmcnt(30)
	ds_write_b32 v101, v69 offset:328
	s_waitcnt vmcnt(29)
	ds_write_b32 v101, v70 offset:592
	s_waitcnt vmcnt(28)
	ds_write_b32 v101, v71 offset:856
	s_waitcnt vmcnt(27)
	ds_write_b32 v101, v72 offset:1120
	s_waitcnt vmcnt(26)
	ds_write_b32 v101, v73 offset:1384
	s_waitcnt vmcnt(25)
	ds_write_b32 v101, v74 offset:1648
	s_waitcnt vmcnt(24)
	ds_write_b32 v101, v75 offset:1912
	;; [unrolled: 40-line block ×3, first 2 shown]
	s_waitcnt vmcnt(7)
	ds_write_b32 v101, v92 offset:2176
	s_waitcnt vmcnt(6)
	ds_write_b32 v101, v93 offset:2440
	;; [unrolled: 2-line block ×8, first 2 shown]
	ds_read_b64 v[88:89], v102 offset:64
	ds_read_b64 v[86:87], v102 offset:96
	;; [unrolled: 1-line block ×8, first 2 shown]
	s_andn2_b64 vcc, exec, s[6:7]
	v_mov_b32_e32 v90, 0
	v_mov_b32_e32 v91, 0
	s_cbranch_vccnz .LBB136_48
; %bb.45:                               ;   in Loop: Header=BB136_44 Depth=1
	ds_read_b32 v22, v100
	s_waitcnt lgkmcnt(0)
	v_cmp_gt_i32_e32 vcc, 0, v22
	s_cbranch_vccnz .LBB136_47
; %bb.46:                               ;   in Loop: Header=BB136_44 Depth=1
	v_mul_lo_u32 v22, v22, s49
	v_add_u32_e32 v90, v103, v22
	v_ashrrev_i32_e32 v91, 31, v90
	v_lshl_add_u64 v[90:91], v[90:91], 2, v[20:21]
	global_load_dwordx2 v[90:91], v[90:91], off
	s_branch .LBB136_48
.LBB136_47:                             ;   in Loop: Header=BB136_44 Depth=1
	v_mov_b32_e32 v90, 0
	v_mov_b32_e32 v91, 0
.LBB136_48:                             ;   in Loop: Header=BB136_44 Depth=1
	s_waitcnt vmcnt(0)
	v_cvt_pk_bf16_f32 v22, v90, v91
	v_mov_b32_e32 v90, 0
	s_andn2_b64 vcc, exec, s[8:9]
	v_mov_b32_e32 v92, 0
	v_mov_b32_e32 v93, 0
	ds_write_b32 v101, v22 offset:64
	s_cbranch_vccnz .LBB136_52
; %bb.49:                               ;   in Loop: Header=BB136_44 Depth=1
	ds_read_b32 v22, v100 offset:4
	s_waitcnt lgkmcnt(0)
	v_cmp_gt_i32_e32 vcc, 0, v22
	s_cbranch_vccnz .LBB136_51
; %bb.50:                               ;   in Loop: Header=BB136_44 Depth=1
	v_mul_lo_u32 v22, v22, s49
	v_add_u32_e32 v22, s44, v22
	v_add_u32_e32 v92, v22, v103
	v_ashrrev_i32_e32 v93, 31, v92
	v_lshl_add_u64 v[92:93], v[92:93], 2, v[20:21]
	global_load_dwordx2 v[92:93], v[92:93], off
	s_branch .LBB136_52
.LBB136_51:                             ;   in Loop: Header=BB136_44 Depth=1
	v_mov_b32_e32 v92, 0
	v_mov_b32_e32 v93, 0
.LBB136_52:                             ;   in Loop: Header=BB136_44 Depth=1
	s_waitcnt vmcnt(0)
	v_cvt_pk_bf16_f32 v22, v92, v93
	s_andn2_b64 vcc, exec, s[10:11]
	v_mov_b32_e32 v91, 0
	ds_write_b32 v101, v22 offset:328
	s_cbranch_vccnz .LBB136_56
; %bb.53:                               ;   in Loop: Header=BB136_44 Depth=1
	ds_read_b32 v22, v100 offset:8
	s_waitcnt lgkmcnt(0)
	v_cmp_gt_i32_e32 vcc, 0, v22
	s_cbranch_vccnz .LBB136_55
; %bb.54:                               ;   in Loop: Header=BB136_44 Depth=1
	v_mul_lo_u32 v22, v22, s49
	v_add_u32_e32 v22, s41, v22
	v_add_u32_e32 v90, v22, v103
	v_ashrrev_i32_e32 v91, 31, v90
	v_lshl_add_u64 v[90:91], v[90:91], 2, v[20:21]
	global_load_dwordx2 v[90:91], v[90:91], off
	s_branch .LBB136_56
.LBB136_55:                             ;   in Loop: Header=BB136_44 Depth=1
	v_mov_b32_e32 v90, 0
	v_mov_b32_e32 v91, 0
.LBB136_56:                             ;   in Loop: Header=BB136_44 Depth=1
	s_waitcnt vmcnt(0)
	v_cvt_pk_bf16_f32 v22, v90, v91
	v_mov_b32_e32 v90, 0
	s_andn2_b64 vcc, exec, s[12:13]
	v_mov_b32_e32 v92, 0
	v_mov_b32_e32 v93, 0
	ds_write_b32 v101, v22 offset:592
	s_cbranch_vccnz .LBB136_60
; %bb.57:                               ;   in Loop: Header=BB136_44 Depth=1
	ds_read_b32 v22, v100 offset:12
	s_waitcnt lgkmcnt(0)
	v_cmp_gt_i32_e32 vcc, 0, v22
	s_cbranch_vccnz .LBB136_59
; %bb.58:                               ;   in Loop: Header=BB136_44 Depth=1
	v_mul_lo_u32 v22, v22, s49
	v_readlane_b32 vcc_lo, v110, 17
	s_nop 1
	v_add_u32_e32 v22, vcc_lo, v22
	v_add_u32_e32 v92, v22, v103
	v_ashrrev_i32_e32 v93, 31, v92
	v_lshl_add_u64 v[92:93], v[92:93], 2, v[20:21]
	global_load_dwordx2 v[92:93], v[92:93], off
	s_branch .LBB136_60
.LBB136_59:                             ;   in Loop: Header=BB136_44 Depth=1
	v_mov_b32_e32 v92, 0
	v_mov_b32_e32 v93, 0
.LBB136_60:                             ;   in Loop: Header=BB136_44 Depth=1
	s_waitcnt vmcnt(0)
	v_cvt_pk_bf16_f32 v22, v92, v93
	s_andn2_b64 vcc, exec, s[14:15]
	v_mov_b32_e32 v91, 0
	ds_write_b32 v101, v22 offset:856
	s_cbranch_vccnz .LBB136_64
; %bb.61:                               ;   in Loop: Header=BB136_44 Depth=1
	ds_read_b32 v22, v100 offset:16
	s_waitcnt lgkmcnt(0)
	v_cmp_gt_i32_e32 vcc, 0, v22
	s_cbranch_vccnz .LBB136_63
; %bb.62:                               ;   in Loop: Header=BB136_44 Depth=1
	v_mul_lo_u32 v22, v22, s49
	v_readlane_b32 vcc_lo, v110, 16
	s_nop 1
	v_add_u32_e32 v22, vcc_lo, v22
	v_add_u32_e32 v90, v22, v103
	v_ashrrev_i32_e32 v91, 31, v90
	v_lshl_add_u64 v[90:91], v[90:91], 2, v[20:21]
	global_load_dwordx2 v[90:91], v[90:91], off
	s_branch .LBB136_64
.LBB136_63:                             ;   in Loop: Header=BB136_44 Depth=1
	v_mov_b32_e32 v90, 0
	v_mov_b32_e32 v91, 0
.LBB136_64:                             ;   in Loop: Header=BB136_44 Depth=1
	s_waitcnt vmcnt(0)
	v_cvt_pk_bf16_f32 v22, v90, v91
	v_mov_b32_e32 v90, 0
	s_andn2_b64 vcc, exec, s[16:17]
	v_mov_b32_e32 v92, 0
	v_mov_b32_e32 v93, 0
	ds_write_b32 v101, v22 offset:1120
	s_cbranch_vccnz .LBB136_68
; %bb.65:                               ;   in Loop: Header=BB136_44 Depth=1
	ds_read_b32 v22, v100 offset:20
	s_waitcnt lgkmcnt(0)
	v_cmp_gt_i32_e32 vcc, 0, v22
	s_cbranch_vccnz .LBB136_67
; %bb.66:                               ;   in Loop: Header=BB136_44 Depth=1
	v_mul_lo_u32 v22, v22, s49
	v_readlane_b32 vcc_lo, v110, 19
	s_nop 1
	v_add_u32_e32 v22, vcc_lo, v22
	v_add_u32_e32 v92, v22, v103
	v_ashrrev_i32_e32 v93, 31, v92
	v_lshl_add_u64 v[92:93], v[92:93], 2, v[20:21]
	global_load_dwordx2 v[92:93], v[92:93], off
	s_branch .LBB136_68
.LBB136_67:                             ;   in Loop: Header=BB136_44 Depth=1
	v_mov_b32_e32 v92, 0
	v_mov_b32_e32 v93, 0
.LBB136_68:                             ;   in Loop: Header=BB136_44 Depth=1
	s_waitcnt vmcnt(0)
	v_cvt_pk_bf16_f32 v22, v92, v93
	s_andn2_b64 vcc, exec, s[18:19]
	v_mov_b32_e32 v91, 0
	ds_write_b32 v101, v22 offset:1384
	s_cbranch_vccnz .LBB136_72
; %bb.69:                               ;   in Loop: Header=BB136_44 Depth=1
	ds_read_b32 v22, v100 offset:24
	s_waitcnt lgkmcnt(0)
	v_cmp_gt_i32_e32 vcc, 0, v22
	s_cbranch_vccnz .LBB136_71
; %bb.70:                               ;   in Loop: Header=BB136_44 Depth=1
	v_mul_lo_u32 v22, v22, s49
	v_readlane_b32 vcc_lo, v110, 20
	s_nop 1
	v_add_u32_e32 v22, vcc_lo, v22
	v_add_u32_e32 v90, v22, v103
	v_ashrrev_i32_e32 v91, 31, v90
	v_lshl_add_u64 v[90:91], v[90:91], 2, v[20:21]
	global_load_dwordx2 v[90:91], v[90:91], off
	s_branch .LBB136_72
.LBB136_71:                             ;   in Loop: Header=BB136_44 Depth=1
	v_mov_b32_e32 v90, 0
	v_mov_b32_e32 v91, 0
.LBB136_72:                             ;   in Loop: Header=BB136_44 Depth=1
	s_waitcnt vmcnt(0)
	v_cvt_pk_bf16_f32 v22, v90, v91
	v_mov_b32_e32 v90, 0
	s_andn2_b64 vcc, exec, s[20:21]
	v_mov_b32_e32 v92, 0
	v_mov_b32_e32 v93, 0
	ds_write_b32 v101, v22 offset:1648
	s_cbranch_vccnz .LBB136_76
; %bb.73:                               ;   in Loop: Header=BB136_44 Depth=1
	ds_read_b32 v22, v100 offset:28
	s_waitcnt lgkmcnt(0)
	v_cmp_gt_i32_e32 vcc, 0, v22
	s_cbranch_vccnz .LBB136_75
; %bb.74:                               ;   in Loop: Header=BB136_44 Depth=1
	v_mul_lo_u32 v22, v22, s49
	v_add_u32_e32 v22, s55, v22
	v_add_u32_e32 v92, v22, v103
	v_ashrrev_i32_e32 v93, 31, v92
	v_lshl_add_u64 v[92:93], v[92:93], 2, v[20:21]
	global_load_dwordx2 v[92:93], v[92:93], off
	s_branch .LBB136_76
.LBB136_75:                             ;   in Loop: Header=BB136_44 Depth=1
	v_mov_b32_e32 v92, 0
	v_mov_b32_e32 v93, 0
.LBB136_76:                             ;   in Loop: Header=BB136_44 Depth=1
	s_waitcnt vmcnt(0)
	v_cvt_pk_bf16_f32 v22, v92, v93
	s_andn2_b64 vcc, exec, s[22:23]
	v_mov_b32_e32 v91, 0
	ds_write_b32 v101, v22 offset:1912
	s_cbranch_vccnz .LBB136_80
; %bb.77:                               ;   in Loop: Header=BB136_44 Depth=1
	ds_read_b32 v22, v100 offset:32
	s_waitcnt lgkmcnt(0)
	v_cmp_gt_i32_e32 vcc, 0, v22
	s_cbranch_vccnz .LBB136_79
; %bb.78:                               ;   in Loop: Header=BB136_44 Depth=1
	v_mul_lo_u32 v22, v22, s49
	v_readlane_b32 vcc_lo, v110, 18
	s_nop 1
	v_add_u32_e32 v22, vcc_lo, v22
	v_add_u32_e32 v90, v22, v103
	v_ashrrev_i32_e32 v91, 31, v90
	v_lshl_add_u64 v[90:91], v[90:91], 2, v[20:21]
	global_load_dwordx2 v[90:91], v[90:91], off
	s_branch .LBB136_80
.LBB136_79:                             ;   in Loop: Header=BB136_44 Depth=1
	v_mov_b32_e32 v90, 0
	v_mov_b32_e32 v91, 0
.LBB136_80:                             ;   in Loop: Header=BB136_44 Depth=1
	s_waitcnt vmcnt(0)
	v_cvt_pk_bf16_f32 v22, v90, v91
	v_mov_b32_e32 v90, 0
	s_andn2_b64 vcc, exec, s[24:25]
	v_mov_b32_e32 v92, 0
	v_mov_b32_e32 v93, 0
	ds_write_b32 v101, v22 offset:2176
	s_cbranch_vccnz .LBB136_84
; %bb.81:                               ;   in Loop: Header=BB136_44 Depth=1
	ds_read_b32 v22, v100 offset:36
	s_waitcnt lgkmcnt(0)
	v_cmp_gt_i32_e32 vcc, 0, v22
	s_cbranch_vccnz .LBB136_83
; %bb.82:                               ;   in Loop: Header=BB136_44 Depth=1
	v_mul_lo_u32 v22, v22, s49
	v_readlane_b32 vcc_lo, v110, 24
	s_nop 1
	v_add_u32_e32 v22, vcc_lo, v22
	v_add_u32_e32 v92, v22, v103
	v_ashrrev_i32_e32 v93, 31, v92
	v_lshl_add_u64 v[92:93], v[92:93], 2, v[20:21]
	global_load_dwordx2 v[92:93], v[92:93], off
	s_branch .LBB136_84
.LBB136_83:                             ;   in Loop: Header=BB136_44 Depth=1
	v_mov_b32_e32 v92, 0
	v_mov_b32_e32 v93, 0
.LBB136_84:                             ;   in Loop: Header=BB136_44 Depth=1
	s_waitcnt vmcnt(0)
	v_cvt_pk_bf16_f32 v22, v92, v93
	s_andn2_b64 vcc, exec, s[26:27]
	v_mov_b32_e32 v91, 0
	ds_write_b32 v101, v22 offset:2440
	s_cbranch_vccnz .LBB136_88
; %bb.85:                               ;   in Loop: Header=BB136_44 Depth=1
	ds_read_b32 v22, v100 offset:40
	s_waitcnt lgkmcnt(0)
	v_cmp_gt_i32_e32 vcc, 0, v22
	s_cbranch_vccnz .LBB136_87
; %bb.86:                               ;   in Loop: Header=BB136_44 Depth=1
	v_mul_lo_u32 v22, v22, s49
	v_readlane_b32 vcc_lo, v110, 23
	s_nop 1
	v_add_u32_e32 v22, vcc_lo, v22
	v_add_u32_e32 v90, v22, v103
	v_ashrrev_i32_e32 v91, 31, v90
	v_lshl_add_u64 v[90:91], v[90:91], 2, v[20:21]
	global_load_dwordx2 v[90:91], v[90:91], off
	s_branch .LBB136_88
.LBB136_87:                             ;   in Loop: Header=BB136_44 Depth=1
	v_mov_b32_e32 v90, 0
	v_mov_b32_e32 v91, 0
.LBB136_88:                             ;   in Loop: Header=BB136_44 Depth=1
	s_waitcnt vmcnt(0)
	v_cvt_pk_bf16_f32 v22, v90, v91
	v_mov_b32_e32 v90, 0
	s_andn2_b64 vcc, exec, s[28:29]
	v_mov_b32_e32 v92, 0
	v_mov_b32_e32 v93, 0
	ds_write_b32 v101, v22 offset:2704
	s_cbranch_vccnz .LBB136_92
; %bb.89:                               ;   in Loop: Header=BB136_44 Depth=1
	ds_read_b32 v22, v100 offset:44
	s_waitcnt lgkmcnt(0)
	v_cmp_gt_i32_e32 vcc, 0, v22
	s_cbranch_vccnz .LBB136_91
; %bb.90:                               ;   in Loop: Header=BB136_44 Depth=1
	v_mul_lo_u32 v22, v22, s49
	v_readlane_b32 vcc_lo, v110, 22
	s_nop 1
	v_add_u32_e32 v22, vcc_lo, v22
	v_add_u32_e32 v92, v22, v103
	v_ashrrev_i32_e32 v93, 31, v92
	v_lshl_add_u64 v[92:93], v[92:93], 2, v[20:21]
	global_load_dwordx2 v[92:93], v[92:93], off
	s_branch .LBB136_92
.LBB136_91:                             ;   in Loop: Header=BB136_44 Depth=1
	v_mov_b32_e32 v92, 0
	v_mov_b32_e32 v93, 0
.LBB136_92:                             ;   in Loop: Header=BB136_44 Depth=1
	s_waitcnt vmcnt(0)
	v_cvt_pk_bf16_f32 v22, v92, v93
	s_andn2_b64 vcc, exec, s[30:31]
	v_mov_b32_e32 v91, 0
	ds_write_b32 v101, v22 offset:2968
	s_cbranch_vccnz .LBB136_43
; %bb.93:                               ;   in Loop: Header=BB136_44 Depth=1
	ds_read_b32 v22, v100 offset:48
	s_waitcnt lgkmcnt(0)
	v_cmp_gt_i32_e32 vcc, 0, v22
	s_cbranch_vccz .LBB136_42
; %bb.94:                               ;   in Loop: Header=BB136_44 Depth=1
	v_mov_b32_e32 v90, 0
	v_mov_b32_e32 v91, 0
	s_branch .LBB136_43
.LBB136_95:
	s_or_b64 exec, exec, s[42:43]
	v_readlane_b32 s24, v110, 8
	v_readlane_b32 s28, v110, 12
	;; [unrolled: 1-line block ×8, first 2 shown]
.LBB136_96:
	v_readlane_b32 s0, v110, 6
	v_readlane_b32 s1, v110, 7
	s_or_b64 exec, exec, s[0:1]
	v_mov_b32_e32 v19, 0x100
	v_lshl_add_u32 v18, v97, 2, v19
	v_mul_u32_u24_e32 v20, 0x508, v98
	v_and_b32_e32 v21, 0x3f0, v16
	v_add3_u32 v20, v18, v20, v21
	s_waitcnt lgkmcnt(0)
	s_barrier
	s_movk_i32 s0, 0x508
	ds_write2_b32 v20, v4, v5 offset0:16 offset1:17
	ds_write2_b32 v20, v6, v7 offset0:18 offset1:19
	;; [unrolled: 1-line block ×8, first 2 shown]
	v_lshl_add_u32 v7, v16, 2, v19
	v_mad_u32_u24 v0, v17, s0, v7
	s_waitcnt lgkmcnt(0)
	s_barrier
	ds_read2_b32 v[4:5], v0 offset0:16 offset1:80
	ds_read2_b32 v[2:3], v0 offset0:144 offset1:208
	ds_read_b32 v8, v0 offset:1088
	v_cmp_gt_u32_e32 vcc, 13, v17
	v_mov_b32_e32 v9, -1
	s_and_saveexec_b64 s[0:1], vcc
; %bb.97:
	s_movk_i32 s2, 0xff04
	v_mad_i32_i24 v0, v17, s2, v18
	ds_read_b32 v9, v0
; %bb.98:
	s_or_b64 exec, exec, s[0:1]
	s_mul_hi_i32 s1, s30, s22
	s_mul_i32 s0, s30, s22
	s_lshl_b64 s[0:1], s[0:1], 2
	v_readlane_b32 s2, v110, 4
	v_mul_hi_i32 v1, v94, s45
	v_mul_lo_u32 v0, v94, s45
	v_readlane_b32 s3, v110, 5
	s_add_u32 s0, s2, s0
	s_addc_u32 s1, s3, s1
	v_lshlrev_b64 v[0:1], 2, v[0:1]
	s_waitcnt lgkmcnt(0)
	v_cmp_lt_i32_e32 vcc, -1, v9
	v_mul_u32_u24_e32 v10, 0x508, v17
	v_add_u32_e32 v6, s11, v16
	v_lshl_add_u64 v[0:1], s[0:1], 0, v[0:1]
	s_and_b64 s[2:3], vcc, s[24:25]
	s_and_saveexec_b64 s[0:1], s[2:3]
	s_cbranch_execz .LBB136_100
; %bb.99:
	v_add_f32_e32 v4, 0, v4
	v_add_f32_e32 v4, v4, v5
	;; [unrolled: 1-line block ×5, first 2 shown]
	v_mul_lo_u32 v2, v9, s50
	v_mul_lo_u32 v3, v17, s45
	v_add3_u32 v2, v6, v3, v2
	v_mov_b32_e32 v3, 0
	v_lshl_add_u64 v[2:3], v[2:3], 2, v[0:1]
	global_store_dword v[2:3], v4, off
.LBB136_100:
	s_or_b64 exec, exec, s[0:1]
	v_add_u32_e32 v7, v10, v7
	v_add_u32_e32 v2, 0x68, v7
	ds_read2st64_b32 v[4:5], v2 offset0:25 offset1:26
	ds_read2st64_b32 v[2:3], v2 offset0:27 offset1:28
	ds_read_b32 v8, v7 offset:7528
	v_cmp_gt_u32_e32 vcc, 8, v17
	v_mov_b32_e32 v9, -1
	s_and_saveexec_b64 s[0:1], vcc
; %bb.101:
	v_mov_b32_e32 v9, 0x100
	v_lshl_add_u32 v9, v17, 2, v9
	ds_read_b32 v9, v9 offset:20
; %bb.102:
	s_or_b64 exec, exec, s[0:1]
	v_readlane_b32 s0, v110, 0
	s_waitcnt lgkmcnt(0)
	v_cmp_lt_i32_e32 vcc, -1, v9
	v_readlane_b32 s1, v110, 1
	s_and_b64 s[2:3], vcc, s[0:1]
	s_and_saveexec_b64 s[0:1], s[2:3]
	s_cbranch_execz .LBB136_104
; %bb.103:
	v_add_f32_e32 v4, 0, v4
	v_add_f32_e32 v4, v4, v5
	;; [unrolled: 1-line block ×5, first 2 shown]
	v_mul_lo_u32 v2, v9, s50
	v_mul_lo_u32 v3, v95, s45
	v_add3_u32 v2, v6, v3, v2
	v_mov_b32_e32 v3, 0
	v_lshl_add_u64 v[2:3], v[2:3], 2, v[0:1]
	global_store_dword v[2:3], v4, off
.LBB136_104:
	s_or_b64 exec, exec, s[0:1]
	v_cmp_gt_u32_e32 vcc, 3, v17
	s_and_saveexec_b64 s[0:1], vcc
	s_cbranch_execz .LBB136_107
; %bb.105:
	v_mov_b32_e32 v2, 0x100
	v_lshl_add_u32 v2, v17, 2, v2
	ds_read_b32 v2, v2 offset:40
	v_readlane_b32 s0, v110, 2
	v_readlane_b32 s1, v110, 3
	s_waitcnt lgkmcnt(0)
	v_cmp_lt_i32_e32 vcc, -1, v2
	s_and_b64 s[0:1], vcc, s[0:1]
	s_and_b64 exec, exec, s[0:1]
	s_cbranch_execz .LBB136_107
; %bb.106:
	v_add_u32_e32 v3, 0x90, v7
	ds_read2st64_b32 v[4:5], v3 offset0:50 offset1:51
	ds_read_b32 v7, v7 offset:13968
	ds_read2st64_b32 v[8:9], v3 offset0:52 offset1:53
	v_mul_lo_u32 v2, v2, s50
	v_mul_lo_u32 v3, v96, s45
	s_waitcnt lgkmcnt(2)
	v_add_f32_e32 v4, 0, v4
	v_add_f32_e32 v4, v4, v5
	s_waitcnt lgkmcnt(0)
	v_add_f32_e32 v4, v4, v8
	v_add_f32_e32 v4, v4, v9
	v_add3_u32 v2, v6, v3, v2
	v_mov_b32_e32 v3, 0
	v_add_f32_e32 v4, v4, v7
	v_lshl_add_u64 v[0:1], v[2:3], 2, v[0:1]
	global_store_dword v[0:1], v4, off
.LBB136_107:
	s_endpgm
	.section	.rodata,"a",@progbits
	.p2align	6, 0x0
	.amdhsa_kernel _ZL9mul_mat_fI15__hip_bfloat162Li64ELi13ELi5ELb1EEvPKT_PKfPKiPfiiiiiiiiiiiiiiii
		.amdhsa_group_segment_fixed_size 256
		.amdhsa_private_segment_fixed_size 0
		.amdhsa_kernarg_size 352
		.amdhsa_user_sgpr_count 2
		.amdhsa_user_sgpr_dispatch_ptr 0
		.amdhsa_user_sgpr_queue_ptr 0
		.amdhsa_user_sgpr_kernarg_segment_ptr 1
		.amdhsa_user_sgpr_dispatch_id 0
		.amdhsa_user_sgpr_kernarg_preload_length 0
		.amdhsa_user_sgpr_kernarg_preload_offset 0
		.amdhsa_user_sgpr_private_segment_size 0
		.amdhsa_uses_dynamic_stack 0
		.amdhsa_enable_private_segment 0
		.amdhsa_system_sgpr_workgroup_id_x 1
		.amdhsa_system_sgpr_workgroup_id_y 1
		.amdhsa_system_sgpr_workgroup_id_z 1
		.amdhsa_system_sgpr_workgroup_info 0
		.amdhsa_system_vgpr_workitem_id 2
		.amdhsa_next_free_vgpr 111
		.amdhsa_next_free_sgpr 100
		.amdhsa_accum_offset 112
		.amdhsa_reserve_vcc 1
		.amdhsa_float_round_mode_32 0
		.amdhsa_float_round_mode_16_64 0
		.amdhsa_float_denorm_mode_32 3
		.amdhsa_float_denorm_mode_16_64 3
		.amdhsa_dx10_clamp 1
		.amdhsa_ieee_mode 1
		.amdhsa_fp16_overflow 0
		.amdhsa_tg_split 0
		.amdhsa_exception_fp_ieee_invalid_op 0
		.amdhsa_exception_fp_denorm_src 0
		.amdhsa_exception_fp_ieee_div_zero 0
		.amdhsa_exception_fp_ieee_overflow 0
		.amdhsa_exception_fp_ieee_underflow 0
		.amdhsa_exception_fp_ieee_inexact 0
		.amdhsa_exception_int_div_zero 0
	.end_amdhsa_kernel
	.section	.text._ZL9mul_mat_fI15__hip_bfloat162Li64ELi13ELi5ELb1EEvPKT_PKfPKiPfiiiiiiiiiiiiiiii,"axG",@progbits,_ZL9mul_mat_fI15__hip_bfloat162Li64ELi13ELi5ELb1EEvPKT_PKfPKiPfiiiiiiiiiiiiiiii,comdat
.Lfunc_end136:
	.size	_ZL9mul_mat_fI15__hip_bfloat162Li64ELi13ELi5ELb1EEvPKT_PKfPKiPfiiiiiiiiiiiiiiii, .Lfunc_end136-_ZL9mul_mat_fI15__hip_bfloat162Li64ELi13ELi5ELb1EEvPKT_PKfPKiPfiiiiiiiiiiiiiiii
                                        ; -- End function
	.set _ZL9mul_mat_fI15__hip_bfloat162Li64ELi13ELi5ELb1EEvPKT_PKfPKiPfiiiiiiiiiiiiiiii.num_vgpr, 111
	.set _ZL9mul_mat_fI15__hip_bfloat162Li64ELi13ELi5ELb1EEvPKT_PKfPKiPfiiiiiiiiiiiiiiii.num_agpr, 0
	.set _ZL9mul_mat_fI15__hip_bfloat162Li64ELi13ELi5ELb1EEvPKT_PKfPKiPfiiiiiiiiiiiiiiii.numbered_sgpr, 100
	.set _ZL9mul_mat_fI15__hip_bfloat162Li64ELi13ELi5ELb1EEvPKT_PKfPKiPfiiiiiiiiiiiiiiii.num_named_barrier, 0
	.set _ZL9mul_mat_fI15__hip_bfloat162Li64ELi13ELi5ELb1EEvPKT_PKfPKiPfiiiiiiiiiiiiiiii.private_seg_size, 0
	.set _ZL9mul_mat_fI15__hip_bfloat162Li64ELi13ELi5ELb1EEvPKT_PKfPKiPfiiiiiiiiiiiiiiii.uses_vcc, 1
	.set _ZL9mul_mat_fI15__hip_bfloat162Li64ELi13ELi5ELb1EEvPKT_PKfPKiPfiiiiiiiiiiiiiiii.uses_flat_scratch, 0
	.set _ZL9mul_mat_fI15__hip_bfloat162Li64ELi13ELi5ELb1EEvPKT_PKfPKiPfiiiiiiiiiiiiiiii.has_dyn_sized_stack, 0
	.set _ZL9mul_mat_fI15__hip_bfloat162Li64ELi13ELi5ELb1EEvPKT_PKfPKiPfiiiiiiiiiiiiiiii.has_recursion, 0
	.set _ZL9mul_mat_fI15__hip_bfloat162Li64ELi13ELi5ELb1EEvPKT_PKfPKiPfiiiiiiiiiiiiiiii.has_indirect_call, 0
	.section	.AMDGPU.csdata,"",@progbits
; Kernel info:
; codeLenInByte = 7944
; TotalNumSgprs: 106
; NumVgprs: 111
; NumAgprs: 0
; TotalNumVgprs: 111
; ScratchSize: 0
; MemoryBound: 0
; FloatMode: 240
; IeeeMode: 1
; LDSByteSize: 256 bytes/workgroup (compile time only)
; SGPRBlocks: 13
; VGPRBlocks: 13
; NumSGPRsForWavesPerEU: 106
; NumVGPRsForWavesPerEU: 111
; AccumOffset: 112
; Occupancy: 4
; WaveLimiterHint : 0
; COMPUTE_PGM_RSRC2:SCRATCH_EN: 0
; COMPUTE_PGM_RSRC2:USER_SGPR: 2
; COMPUTE_PGM_RSRC2:TRAP_HANDLER: 0
; COMPUTE_PGM_RSRC2:TGID_X_EN: 1
; COMPUTE_PGM_RSRC2:TGID_Y_EN: 1
; COMPUTE_PGM_RSRC2:TGID_Z_EN: 1
; COMPUTE_PGM_RSRC2:TIDIG_COMP_CNT: 2
; COMPUTE_PGM_RSRC3_GFX90A:ACCUM_OFFSET: 27
; COMPUTE_PGM_RSRC3_GFX90A:TG_SPLIT: 0
	.section	.text._ZL9mul_mat_fI15__hip_bfloat162Li64ELi13ELi5ELb0EEvPKT_PKfPKiPfiiiiiiiiiiiiiiii,"axG",@progbits,_ZL9mul_mat_fI15__hip_bfloat162Li64ELi13ELi5ELb0EEvPKT_PKfPKiPfiiiiiiiiiiiiiiii,comdat
	.globl	_ZL9mul_mat_fI15__hip_bfloat162Li64ELi13ELi5ELb0EEvPKT_PKfPKiPfiiiiiiiiiiiiiiii ; -- Begin function _ZL9mul_mat_fI15__hip_bfloat162Li64ELi13ELi5ELb0EEvPKT_PKfPKiPfiiiiiiiiiiiiiiii
	.p2align	8
	.type	_ZL9mul_mat_fI15__hip_bfloat162Li64ELi13ELi5ELb0EEvPKT_PKfPKiPfiiiiiiiiiiiiiiii,@function
_ZL9mul_mat_fI15__hip_bfloat162Li64ELi13ELi5ELb0EEvPKT_PKfPKiPfiiiiiiiiiiiiiiii: ; @_ZL9mul_mat_fI15__hip_bfloat162Li64ELi13ELi5ELb0EEvPKT_PKfPKiPfiiiiiiiiiiiiiiii
; %bb.0:
	s_load_dword s5, s[0:1], 0x20
	s_load_dwordx4 s[16:19], s[0:1], 0x2c
	v_bfe_u32 v34, v0, 10, 10
	v_lshlrev_b32_e32 v36, 6, v34
	v_and_b32_e32 v35, 0x3ff, v0
	v_add_u32_e32 v38, v36, v35
	s_waitcnt lgkmcnt(0)
	s_ashr_i32 s19, s4, 31
	v_cmp_le_i32_e32 vcc, s5, v38
	v_and_b32_e32 v37, 15, v35
	s_and_saveexec_b64 s[6:7], vcc
	s_xor_b64 s[6:7], exec, s[6:7]
; %bb.1:
	v_and_b32_e32 v37, 15, v35
                                        ; implicit-def: $vgpr38
; %bb.2:
	s_or_saveexec_b64 s[24:25], s[6:7]
	s_load_dwordx8 s[8:15], s[0:1], 0x40
	s_load_dwordx2 s[6:7], s[0:1], 0x18
	v_mov_b32_e32 v15, 0
	s_lshl_b32 s2, s2, 6
	v_mov_b32_e32 v14, v15
	v_mov_b32_e32 v13, v15
	;; [unrolled: 1-line block ×15, first 2 shown]
	s_xor_b64 exec, exec, s[24:25]
	s_cbranch_execz .LBB137_6
; %bb.3:
	s_waitcnt lgkmcnt(0)
	s_abs_i32 s26, s8
	v_cvt_f32_u32_e32 v0, s26
	s_abs_i32 s27, s12
	v_cvt_f32_u32_e32 v1, s27
	s_sub_i32 s20, 0, s26
	v_rcp_iflag_f32_e32 v0, v0
	s_abs_i32 s28, s3
	v_rcp_iflag_f32_e32 v1, v1
	s_sub_i32 s21, 0, s27
	v_mul_f32_e32 v0, 0x4f7ffffe, v0
	v_cvt_u32_f32_e32 v0, v0
	v_mul_f32_e32 v1, 0x4f7ffffe, v1
	v_cvt_u32_f32_e32 v1, v1
	s_abs_i32 s29, s4
	v_mul_lo_u32 v2, s20, v0
	v_mul_hi_u32 v2, v0, v2
	v_add_u32_e32 v0, v0, v2
	v_mul_hi_u32 v0, s28, v0
	v_mul_lo_u32 v3, s21, v1
	v_mul_lo_u32 v2, v0, s26
	v_mul_hi_u32 v3, v1, v3
	v_sub_u32_e32 v2, s28, v2
	v_add_u32_e32 v1, v1, v3
	v_add_u32_e32 v3, 1, v0
	v_subrev_u32_e32 v4, s26, v2
	v_cmp_le_u32_e32 vcc, s26, v2
	s_load_dwordx4 s[20:23], s[0:1], 0x0
	s_ashr_i32 s0, s3, 31
	v_cndmask_b32_e32 v0, v0, v3, vcc
	v_cndmask_b32_e32 v2, v2, v4, vcc
	s_ashr_i32 s1, s8, 31
	v_add_u32_e32 v3, 1, v0
	v_cmp_le_u32_e32 vcc, s26, v2
	s_xor_b32 s0, s0, s1
	v_mul_hi_u32 v1, s29, v1
	v_cndmask_b32_e32 v0, v0, v3, vcc
	v_xor_b32_e32 v0, s0, v0
	v_subrev_u32_e32 v2, s0, v0
	v_mul_lo_u32 v0, v1, s27
	v_sub_u32_e32 v0, s29, v0
	v_add_u32_e32 v3, 1, v1
	v_subrev_u32_e32 v4, s27, v0
	v_cmp_le_u32_e32 vcc, s27, v0
	s_ashr_i32 s8, s12, 31
	s_xor_b32 s0, s19, s8
	v_cndmask_b32_e32 v1, v1, v3, vcc
	v_cndmask_b32_e32 v0, v0, v4, vcc
	v_add_u32_e32 v3, 1, v1
	v_cmp_le_u32_e32 vcc, s27, v0
	v_mul_lo_u32 v2, v2, s9
	s_mul_hi_i32 s9, s14, s4
	v_cndmask_b32_e32 v0, v1, v3, vcc
	v_xor_b32_e32 v0, s0, v0
	s_mul_i32 s8, s14, s4
	v_subrev_u32_e32 v0, s0, v0
	s_lshl_b64 s[26:27], s[8:9], 2
	v_mul_hi_i32 v1, v0, s13
	v_mul_lo_u32 v0, v0, s13
	s_mul_i32 s0, s16, s2
	s_mul_i32 s28, s10, s3
	s_waitcnt lgkmcnt(0)
	s_add_u32 s8, s22, s26
	v_ashrrev_i32_e32 v3, 31, v2
	v_lshlrev_b64 v[0:1], 2, v[0:1]
	s_addc_u32 s9, s23, s27
	s_ashr_i32 s1, s0, 31
	s_ashr_i32 s29, s28, 31
	v_lshl_add_u64 v[4:5], s[20:21], 0, v[0:1]
	v_lshlrev_b64 v[2:3], 2, v[2:3]
	s_lshl_b64 s[12:13], s[0:1], 2
	s_lshl_b64 s[28:29], s[28:29], 2
	v_lshl_add_u64 v[4:5], v[4:5], 0, v[2:3]
	s_add_u32 s0, s8, s28
	s_movk_i32 s8, 0x1080
	v_lshrrev_b32_e32 v7, 1, v35
	v_lshl_add_u64 v[2:3], v[2:3], 0, s[12:13]
	v_lshl_add_u64 v[16:17], v[4:5], 0, s[12:13]
	v_mov_b32_e32 v19, 0
	v_mad_u32_u24 v5, v34, s8, 0
	v_lshlrev_b32_e32 v4, 2, v35
	v_mul_u32_u24_e32 v6, 0x108, v37
	v_and_b32_e32 v7, 0x1f8, v7
	v_lshlrev_b32_e32 v18, 8, v34
	v_lshl_add_u64 v[0:1], v[2:3], 0, v[0:1]
	s_addc_u32 s1, s9, s29
	v_add_u32_e32 v39, v5, v4
	v_add3_u32 v40, v5, v6, v7
	s_ashr_i32 s9, s16, 31
	s_mov_b32 s8, s16
	s_ashr_i32 s75, s17, 31
	s_mov_b32 s74, s17
	v_lshl_add_u64 v[0:1], v[0:1], 0, v[18:19]
	v_mov_b32_e32 v5, v19
	s_add_i32 s10, s16, s16
	s_add_i32 s14, s17, s17
	s_lshl_b32 s30, s17, 2
	s_lshl_b32 s35, s17, 3
	s_lshl_b32 s41, s16, 2
	s_lshl_b32 s45, s16, 3
	s_lshl_b32 s53, s16, 4
	s_lshl_b32 s69, s16, 5
	s_lshl_b64 s[8:9], s[8:9], 2
	s_lshl_b64 s[12:13], s[74:75], 3
	v_lshl_add_u64 v[0:1], v[0:1], 0, v[4:5]
	v_lshlrev_b32_e32 v18, 9, v34
	s_add_u32 s22, s22, s28
	v_lshl_add_u64 v[20:21], s[20:21], 0, v[0:1]
	v_lshl_add_u64 v[0:1], s[26:27], 0, v[18:19]
	v_lshlrev_b32_e32 v18, 3, v35
	s_addc_u32 s23, s23, s29
	v_lshl_add_u64 v[0:1], v[0:1], 0, v[18:19]
	s_mul_i32 s19, s17, 3
	s_mul_i32 s31, s17, 5
	;; [unrolled: 1-line block ×45, first 2 shown]
	v_lshl_add_u64 v[22:23], s[22:23], 0, v[0:1]
	s_mul_i32 s77, s16, 44
	s_mul_i32 s78, s16, 45
	v_mov_b32_e32 v4, 0
	v_mov_b32_e32 v6, v19
	;; [unrolled: 1-line block ×15, first 2 shown]
	s_mul_i32 s79, s16, 46
	s_mul_i32 s80, s16, 47
	;; [unrolled: 1-line block ×18, first 2 shown]
	s_mov_b64 s[16:17], 0
	s_mov_b64 s[20:21], 0x500
	;; [unrolled: 1-line block ×3, first 2 shown]
.LBB137_4:                              ; =>This Inner Loop Header: Depth=1
	v_add_u32_e32 v30, s10, v38
	v_add_u32_e32 v26, s58, v38
	v_lshl_add_u64 v[24:25], v[20:21], 0, s[8:9]
	v_add_u32_e32 v32, s40, v38
	v_ashrrev_i32_e32 v31, 31, v30
	v_ashrrev_i32_e32 v27, 31, v26
	v_add_u32_e32 v28, s59, v38
	global_load_dword v45, v[24:25], off
	v_lshl_add_u64 v[30:31], v[30:31], 2, v[16:17]
	v_add_u32_e32 v24, s60, v38
	v_ashrrev_i32_e32 v33, 31, v32
	v_lshl_add_u64 v[26:27], v[26:27], 2, v[16:17]
	v_add_u32_e32 v42, s41, v38
	global_load_dword v46, v[30:31], off
	v_ashrrev_i32_e32 v29, 31, v28
	global_load_dword v26, v[26:27], off
	v_lshl_add_u64 v[30:31], v[32:33], 2, v[16:17]
	v_add_u32_e32 v32, s61, v38
	v_ashrrev_i32_e32 v25, 31, v24
	v_add_u32_e32 v48, s42, v38
	v_ashrrev_i32_e32 v43, 31, v42
	v_lshl_add_u64 v[28:29], v[28:29], 2, v[16:17]
	v_lshl_add_u64 v[24:25], v[24:25], 2, v[16:17]
	v_ashrrev_i32_e32 v33, 31, v32
	global_load_dword v47, v[30:31], off
	v_ashrrev_i32_e32 v49, 31, v48
	global_load_dword v24, v[24:25], off
	v_add_u32_e32 v54, s43, v38
	global_load_dword v27, v[28:29], off
	v_lshl_add_u64 v[30:31], v[42:43], 2, v[16:17]
	v_lshl_add_u64 v[28:29], v[32:33], 2, v[16:17]
	global_load_dword v50, v[30:31], off
	global_load_dword v25, v[28:29], off
	v_lshl_add_u64 v[30:31], v[48:49], 2, v[16:17]
	global_load_dword v52, v[30:31], off
	v_add_u32_e32 v30, s62, v38
	v_add_u32_e32 v56, s44, v38
	v_ashrrev_i32_e32 v55, 31, v54
	v_add_u32_e32 v48, s63, v38
	v_ashrrev_i32_e32 v31, 31, v30
	v_add_u32_e32 v58, s45, v38
	v_lshl_add_u64 v[42:43], v[54:55], 2, v[16:17]
	v_ashrrev_i32_e32 v57, 31, v56
	v_add_u32_e32 v84, s64, v38
	v_lshl_add_u64 v[28:29], v[30:31], 2, v[16:17]
	v_ashrrev_i32_e32 v49, 31, v48
	v_add_u32_e32 v60, s46, v38
	global_load_dword v53, v[42:43], off
	v_ashrrev_i32_e32 v59, 31, v58
	v_add_u32_e32 v86, s65, v38
	global_load_dword v28, v[28:29], off
	v_lshl_add_u64 v[42:43], v[56:57], 2, v[16:17]
	v_lshl_add_u64 v[30:31], v[48:49], 2, v[16:17]
	v_ashrrev_i32_e32 v85, 31, v84
	v_add_u32_e32 v62, s47, v38
	global_load_dword v54, v[42:43], off
	global_load_dword v29, v[30:31], off
	v_lshl_add_u64 v[42:43], v[58:59], 2, v[16:17]
	v_ashrrev_i32_e32 v61, 31, v60
	v_add_u32_e32 v88, s66, v38
	v_lshl_add_u64 v[30:31], v[84:85], 2, v[16:17]
	v_ashrrev_i32_e32 v87, 31, v86
	v_add_u32_e32 v64, s48, v38
	global_load_dword v57, v[42:43], off
	v_ashrrev_i32_e32 v63, 31, v62
	global_load_dword v30, v[30:31], off
	v_lshl_add_u64 v[42:43], v[60:61], 2, v[16:17]
	v_lshl_add_u64 v[32:33], v[86:87], 2, v[16:17]
	v_ashrrev_i32_e32 v89, 31, v88
	v_add_u32_e32 v66, s49, v38
	global_load_dword v58, v[42:43], off
	global_load_dword v31, v[32:33], off
	v_lshl_add_u64 v[42:43], v[62:63], 2, v[16:17]
	v_ashrrev_i32_e32 v65, 31, v64
	v_lshl_add_u64 v[32:33], v[88:89], 2, v[16:17]
	v_add_u32_e32 v68, s50, v38
	global_load_dword v61, v[42:43], off
	v_ashrrev_i32_e32 v67, 31, v66
	global_load_dword v32, v[32:33], off
	v_lshl_add_u64 v[42:43], v[64:65], 2, v[16:17]
	v_add_u32_e32 v70, s51, v38
	global_load_dword v62, v[42:43], off
	v_lshl_add_u64 v[42:43], v[66:67], 2, v[16:17]
	v_ashrrev_i32_e32 v69, 31, v68
	v_add_u32_e32 v72, s52, v38
	global_load_dword v65, v[42:43], off
	v_lshl_add_u64 v[42:43], v[68:69], 2, v[16:17]
	v_ashrrev_i32_e32 v71, 31, v70
	global_load_dword v66, v[42:43], off
	v_lshl_add_u64 v[42:43], v[70:71], 2, v[16:17]
	v_ashrrev_i32_e32 v73, 31, v72
	global_load_dword v68, v[42:43], off
	v_lshl_add_u64 v[42:43], v[72:73], 2, v[16:17]
	v_add_u32_e32 v72, s67, v38
	v_add_u32_e32 v74, s53, v38
	v_ashrrev_i32_e32 v73, 31, v72
	v_ashrrev_i32_e32 v75, 31, v74
	v_lshl_add_u64 v[48:49], v[72:73], 2, v[16:17]
	global_load_dword v70, v[42:43], off
	global_load_dword v33, v[48:49], off
	v_lshl_add_u64 v[42:43], v[74:75], 2, v[16:17]
	v_add_u32_e32 v74, s68, v38
	v_add_u32_e32 v76, s54, v38
	;; [unrolled: 1-line block ×3, first 2 shown]
	v_ashrrev_i32_e32 v75, 31, v74
	v_add_u32_e32 v78, s55, v38
	v_ashrrev_i32_e32 v77, 31, v76
	v_lshl_add_u64 v[48:49], v[74:75], 2, v[16:17]
	v_ashrrev_i32_e32 v73, 31, v72
	global_load_dword v18, v[42:43], off
	v_ashrrev_i32_e32 v79, 31, v78
	global_load_dword v48, v[48:49], off
	v_lshl_add_u64 v[42:43], v[76:77], 2, v[16:17]
	v_lshl_add_u64 v[72:73], v[72:73], 2, v[16:17]
	global_load_dword v41, v[42:43], off
	global_load_dword v60, v[72:73], off
	v_lshl_add_u64 v[42:43], v[78:79], 2, v[16:17]
	v_add_u32_e32 v78, s69, v38
	v_ashrrev_i32_e32 v79, 31, v78
	v_add_u32_e32 v80, s56, v38
	v_lshl_add_u64 v[74:75], v[78:79], 2, v[16:17]
	v_add_u32_e32 v78, s73, v38
	v_add_u32_e32 v82, s57, v38
	v_ashrrev_i32_e32 v81, 31, v80
	v_ashrrev_i32_e32 v79, 31, v78
	v_lshl_add_u64 v[76:77], v[80:81], 2, v[16:17]
	v_ashrrev_i32_e32 v83, 31, v82
	v_lshl_add_u64 v[72:73], v[78:79], 2, v[16:17]
	global_load_dword v42, v[42:43], off
	v_add_u32_e32 v80, s71, v38
	global_load_dword v49, v[74:75], off
	global_load_dword v63, v[72:73], off
	;; [unrolled: 1-line block ×3, first 2 shown]
	v_lshl_add_u64 v[76:77], v[82:83], 2, v[16:17]
	global_load_dword v44, v[76:77], off
	v_add_u32_e32 v76, s70, v38
	v_ashrrev_i32_e32 v77, 31, v76
	v_lshl_add_u64 v[74:75], v[76:77], 2, v[16:17]
	v_add_u32_e32 v76, s74, v38
	v_ashrrev_i32_e32 v77, 31, v76
	v_ashrrev_i32_e32 v81, 31, v80
	v_lshl_add_u64 v[72:73], v[76:77], 2, v[16:17]
	global_load_dword v51, v[74:75], off
	global_load_dword v64, v[72:73], off
	v_lshl_add_u64 v[74:75], v[80:81], 2, v[16:17]
	v_add_u32_e32 v80, s75, v38
	v_add_u32_e32 v82, s72, v38
	v_ashrrev_i32_e32 v81, 31, v80
	v_add_u32_e32 v84, s28, v38
	v_ashrrev_i32_e32 v83, 31, v82
	v_lshl_add_u64 v[72:73], v[80:81], 2, v[16:17]
	global_load_dword v55, v[74:75], off
	global_load_dword v67, v[72:73], off
	v_lshl_add_u64 v[74:75], v[82:83], 2, v[16:17]
	v_ashrrev_i32_e32 v85, 31, v84
	global_load_dword v56, v[74:75], off
	v_lshl_add_u64 v[74:75], v[84:85], 2, v[16:17]
	global_load_dword v59, v[74:75], off
	v_add_u32_e32 v74, s76, v38
	v_add_u32_e32 v76, s26, v38
	v_ashrrev_i32_e32 v75, 31, v74
	v_lshl_add_u64 v[72:73], v[74:75], 2, v[16:17]
	v_ashrrev_i32_e32 v77, 31, v76
	v_add_u32_e32 v74, s27, v38
	global_load_dword v69, v[72:73], off
	v_lshl_add_u64 v[72:73], v[76:77], 2, v[16:17]
	v_ashrrev_i32_e32 v75, 31, v74
	global_load_dword v71, v[72:73], off
	v_lshl_add_u64 v[72:73], v[74:75], 2, v[16:17]
	v_add_u32_e32 v74, s77, v38
	v_ashrrev_i32_e32 v75, 31, v74
	v_lshl_add_u64 v[74:75], v[74:75], 2, v[16:17]
	global_load_dword v72, v[72:73], off
	v_add_u32_e32 v76, s79, v38
	global_load_dword v73, v[74:75], off
	v_add_u32_e32 v74, s78, v38
	v_ashrrev_i32_e32 v75, 31, v74
	v_ashrrev_i32_e32 v77, 31, v76
	v_lshl_add_u64 v[74:75], v[74:75], 2, v[16:17]
	v_lshl_add_u64 v[76:77], v[76:77], 2, v[16:17]
	global_load_dword v74, v[74:75], off
	v_add_u32_e32 v78, s81, v38
	global_load_dword v75, v[76:77], off
	v_add_u32_e32 v76, s80, v38
	v_ashrrev_i32_e32 v77, 31, v76
	v_ashrrev_i32_e32 v79, 31, v78
	v_lshl_add_u64 v[76:77], v[76:77], 2, v[16:17]
	v_lshl_add_u64 v[78:79], v[78:79], 2, v[16:17]
	global_load_dword v76, v[76:77], off
	v_add_u32_e32 v80, s83, v38
	global_load_dword v77, v[78:79], off
	v_add_u32_e32 v78, s82, v38
	v_ashrrev_i32_e32 v79, 31, v78
	v_ashrrev_i32_e32 v81, 31, v80
	v_lshl_add_u64 v[78:79], v[78:79], 2, v[16:17]
	v_lshl_add_u64 v[80:81], v[80:81], 2, v[16:17]
	global_load_dword v78, v[78:79], off
	v_add_u32_e32 v82, s85, v38
	global_load_dword v79, v[80:81], off
	v_add_u32_e32 v80, s84, v38
	v_ashrrev_i32_e32 v81, 31, v80
	v_ashrrev_i32_e32 v83, 31, v82
	v_lshl_add_u64 v[80:81], v[80:81], 2, v[16:17]
	v_lshl_add_u64 v[82:83], v[82:83], 2, v[16:17]
	global_load_dword v80, v[80:81], off
	v_add_u32_e32 v84, s87, v38
	global_load_dword v81, v[82:83], off
	v_add_u32_e32 v82, s86, v38
	v_ashrrev_i32_e32 v83, 31, v82
	v_ashrrev_i32_e32 v85, 31, v84
	v_lshl_add_u64 v[82:83], v[82:83], 2, v[16:17]
	v_lshl_add_u64 v[84:85], v[84:85], 2, v[16:17]
	global_load_dword v82, v[82:83], off
	v_add_u32_e32 v86, s89, v38
	global_load_dword v83, v[84:85], off
	v_add_u32_e32 v84, s88, v38
	v_ashrrev_i32_e32 v85, 31, v84
	v_ashrrev_i32_e32 v87, 31, v86
	v_lshl_add_u64 v[84:85], v[84:85], 2, v[16:17]
	v_lshl_add_u64 v[86:87], v[86:87], 2, v[16:17]
	global_load_dword v84, v[84:85], off
	v_add_u32_e32 v88, s91, v38
	global_load_dword v85, v[86:87], off
	v_add_u32_e32 v86, s90, v38
	v_ashrrev_i32_e32 v87, 31, v86
	v_ashrrev_i32_e32 v89, 31, v88
	v_lshl_add_u64 v[86:87], v[86:87], 2, v[16:17]
	v_lshl_add_u64 v[88:89], v[88:89], 2, v[16:17]
	global_load_dword v86, v[86:87], off
	v_add_u32_e32 v90, s93, v38
	global_load_dword v87, v[88:89], off
	v_add_u32_e32 v88, s92, v38
	v_ashrrev_i32_e32 v89, 31, v88
	v_ashrrev_i32_e32 v91, 31, v90
	v_lshl_add_u64 v[88:89], v[88:89], 2, v[16:17]
	v_lshl_add_u64 v[90:91], v[90:91], 2, v[16:17]
	global_load_dword v88, v[88:89], off
	v_add_u32_e32 v92, s95, v38
	global_load_dword v89, v[90:91], off
	v_add_u32_e32 v90, s94, v38
	v_ashrrev_i32_e32 v91, 31, v90
	v_ashrrev_i32_e32 v93, 31, v92
	v_lshl_add_u64 v[90:91], v[90:91], 2, v[16:17]
	v_lshl_add_u64 v[92:93], v[92:93], 2, v[16:17]
	global_load_dword v90, v[90:91], off
	v_add_u32_e32 v94, s31, v38
	global_load_dword v91, v[92:93], off
	v_add_u32_e32 v92, s96, v38
	v_ashrrev_i32_e32 v93, 31, v92
	v_lshl_add_u64 v[92:93], v[92:93], 2, v[16:17]
	global_load_dword v106, v[92:93], off
	s_nop 0
	global_load_dword v92, v[20:21], off
	s_waitcnt vmcnt(62)
	ds_write_b32 v39, v45 offset:264
	v_ashrrev_i32_e32 v95, 31, v94
	v_lshl_add_u64 v[94:95], v[94:95], 3, s[0:1]
	v_lshl_add_u64 v[20:21], v[20:21], 0, s[20:21]
	s_waitcnt vmcnt(0)
	ds_write_b32 v39, v92
	global_load_dwordx2 v[92:93], v[22:23], off
	s_waitcnt vmcnt(0)
	v_cvt_pk_bf16_f32 v107, v92, v93
	v_lshl_add_u64 v[92:93], v[22:23], 0, s[12:13]
	global_load_dwordx2 v[92:93], v[92:93], off
	ds_write_b32 v39, v46 offset:528
	ds_write_b32 v39, v47 offset:792
	;; [unrolled: 1-line block ×14, first 2 shown]
	v_add_u32_e32 v46, s14, v38
	v_add_u32_e32 v52, s19, v38
	v_ashrrev_i32_e32 v47, 31, v46
	v_ashrrev_i32_e32 v53, 31, v52
	v_lshl_add_u64 v[46:47], v[46:47], 3, s[0:1]
	v_lshl_add_u64 v[52:53], v[52:53], 3, s[0:1]
	;; [unrolled: 1-line block ×3, first 2 shown]
	s_waitcnt vmcnt(0)
	v_cvt_pk_bf16_f32 v108, v92, v93
	v_add_u32_e32 v92, s30, v38
	v_ashrrev_i32_e32 v93, 31, v92
	v_lshl_add_u64 v[92:93], v[92:93], 3, s[0:1]
	global_load_dwordx2 v[46:47], v[46:47], off
	s_nop 0
	global_load_dwordx2 v[52:53], v[52:53], off
	s_nop 0
	;; [unrolled: 2-line block ×3, first 2 shown]
	global_load_dwordx2 v[94:95], v[94:95], off
	s_waitcnt vmcnt(3)
	v_cvt_pk_bf16_f32 v109, v46, v47
	s_waitcnt vmcnt(2)
	v_cvt_pk_bf16_f32 v110, v52, v53
	;; [unrolled: 2-line block ×4, first 2 shown]
	v_add_u32_e32 v46, s33, v38
	v_add_u32_e32 v52, s34, v38
	;; [unrolled: 1-line block ×4, first 2 shown]
	v_ashrrev_i32_e32 v47, 31, v46
	v_ashrrev_i32_e32 v53, 31, v52
	;; [unrolled: 1-line block ×4, first 2 shown]
	v_lshl_add_u64 v[46:47], v[46:47], 3, s[0:1]
	v_lshl_add_u64 v[52:53], v[52:53], 3, s[0:1]
	;; [unrolled: 1-line block ×4, first 2 shown]
	global_load_dwordx2 v[46:47], v[46:47], off
	s_nop 0
	global_load_dwordx2 v[52:53], v[52:53], off
	s_nop 0
	;; [unrolled: 2-line block ×3, first 2 shown]
	global_load_dwordx2 v[94:95], v[94:95], off
	s_waitcnt vmcnt(3)
	v_cvt_pk_bf16_f32 v113, v46, v47
	s_waitcnt vmcnt(2)
	v_cvt_pk_bf16_f32 v114, v52, v53
	;; [unrolled: 2-line block ×3, first 2 shown]
	v_add_u32_e32 v46, s37, v38
	v_add_u32_e32 v52, s38, v38
	;; [unrolled: 1-line block ×3, first 2 shown]
	v_ashrrev_i32_e32 v47, 31, v46
	v_ashrrev_i32_e32 v53, 31, v52
	;; [unrolled: 1-line block ×3, first 2 shown]
	v_lshl_add_u64 v[46:47], v[46:47], 3, s[0:1]
	v_lshl_add_u64 v[52:53], v[52:53], 3, s[0:1]
	v_lshl_add_u64 v[92:93], v[92:93], 3, s[0:1]
	global_load_dwordx2 v[46:47], v[46:47], off
	s_nop 0
	global_load_dwordx2 v[52:53], v[52:53], off
	s_nop 0
	global_load_dwordx2 v[92:93], v[92:93], off
	s_waitcnt vmcnt(3)
	v_cvt_pk_bf16_f32 v116, v94, v95
	v_add_u32_e32 v38, 0x140, v38
	v_cmp_le_i32_e32 vcc, s5, v38
	s_or_b64 s[16:17], vcc, s[16:17]
	s_waitcnt vmcnt(2)
	v_cvt_pk_bf16_f32 v117, v46, v47
	s_waitcnt vmcnt(1)
	v_cvt_pk_bf16_f32 v118, v52, v53
	s_waitcnt vmcnt(0)
	v_cvt_pk_bf16_f32 v119, v92, v93
	ds_read_b64 v[46:47], v40
	ds_read_b64 v[52:53], v40 offset:32
	ds_read_b64 v[92:93], v40 offset:64
	ds_read_b64 v[94:95], v40 offset:96
	ds_read_b64 v[96:97], v40 offset:128
	ds_read_b64 v[98:99], v40 offset:160
	ds_read_b64 v[100:101], v40 offset:192
	ds_read_b64 v[102:103], v40 offset:224
	ds_write_b32 v39, v18
	ds_write_b32 v39, v41 offset:264
	ds_write_b32 v39, v42 offset:528
	ds_write_b32 v39, v43 offset:792
	ds_write_b32 v39, v44 offset:1056
	ds_write_b32 v39, v26 offset:1320
	ds_write_b32 v39, v27 offset:1584
	ds_write_b32 v39, v24 offset:1848
	ds_write_b32 v39, v25 offset:2112
	ds_write_b32 v39, v28 offset:2376
	ds_write_b32 v39, v29 offset:2640
	ds_write_b32 v39, v30 offset:2904
	ds_write_b32 v39, v31 offset:3168
	ds_write_b32 v39, v32 offset:3432
	ds_write_b32 v39, v33 offset:3696
	ds_write_b32 v39, v48 offset:3960
	ds_read_b64 v[24:25], v40
	ds_read_b64 v[26:27], v40 offset:32
	ds_read_b64 v[28:29], v40 offset:64
	ds_read_b64 v[30:31], v40 offset:96
	ds_read_b64 v[32:33], v40 offset:128
	ds_read_b64 v[42:43], v40 offset:160
	ds_read_b64 v[44:45], v40 offset:192
	ds_read_b64 v[104:105], v40 offset:224
	ds_write_b32 v39, v49
	ds_write_b32 v39, v51 offset:264
	ds_write_b32 v39, v55 offset:528
	ds_write_b32 v39, v56 offset:792
	ds_write_b32 v39, v59 offset:1056
	ds_write_b32 v39, v60 offset:1320
	ds_write_b32 v39, v63 offset:1584
	ds_write_b32 v39, v64 offset:1848
	ds_write_b32 v39, v67 offset:2112
	ds_write_b32 v39, v69 offset:2376
	ds_write_b32 v39, v71 offset:2640
	ds_write_b32 v39, v72 offset:2904
	ds_write_b32 v39, v73 offset:3168
	ds_write_b32 v39, v74 offset:3432
	ds_write_b32 v39, v75 offset:3696
	ds_write_b32 v39, v76 offset:3960
	;; [unrolled: 24-line block ×4, first 2 shown]
	ds_read_b64 v[82:83], v40
	ds_read_b64 v[84:85], v40 offset:32
	ds_read_b64 v[86:87], v40 offset:64
	;; [unrolled: 1-line block ×3, first 2 shown]
	s_waitcnt lgkmcnt(3)
	v_mfma_f32_16x16x16_bf16 v[12:15], v[46:47], v[82:83], v[12:15]
	v_mfma_f32_16x16x16_bf16 v[8:11], v[24:25], v[82:83], v[8:11]
	ds_read_b64 v[24:25], v40 offset:128
	v_mfma_f32_16x16x16_bf16 v[0:3], v[48:49], v[82:83], v[0:3]
	v_mfma_f32_16x16x16_bf16 v[4:7], v[66:67], v[82:83], v[4:7]
	s_waitcnt lgkmcnt(3)
	v_mfma_f32_16x16x16_bf16 v[12:15], v[52:53], v[84:85], v[12:15]
	v_mfma_f32_16x16x16_bf16 v[8:11], v[26:27], v[84:85], v[8:11]
	v_mfma_f32_16x16x16_bf16 v[0:3], v[50:51], v[84:85], v[0:3]
	v_mfma_f32_16x16x16_bf16 v[4:7], v[68:69], v[84:85], v[4:7]
	s_waitcnt lgkmcnt(2)
	v_mfma_f32_16x16x16_bf16 v[12:15], v[92:93], v[86:87], v[12:15]
	v_mfma_f32_16x16x16_bf16 v[8:11], v[28:29], v[86:87], v[8:11]
	;; [unrolled: 5-line block ×3, first 2 shown]
	ds_read_b64 v[26:27], v40 offset:160
	ds_read_b64 v[28:29], v40 offset:192
	;; [unrolled: 1-line block ×3, first 2 shown]
	v_mfma_f32_16x16x16_bf16 v[0:3], v[56:57], v[88:89], v[0:3]
	v_mfma_f32_16x16x16_bf16 v[4:7], v[72:73], v[88:89], v[4:7]
	s_waitcnt lgkmcnt(3)
	v_mfma_f32_16x16x16_bf16 v[12:15], v[96:97], v[24:25], v[12:15]
	v_mfma_f32_16x16x16_bf16 v[8:11], v[32:33], v[24:25], v[8:11]
	v_mfma_f32_16x16x16_bf16 v[0:3], v[58:59], v[24:25], v[0:3]
	v_mfma_f32_16x16x16_bf16 v[4:7], v[74:75], v[24:25], v[4:7]
	s_waitcnt lgkmcnt(2)
	v_mfma_f32_16x16x16_bf16 v[12:15], v[98:99], v[26:27], v[12:15]
	v_mfma_f32_16x16x16_bf16 v[8:11], v[42:43], v[26:27], v[8:11]
	;; [unrolled: 5-line block ×4, first 2 shown]
	v_mfma_f32_16x16x16_bf16 v[0:3], v[64:65], v[30:31], v[0:3]
	v_mfma_f32_16x16x16_bf16 v[4:7], v[80:81], v[30:31], v[4:7]
	s_andn2_b64 exec, exec, s[16:17]
	s_cbranch_execnz .LBB137_4
; %bb.5:
	s_or_b64 exec, exec, s[16:17]
.LBB137_6:
	s_or_b64 exec, exec, s[24:25]
	s_waitcnt lgkmcnt(0)
	s_mul_hi_i32 s1, s15, s4
	s_mul_i32 s0, s15, s4
	s_lshl_b64 s[0:1], s[0:1], 2
	s_mul_i32 s4, s11, s3
	s_add_u32 s3, s6, s0
	s_addc_u32 s6, s7, s1
	s_ashr_i32 s5, s4, 31
	v_lshl_add_u32 v16, v36, 2, 0
	v_mul_u32_u24_e32 v17, 0x508, v37
	v_and_b32_e32 v18, 0x3f0, v35
	s_lshl_b64 s[0:1], s[4:5], 2
	v_add3_u32 v16, v16, v17, v18
	s_add_u32 s0, s3, s0
	s_barrier
	s_movk_i32 s3, 0x508
	ds_write2_b32 v16, v12, v13 offset1:1
	ds_write2_b32 v16, v14, v15 offset0:2 offset1:3
	ds_write2_b32 v16, v8, v9 offset0:16 offset1:17
	;; [unrolled: 1-line block ×7, first 2 shown]
	v_lshl_add_u32 v2, v35, 2, 0
	v_mad_u32_u24 v3, v34, s3, v2
	s_waitcnt lgkmcnt(0)
	s_barrier
	ds_read2st64_b32 v[0:1], v3 offset1:1
	ds_read2st64_b32 v[4:5], v3 offset0:2 offset1:3
	ds_read_b32 v6, v3 offset:1024
	ds_read_b32 v10, v3 offset:7464
	v_add_u32_e32 v3, 40, v3
	s_addc_u32 s1, s6, s1
	v_cmp_gt_u32_e32 vcc, 3, v34
	s_waitcnt lgkmcnt(3)
	v_add_f32_e32 v0, 0, v0
	v_add_f32_e32 v0, v0, v1
	s_waitcnt lgkmcnt(2)
	v_add_f32_e32 v0, v0, v4
	v_add_f32_e32 v0, v0, v5
	ds_read2st64_b32 v[4:5], v3 offset0:25 offset1:26
	s_waitcnt lgkmcnt(2)
	v_add_f32_e32 v11, v0, v6
	ds_read2st64_b32 v[6:7], v3 offset0:27 offset1:28
	v_mul_lo_u32 v0, v34, s18
	v_add3_u32 v0, s2, v35, v0
	s_waitcnt lgkmcnt(1)
	v_add_f32_e32 v3, 0, v4
	v_add_f32_e32 v3, v3, v5
	v_mov_b32_e32 v1, 0
	s_waitcnt lgkmcnt(0)
	v_add_f32_e32 v3, v3, v6
	s_mul_i32 s2, s18, 5
	v_lshl_add_u64 v[8:9], v[0:1], 2, s[0:1]
	v_add_f32_e32 v3, v3, v7
	v_add_u32_e32 v0, s2, v0
	v_add_f32_e32 v3, v3, v10
	v_lshl_add_u64 v[4:5], v[0:1], 2, s[0:1]
	global_store_dword v[8:9], v11, off
	global_store_dword v[4:5], v3, off
	s_and_saveexec_b64 s[4:5], vcc
	s_cbranch_execz .LBB137_8
; %bb.7:
	v_mul_u32_u24_e32 v3, 0x508, v34
	v_add_u32_e32 v6, v2, v3
	v_add_u32_e32 v4, 0x50, v6
	ds_read2st64_b32 v[2:3], v4 offset0:50 offset1:51
	ds_read2st64_b32 v[4:5], v4 offset0:52 offset1:53
	ds_read_b32 v6, v6 offset:13904
	v_add_u32_e32 v0, s2, v0
	v_lshl_add_u64 v[0:1], v[0:1], 2, s[0:1]
	s_waitcnt lgkmcnt(2)
	v_add_f32_e32 v2, 0, v2
	v_add_f32_e32 v2, v2, v3
	s_waitcnt lgkmcnt(1)
	v_add_f32_e32 v2, v2, v4
	v_add_f32_e32 v2, v2, v5
	s_waitcnt lgkmcnt(0)
	v_add_f32_e32 v2, v2, v6
	global_store_dword v[0:1], v2, off
.LBB137_8:
	s_endpgm
	.section	.rodata,"a",@progbits
	.p2align	6, 0x0
	.amdhsa_kernel _ZL9mul_mat_fI15__hip_bfloat162Li64ELi13ELi5ELb0EEvPKT_PKfPKiPfiiiiiiiiiiiiiiii
		.amdhsa_group_segment_fixed_size 0
		.amdhsa_private_segment_fixed_size 0
		.amdhsa_kernarg_size 96
		.amdhsa_user_sgpr_count 2
		.amdhsa_user_sgpr_dispatch_ptr 0
		.amdhsa_user_sgpr_queue_ptr 0
		.amdhsa_user_sgpr_kernarg_segment_ptr 1
		.amdhsa_user_sgpr_dispatch_id 0
		.amdhsa_user_sgpr_kernarg_preload_length 0
		.amdhsa_user_sgpr_kernarg_preload_offset 0
		.amdhsa_user_sgpr_private_segment_size 0
		.amdhsa_uses_dynamic_stack 0
		.amdhsa_enable_private_segment 0
		.amdhsa_system_sgpr_workgroup_id_x 1
		.amdhsa_system_sgpr_workgroup_id_y 1
		.amdhsa_system_sgpr_workgroup_id_z 1
		.amdhsa_system_sgpr_workgroup_info 0
		.amdhsa_system_vgpr_workitem_id 1
		.amdhsa_next_free_vgpr 120
		.amdhsa_next_free_sgpr 97
		.amdhsa_accum_offset 120
		.amdhsa_reserve_vcc 1
		.amdhsa_float_round_mode_32 0
		.amdhsa_float_round_mode_16_64 0
		.amdhsa_float_denorm_mode_32 3
		.amdhsa_float_denorm_mode_16_64 3
		.amdhsa_dx10_clamp 1
		.amdhsa_ieee_mode 1
		.amdhsa_fp16_overflow 0
		.amdhsa_tg_split 0
		.amdhsa_exception_fp_ieee_invalid_op 0
		.amdhsa_exception_fp_denorm_src 0
		.amdhsa_exception_fp_ieee_div_zero 0
		.amdhsa_exception_fp_ieee_overflow 0
		.amdhsa_exception_fp_ieee_underflow 0
		.amdhsa_exception_fp_ieee_inexact 0
		.amdhsa_exception_int_div_zero 0
	.end_amdhsa_kernel
	.section	.text._ZL9mul_mat_fI15__hip_bfloat162Li64ELi13ELi5ELb0EEvPKT_PKfPKiPfiiiiiiiiiiiiiiii,"axG",@progbits,_ZL9mul_mat_fI15__hip_bfloat162Li64ELi13ELi5ELb0EEvPKT_PKfPKiPfiiiiiiiiiiiiiiii,comdat
.Lfunc_end137:
	.size	_ZL9mul_mat_fI15__hip_bfloat162Li64ELi13ELi5ELb0EEvPKT_PKfPKiPfiiiiiiiiiiiiiiii, .Lfunc_end137-_ZL9mul_mat_fI15__hip_bfloat162Li64ELi13ELi5ELb0EEvPKT_PKfPKiPfiiiiiiiiiiiiiiii
                                        ; -- End function
	.set _ZL9mul_mat_fI15__hip_bfloat162Li64ELi13ELi5ELb0EEvPKT_PKfPKiPfiiiiiiiiiiiiiiii.num_vgpr, 120
	.set _ZL9mul_mat_fI15__hip_bfloat162Li64ELi13ELi5ELb0EEvPKT_PKfPKiPfiiiiiiiiiiiiiiii.num_agpr, 0
	.set _ZL9mul_mat_fI15__hip_bfloat162Li64ELi13ELi5ELb0EEvPKT_PKfPKiPfiiiiiiiiiiiiiiii.numbered_sgpr, 97
	.set _ZL9mul_mat_fI15__hip_bfloat162Li64ELi13ELi5ELb0EEvPKT_PKfPKiPfiiiiiiiiiiiiiiii.num_named_barrier, 0
	.set _ZL9mul_mat_fI15__hip_bfloat162Li64ELi13ELi5ELb0EEvPKT_PKfPKiPfiiiiiiiiiiiiiiii.private_seg_size, 0
	.set _ZL9mul_mat_fI15__hip_bfloat162Li64ELi13ELi5ELb0EEvPKT_PKfPKiPfiiiiiiiiiiiiiiii.uses_vcc, 1
	.set _ZL9mul_mat_fI15__hip_bfloat162Li64ELi13ELi5ELb0EEvPKT_PKfPKiPfiiiiiiiiiiiiiiii.uses_flat_scratch, 0
	.set _ZL9mul_mat_fI15__hip_bfloat162Li64ELi13ELi5ELb0EEvPKT_PKfPKiPfiiiiiiiiiiiiiiii.has_dyn_sized_stack, 0
	.set _ZL9mul_mat_fI15__hip_bfloat162Li64ELi13ELi5ELb0EEvPKT_PKfPKiPfiiiiiiiiiiiiiiii.has_recursion, 0
	.set _ZL9mul_mat_fI15__hip_bfloat162Li64ELi13ELi5ELb0EEvPKT_PKfPKiPfiiiiiiiiiiiiiiii.has_indirect_call, 0
	.section	.AMDGPU.csdata,"",@progbits
; Kernel info:
; codeLenInByte = 4832
; TotalNumSgprs: 103
; NumVgprs: 120
; NumAgprs: 0
; TotalNumVgprs: 120
; ScratchSize: 0
; MemoryBound: 0
; FloatMode: 240
; IeeeMode: 1
; LDSByteSize: 0 bytes/workgroup (compile time only)
; SGPRBlocks: 12
; VGPRBlocks: 14
; NumSGPRsForWavesPerEU: 103
; NumVGPRsForWavesPerEU: 120
; AccumOffset: 120
; Occupancy: 4
; WaveLimiterHint : 0
; COMPUTE_PGM_RSRC2:SCRATCH_EN: 0
; COMPUTE_PGM_RSRC2:USER_SGPR: 2
; COMPUTE_PGM_RSRC2:TRAP_HANDLER: 0
; COMPUTE_PGM_RSRC2:TGID_X_EN: 1
; COMPUTE_PGM_RSRC2:TGID_Y_EN: 1
; COMPUTE_PGM_RSRC2:TGID_Z_EN: 1
; COMPUTE_PGM_RSRC2:TIDIG_COMP_CNT: 1
; COMPUTE_PGM_RSRC3_GFX90A:ACCUM_OFFSET: 29
; COMPUTE_PGM_RSRC3_GFX90A:TG_SPLIT: 0
	.section	.text._ZL13mul_mat_f_idsI15__hip_bfloat162Li64ELi13ELi6EEvPKT_PKfPKiS7_S7_Pfiiiiiiiiiiiiii15HIP_vector_typeIjLj3EESA_,"axG",@progbits,_ZL13mul_mat_f_idsI15__hip_bfloat162Li64ELi13ELi6EEvPKT_PKfPKiS7_S7_Pfiiiiiiiiiiiiii15HIP_vector_typeIjLj3EESA_,comdat
	.globl	_ZL13mul_mat_f_idsI15__hip_bfloat162Li64ELi13ELi6EEvPKT_PKfPKiS7_S7_Pfiiiiiiiiiiiiii15HIP_vector_typeIjLj3EESA_ ; -- Begin function _ZL13mul_mat_f_idsI15__hip_bfloat162Li64ELi13ELi6EEvPKT_PKfPKiS7_S7_Pfiiiiiiiiiiiiii15HIP_vector_typeIjLj3EESA_
	.p2align	8
	.type	_ZL13mul_mat_f_idsI15__hip_bfloat162Li64ELi13ELi6EEvPKT_PKfPKiS7_S7_Pfiiiiiiiiiiiiii15HIP_vector_typeIjLj3EESA_,@function
_ZL13mul_mat_f_idsI15__hip_bfloat162Li64ELi13ELi6EEvPKT_PKfPKiS7_S7_Pfiiiiiiiiiiiiii15HIP_vector_typeIjLj3EESA_: ; @_ZL13mul_mat_f_idsI15__hip_bfloat162Li64ELi13ELi6EEvPKT_PKfPKiS7_S7_Pfiiiiiiiiiiiiii15HIP_vector_typeIjLj3EESA_
; %bb.0:
	s_load_dwordx2 s[6:7], s[0:1], 0x20
	s_mov_b32 s34, s3
	s_ashr_i32 s35, s3, 31
	s_lshl_b64 s[8:9], s[34:35], 2
	s_waitcnt lgkmcnt(0)
	s_add_u32 s6, s6, s8
	s_addc_u32 s7, s7, s9
	s_load_dwordx2 s[30:31], s[6:7], 0x0
	s_waitcnt lgkmcnt(0)
	s_sub_i32 s26, s31, s30
	s_add_i32 s3, s26, 12
	s_mul_hi_i32 s3, s3, 0x4ec4ec4f
	s_lshr_b32 s5, s3, 31
	s_ashr_i32 s3, s3, 2
	s_add_i32 s3, s3, s5
	s_cmp_ge_i32 s4, s3
	s_cbranch_scc1 .LBB138_56
; %bb.1:
	v_bfe_u32 v16, v0, 10, 10
	v_lshlrev_b32_e32 v86, 6, v16
	v_and_b32_e32 v17, 0x3ff, v0
	s_load_dwordx4 s[12:15], s[0:1], 0x30
	s_load_dwordx2 s[20:21], s[0:1], 0x40
	s_load_dwordx4 s[8:11], s[0:1], 0x4c
	s_load_dwordx4 s[16:19], s[0:1], 0x68
	s_load_dwordx2 s[24:25], s[0:1], 0x78
	v_add_u32_e32 v88, v86, v17
	s_ashr_i32 s31, s30, 31
	s_waitcnt lgkmcnt(0)
	v_cmp_le_i32_e32 vcc, s12, v88
	v_and_b32_e32 v87, 15, v17
	s_and_saveexec_b64 s[6:7], vcc
	s_xor_b64 s[6:7], exec, s[6:7]
; %bb.2:
	v_and_b32_e32 v87, 15, v17
                                        ; implicit-def: $vgpr88
; %bb.3:
	s_or_saveexec_b64 s[36:37], s[6:7]
	s_load_dwordx2 s[22:23], s[0:1], 0x18
	s_load_dwordx2 s[6:7], s[0:1], 0x28
                                        ; implicit-def: $vgpr118 : SGPR spill to VGPR lane
	v_mov_b32_e32 v15, 0
	s_lshl_b32 s11, s2, 6
	s_mul_i32 s28, s4, 13
	v_mov_b32_e32 v14, v15
	s_waitcnt lgkmcnt(0)
	v_writelane_b32 v118, s6, 0
	v_mov_b32_e32 v13, v15
	v_mov_b32_e32 v12, v15
	;; [unrolled: 1-line block ×14, first 2 shown]
	v_writelane_b32 v118, s7, 1
	s_xor_b64 exec, exec, s[36:37]
	s_cbranch_execz .LBB138_46
; %bb.4:
	s_load_dwordx4 s[4:7], s[0:1], 0x0
	s_load_dwordx2 s[2:3], s[0:1], 0x10
	v_writelane_b32 v118, s36, 2
	s_mul_i32 s0, s8, s34
	s_ashr_i32 s1, s0, 31
	v_writelane_b32 v118, s37, 3
	v_writelane_b32 v118, s22, 4
	s_lshl_b64 s[64:65], s[0:1], 2
	s_waitcnt lgkmcnt(0)
	s_add_u32 s0, s4, s64
	v_writelane_b32 v118, s23, 5
	s_mul_i32 s22, s15, s11
	v_writelane_b32 v118, s24, 6
	s_addc_u32 s1, s5, s65
	s_ashr_i32 s23, s22, 31
	v_writelane_b32 v118, s25, 7
	s_lshl_b64 s[66:67], s[22:23], 2
	v_writelane_b32 v118, s11, 8
	s_add_u32 s0, s0, s66
	s_addc_u32 s1, s1, s67
	v_writelane_b32 v118, s30, 9
	s_lshl_b64 s[22:23], s[30:31], 2
	s_add_u32 s8, s2, s22
	s_addc_u32 s11, s3, s23
	s_movk_i32 s2, 0x1080
	s_cmp_lt_i32 s28, s26
	v_writelane_b32 v118, s31, 10
	v_mad_u32_u24 v1, v16, s2, 0
	s_cselect_b64 s[2:3], -1, 0
	v_writelane_b32 v118, s2, 11
	s_ashr_i32 s29, s28, 31
	s_mov_b32 s22, s15
	v_writelane_b32 v118, s3, 12
	s_lshl_b64 s[2:3], s[28:29], 2
	s_add_u32 s36, s8, s2
	s_addc_u32 s37, s11, s3
	s_add_i32 s2, s28, 1
	s_cmp_lt_i32 s2, s26
	s_cselect_b64 s[2:3], -1, 0
	v_writelane_b32 v118, s2, 13
	v_lshrrev_b32_e32 v3, 1, v17
	v_mov_b32_e32 v19, 0
	v_writelane_b32 v118, s3, 14
	s_add_i32 s2, s28, 2
	s_cmp_lt_i32 s2, s26
	s_cselect_b64 s[2:3], -1, 0
	v_writelane_b32 v118, s2, 15
	v_lshlrev_b32_e32 v0, 2, v17
	v_mul_u32_u24_e32 v2, 0x108, v87
	v_writelane_b32 v118, s3, 16
	s_add_i32 s2, s28, 3
	s_cmp_lt_i32 s2, s26
	s_cselect_b64 s[2:3], -1, 0
	v_writelane_b32 v118, s2, 17
	v_and_b32_e32 v3, 0x1f8, v3
	v_lshlrev_b32_e32 v18, 8, v16
	v_writelane_b32 v118, s3, 18
	s_add_i32 s2, s28, 4
	s_cmp_lt_i32 s2, s26
	s_cselect_b64 s[2:3], -1, 0
	v_writelane_b32 v118, s2, 19
	v_add_u32_e32 v89, v1, v0
	v_add3_u32 v90, v1, v2, v3
	v_writelane_b32 v118, s3, 20
	s_add_i32 s2, s28, 5
	s_cmp_lt_i32 s2, s26
	s_cselect_b64 s[2:3], -1, 0
	v_writelane_b32 v118, s2, 21
	v_mov_b32_e32 v1, v19
	s_mul_i32 s8, s15, 3
	v_writelane_b32 v118, s3, 22
	s_add_i32 s2, s28, 6
	s_cmp_lt_i32 s2, s26
	s_cselect_b64 s[48:49], -1, 0
	s_add_i32 s2, s28, 7
	s_cmp_lt_i32 s2, s26
	s_cselect_b64 s[50:51], -1, 0
	;; [unrolled: 3-line block ×5, first 2 shown]
	s_add_i32 s2, s28, 11
	s_cmp_lt_i32 s2, s26
	s_mov_b32 s2, s28
	v_writelane_b32 v118, s2, 23
	s_cselect_b64 s[58:59], -1, 0
	s_mul_i32 s69, s15, 5
	v_writelane_b32 v118, s3, 24
	s_add_i32 s2, s28, 12
	s_cmp_lt_i32 s2, s26
	s_cselect_b64 s[60:61], -1, 0
	s_ashr_i32 s23, s15, 31
	s_add_i32 s3, s15, s15
	s_lshl_b32 s68, s15, 2
	s_lshl_b32 s72, s15, 3
	;; [unrolled: 1-line block ×4, first 2 shown]
	s_lshl_b64 s[62:63], s[22:23], 2
	s_add_u32 s22, s64, s66
	s_addc_u32 s23, s65, s67
	v_lshl_add_u64 v[2:3], s[22:23], 0, v[18:19]
	v_lshl_add_u64 v[0:1], v[2:3], 0, v[0:1]
	v_writelane_b32 v118, s26, 25
	s_mul_i32 s70, s15, 6
	s_mul_i32 s71, s15, 7
	;; [unrolled: 1-line block ×21, first 2 shown]
	v_lshl_add_u64 v[20:21], s[4:5], 0, v[0:1]
	v_mov_b32_e32 v8, 0
	v_mov_b32_e32 v9, v19
	;; [unrolled: 1-line block ×16, first 2 shown]
	s_mul_i32 s90, s15, 29
	s_mul_i32 s91, s15, 30
	;; [unrolled: 1-line block ×34, first 2 shown]
	s_mov_b32 s46, 0x5040100
	s_mov_b64 s[4:5], 0
	s_branch .LBB138_6
.LBB138_5:                              ;   in Loop: Header=BB138_6 Depth=1
	v_perm_b32 v18, v18, v91, s46
	v_perm_b32 v91, v93, v94, s46
	ds_write2_b32 v89, v18, v91 offset1:66
	v_perm_b32 v18, v95, v92, s46
	v_perm_b32 v91, v97, v98, s46
	ds_write2_b32 v89, v18, v91 offset0:132 offset1:198
	v_perm_b32 v18, v99, v96, s46
	v_perm_b32 v91, v101, v102, s46
	v_add_u32_e32 v92, 0x400, v89
	ds_write2_b32 v92, v18, v91 offset0:8 offset1:74
	v_perm_b32 v18, v103, v100, s46
	v_perm_b32 v91, v105, v106, s46
	ds_write2_b32 v92, v18, v91 offset0:140 offset1:206
	v_perm_b32 v18, v107, v104, s46
	v_perm_b32 v91, v109, v110, s46
	v_add_u32_e32 v92, 0x800, v89
	ds_write2_b32 v92, v18, v91 offset0:16 offset1:82
	v_perm_b32 v18, v111, v108, s46
	v_perm_b32 v91, v113, v114, s46
	ds_write2_b32 v92, v18, v91 offset0:148 offset1:214
	v_perm_b32 v18, v115, v112, s46
	v_add_u32_e32 v91, 0xc00, v89
	ds_write2_b32 v91, v18, v19 offset0:24 offset1:90
	ds_write2_b32 v91, v19, v19 offset0:156 offset1:222
	ds_read2_b64 v[92:95], v90 offset1:4
	s_waitcnt lgkmcnt(0)
	v_mfma_f32_16x16x16_bf16 v[0:3], v[54:55], v[92:93], v[0:3]
	v_add_u32_e32 v88, 0x180, v88
	s_mov_b64 vcc, 0x600
	v_lshl_add_u64 v[20:21], v[20:21], 0, vcc
	v_mfma_f32_16x16x16_bf16 v[8:11], v[38:39], v[92:93], v[8:11]
	v_cmp_le_i32_e32 vcc, s12, v88
	s_or_b64 s[4:5], vcc, s[4:5]
	v_mfma_f32_16x16x16_bf16 v[4:7], v[70:71], v[92:93], v[4:7]
	v_mfma_f32_16x16x16_bf16 v[12:15], v[84:85], v[92:93], v[12:15]
	v_mfma_f32_16x16x16_bf16 v[0:3], v[52:53], v[94:95], v[0:3]
	ds_read2_b64 v[52:55], v90 offset0:8 offset1:12
	v_mfma_f32_16x16x16_bf16 v[8:11], v[34:35], v[94:95], v[8:11]
	v_mfma_f32_16x16x16_bf16 v[4:7], v[68:69], v[94:95], v[4:7]
	v_mfma_f32_16x16x16_bf16 v[12:15], v[82:83], v[94:95], v[12:15]
	s_waitcnt lgkmcnt(0)
	v_mfma_f32_16x16x16_bf16 v[8:11], v[32:33], v[52:53], v[8:11]
	v_mfma_f32_16x16x16_bf16 v[0:3], v[48:49], v[52:53], v[0:3]
	v_mfma_f32_16x16x16_bf16 v[4:7], v[66:67], v[52:53], v[4:7]
	v_mfma_f32_16x16x16_bf16 v[12:15], v[78:79], v[52:53], v[12:15]
	v_mfma_f32_16x16x16_bf16 v[8:11], v[30:31], v[54:55], v[8:11]
	ds_read2_b64 v[30:33], v90 offset0:16 offset1:20
	v_mfma_f32_16x16x16_bf16 v[0:3], v[46:47], v[54:55], v[0:3]
	v_mfma_f32_16x16x16_bf16 v[4:7], v[64:65], v[54:55], v[4:7]
	v_mfma_f32_16x16x16_bf16 v[12:15], v[74:75], v[54:55], v[12:15]
	s_waitcnt lgkmcnt(0)
	v_mfma_f32_16x16x16_bf16 v[8:11], v[28:29], v[30:31], v[8:11]
	v_mfma_f32_16x16x16_bf16 v[0:3], v[44:45], v[30:31], v[0:3]
	;; [unrolled: 10-line block ×3, first 2 shown]
	v_mfma_f32_16x16x16_bf16 v[4:7], v[56:57], v[26:27], v[4:7]
	v_mfma_f32_16x16x16_bf16 v[12:15], v[72:73], v[26:27], v[12:15]
	;; [unrolled: 1-line block ×6, first 2 shown]
	s_andn2_b64 exec, exec, s[4:5]
	s_cbranch_execz .LBB138_45
.LBB138_6:                              ; =>This Inner Loop Header: Depth=1
	v_lshl_add_u64 v[22:23], v[20:21], 0, s[62:63]
	global_load_dword v18, v[20:21], off
	global_load_dword v48, v[22:23], off
	v_add_u32_e32 v22, s3, v88
	v_ashrrev_i32_e32 v23, 31, v22
	v_add_u32_e32 v24, s8, v88
	v_add_u32_e32 v26, s68, v88
	;; [unrolled: 1-line block ×5, first 2 shown]
	v_lshl_add_u64 v[22:23], v[22:23], 2, s[0:1]
	v_ashrrev_i32_e32 v25, 31, v24
	v_ashrrev_i32_e32 v27, 31, v26
	;; [unrolled: 1-line block ×5, first 2 shown]
	v_lshl_add_u64 v[24:25], v[24:25], 2, s[0:1]
	v_lshl_add_u64 v[26:27], v[26:27], 2, s[0:1]
	;; [unrolled: 1-line block ×5, first 2 shown]
	global_load_dword v49, v[22:23], off
	global_load_dword v50, v[24:25], off
	;; [unrolled: 1-line block ×6, first 2 shown]
	v_add_u32_e32 v22, s72, v88
	v_add_u32_e32 v40, s81, v88
	;; [unrolled: 1-line block ×10, first 2 shown]
	v_ashrrev_i32_e32 v23, 31, v22
	v_ashrrev_i32_e32 v41, 31, v40
	;; [unrolled: 1-line block ×10, first 2 shown]
	v_lshl_add_u64 v[22:23], v[22:23], 2, s[0:1]
	v_lshl_add_u64 v[40:41], v[40:41], 2, s[0:1]
	v_add_u32_e32 v42, s82, v88
	v_add_u32_e32 v44, s83, v88
	v_add_u32_e32 v46, s84, v88
	v_lshl_add_u64 v[24:25], v[24:25], 2, s[0:1]
	v_lshl_add_u64 v[26:27], v[26:27], 2, s[0:1]
	;; [unrolled: 1-line block ×8, first 2 shown]
	global_load_dword v55, v[22:23], off
	global_load_dword v56, v[24:25], off
	;; [unrolled: 1-line block ×9, first 2 shown]
	s_nop 0
	global_load_dword v40, v[40:41], off
	v_add_u32_e32 v22, s64, v88
	v_ashrrev_i32_e32 v43, 31, v42
	v_ashrrev_i32_e32 v45, 31, v44
	v_ashrrev_i32_e32 v47, 31, v46
	v_ashrrev_i32_e32 v23, 31, v22
	v_add_u32_e32 v24, s65, v88
	v_add_u32_e32 v26, s66, v88
	;; [unrolled: 1-line block ×4, first 2 shown]
	v_lshl_add_u64 v[42:43], v[42:43], 2, s[0:1]
	v_lshl_add_u64 v[44:45], v[44:45], 2, s[0:1]
	;; [unrolled: 1-line block ×4, first 2 shown]
	v_ashrrev_i32_e32 v25, 31, v24
	v_ashrrev_i32_e32 v27, 31, v26
	;; [unrolled: 1-line block ×4, first 2 shown]
	v_lshl_add_u64 v[24:25], v[24:25], 2, s[0:1]
	v_lshl_add_u64 v[26:27], v[26:27], 2, s[0:1]
	;; [unrolled: 1-line block ×4, first 2 shown]
	v_add_u32_e32 v32, s92, v88
	v_add_u32_e32 v34, s85, v88
	;; [unrolled: 1-line block ×3, first 2 shown]
	v_ashrrev_i32_e32 v33, 31, v32
	v_ashrrev_i32_e32 v35, 31, v34
	v_ashrrev_i32_e32 v37, 31, v36
	v_lshl_add_u64 v[32:33], v[32:33], 2, s[0:1]
	s_waitcnt vmcnt(17)
	ds_write_b32 v89, v18
	s_waitcnt vmcnt(16)
	ds_write_b32 v89, v48 offset:264
	s_waitcnt vmcnt(15)
	ds_write_b32 v89, v49 offset:528
	;; [unrolled: 2-line block ×7, first 2 shown]
	global_load_dword v18, v[42:43], off
	global_load_dword v41, v[44:45], off
	s_nop 0
	global_load_dword v42, v[46:47], off
	global_load_dword v43, v[22:23], off
	;; [unrolled: 1-line block ×4, first 2 shown]
	s_nop 0
	global_load_dword v46, v[28:29], off
	global_load_dword v47, v[30:31], off
	v_add_u32_e32 v22, s87, v88
	v_ashrrev_i32_e32 v23, 31, v22
	v_add_u32_e32 v24, s88, v88
	v_add_u32_e32 v26, s89, v88
	;; [unrolled: 1-line block ×4, first 2 shown]
	v_lshl_add_u64 v[22:23], v[22:23], 2, s[0:1]
	v_ashrrev_i32_e32 v25, 31, v24
	v_ashrrev_i32_e32 v27, 31, v26
	;; [unrolled: 1-line block ×4, first 2 shown]
	v_lshl_add_u64 v[24:25], v[24:25], 2, s[0:1]
	v_lshl_add_u64 v[26:27], v[26:27], 2, s[0:1]
	v_lshl_add_u64 v[28:29], v[28:29], 2, s[0:1]
	v_lshl_add_u64 v[30:31], v[30:31], 2, s[0:1]
	v_lshl_add_u64 v[34:35], v[34:35], 2, s[0:1]
	v_lshl_add_u64 v[36:37], v[36:37], 2, s[0:1]
	global_load_dword v48, v[22:23], off
	global_load_dword v49, v[24:25], off
	global_load_dword v50, v[26:27], off
	global_load_dword v51, v[28:29], off
	global_load_dword v52, v[30:31], off
	global_load_dword v53, v[32:33], off
	global_load_dword v64, v[34:35], off
	global_load_dword v65, v[36:37], off
	v_add_u32_e32 v22, s94, v88
	v_ashrrev_i32_e32 v23, 31, v22
	v_add_u32_e32 v24, s95, v88
	v_add_u32_e32 v26, s96, v88
	v_add_u32_e32 v28, s97, v88
	v_add_u32_e32 v30, s98, v88
	v_add_u32_e32 v32, s99, v88
	v_add_u32_e32 v34, s24, v88
	v_add_u32_e32 v36, s25, v88
	v_lshl_add_u64 v[22:23], v[22:23], 2, s[0:1]
	v_ashrrev_i32_e32 v25, 31, v24
	v_ashrrev_i32_e32 v27, 31, v26
	v_ashrrev_i32_e32 v29, 31, v28
	v_ashrrev_i32_e32 v31, 31, v30
	v_ashrrev_i32_e32 v33, 31, v32
	v_ashrrev_i32_e32 v35, 31, v34
	v_ashrrev_i32_e32 v37, 31, v36
	v_lshl_add_u64 v[24:25], v[24:25], 2, s[0:1]
	v_lshl_add_u64 v[26:27], v[26:27], 2, s[0:1]
	v_lshl_add_u64 v[28:29], v[28:29], 2, s[0:1]
	v_lshl_add_u64 v[30:31], v[30:31], 2, s[0:1]
	v_lshl_add_u64 v[32:33], v[32:33], 2, s[0:1]
	v_lshl_add_u64 v[34:35], v[34:35], 2, s[0:1]
	v_lshl_add_u64 v[36:37], v[36:37], 2, s[0:1]
	global_load_dword v66, v[22:23], off
	global_load_dword v67, v[24:25], off
	global_load_dword v68, v[26:27], off
	global_load_dword v69, v[28:29], off
	global_load_dword v70, v[30:31], off
	global_load_dword v71, v[32:33], off
	global_load_dword v72, v[34:35], off
	global_load_dword v73, v[36:37], off
	v_add_u32_e32 v22, s11, v88
	v_ashrrev_i32_e32 v23, 31, v22
	v_add_u32_e32 v24, s22, v88
	v_add_u32_e32 v26, s23, v88
	v_add_u32_e32 v28, s28, v88
	v_add_u32_e32 v30, s29, v88
	v_add_u32_e32 v32, s30, v88
	v_add_u32_e32 v34, s31, v88
	v_add_u32_e32 v36, s26, v88
	v_lshl_add_u64 v[22:23], v[22:23], 2, s[0:1]
	v_ashrrev_i32_e32 v25, 31, v24
	v_ashrrev_i32_e32 v27, 31, v26
	v_ashrrev_i32_e32 v29, 31, v28
	v_ashrrev_i32_e32 v31, 31, v30
	v_ashrrev_i32_e32 v33, 31, v32
	v_ashrrev_i32_e32 v35, 31, v34
	v_ashrrev_i32_e32 v37, 31, v36
	v_lshl_add_u64 v[24:25], v[24:25], 2, s[0:1]
	v_lshl_add_u64 v[26:27], v[26:27], 2, s[0:1]
	v_lshl_add_u64 v[28:29], v[28:29], 2, s[0:1]
	v_lshl_add_u64 v[30:31], v[30:31], 2, s[0:1]
	v_lshl_add_u64 v[32:33], v[32:33], 2, s[0:1]
	v_lshl_add_u64 v[34:35], v[34:35], 2, s[0:1]
	v_lshl_add_u64 v[36:37], v[36:37], 2, s[0:1]
	global_load_dword v74, v[22:23], off
	global_load_dword v75, v[24:25], off
	global_load_dword v76, v[26:27], off
	global_load_dword v77, v[28:29], off
	global_load_dword v78, v[30:31], off
	global_load_dword v79, v[32:33], off
	global_load_dword v80, v[34:35], off
	global_load_dword v81, v[36:37], off
	v_add_u32_e32 v22, s27, v88
	v_ashrrev_i32_e32 v23, 31, v22
	v_add_u32_e32 v24, s2, v88
	v_add_u32_e32 v26, s33, v88
	v_add_u32_e32 v28, s34, v88
	v_add_u32_e32 v30, s35, v88
	v_add_u32_e32 v32, s38, v88
	v_add_u32_e32 v34, s39, v88
	v_add_u32_e32 v36, s40, v88
	v_lshl_add_u64 v[22:23], v[22:23], 2, s[0:1]
	v_ashrrev_i32_e32 v25, 31, v24
	v_ashrrev_i32_e32 v27, 31, v26
	v_ashrrev_i32_e32 v29, 31, v28
	v_ashrrev_i32_e32 v31, 31, v30
	v_ashrrev_i32_e32 v33, 31, v32
	v_ashrrev_i32_e32 v35, 31, v34
	v_ashrrev_i32_e32 v37, 31, v36
	v_lshl_add_u64 v[24:25], v[24:25], 2, s[0:1]
	v_lshl_add_u64 v[26:27], v[26:27], 2, s[0:1]
	v_lshl_add_u64 v[28:29], v[28:29], 2, s[0:1]
	;; [unrolled: 1-line block ×6, first 2 shown]
	global_load_dword v82, v[22:23], off
	global_load_dword v83, v[24:25], off
	;; [unrolled: 1-line block ×8, first 2 shown]
	v_add_u32_e32 v22, s41, v88
	v_ashrrev_i32_e32 v23, 31, v22
	v_add_u32_e32 v24, s42, v88
	v_add_u32_e32 v26, s43, v88
	v_add_u32_e32 v28, s44, v88
	v_add_u32_e32 v30, s45, v88
	v_add_u32_e32 v32, s15, v88
	v_lshl_add_u64 v[22:23], v[22:23], 2, s[0:1]
	v_ashrrev_i32_e32 v25, 31, v24
	v_ashrrev_i32_e32 v27, 31, v26
	;; [unrolled: 1-line block ×5, first 2 shown]
	v_lshl_add_u64 v[24:25], v[24:25], 2, s[0:1]
	v_lshl_add_u64 v[26:27], v[26:27], 2, s[0:1]
	;; [unrolled: 1-line block ×5, first 2 shown]
	global_load_dword v95, v[22:23], off
	global_load_dword v96, v[24:25], off
	;; [unrolled: 1-line block ×6, first 2 shown]
	s_waitcnt vmcnt(55)
	ds_write_b32 v89, v55 offset:2112
	s_waitcnt vmcnt(54)
	ds_write_b32 v89, v56 offset:2376
	s_waitcnt vmcnt(53)
	ds_write_b32 v89, v57 offset:2640
	s_waitcnt vmcnt(52)
	ds_write_b32 v89, v58 offset:2904
	s_waitcnt vmcnt(51)
	ds_write_b32 v89, v59 offset:3168
	s_waitcnt vmcnt(50)
	ds_write_b32 v89, v60 offset:3432
	s_waitcnt vmcnt(49)
	ds_write_b32 v89, v61 offset:3696
	s_waitcnt vmcnt(48)
	ds_write_b32 v89, v62 offset:3960
	ds_read_b64 v[38:39], v90
	ds_read_b64 v[34:35], v90 offset:32
	ds_read_b64 v[32:33], v90 offset:64
	ds_read_b64 v[30:31], v90 offset:96
	ds_read_b64 v[28:29], v90 offset:128
	ds_read_b64 v[26:27], v90 offset:160
	ds_read_b64 v[24:25], v90 offset:192
	ds_read_b64 v[22:23], v90 offset:224
	s_waitcnt vmcnt(47)
	ds_write_b32 v89, v63
	s_waitcnt vmcnt(46)
	ds_write_b32 v89, v40 offset:264
	s_waitcnt vmcnt(45)
	ds_write_b32 v89, v18 offset:528
	s_waitcnt vmcnt(44)
	ds_write_b32 v89, v41 offset:792
	s_waitcnt vmcnt(43)
	ds_write_b32 v89, v42 offset:1056
	s_waitcnt vmcnt(42)
	ds_write_b32 v89, v43 offset:1320
	s_waitcnt vmcnt(41)
	ds_write_b32 v89, v44 offset:1584
	s_waitcnt vmcnt(40)
	ds_write_b32 v89, v45 offset:1848
	s_waitcnt vmcnt(39)
	ds_write_b32 v89, v46 offset:2112
	s_waitcnt vmcnt(38)
	ds_write_b32 v89, v47 offset:2376
	s_waitcnt vmcnt(37)
	ds_write_b32 v89, v48 offset:2640
	s_waitcnt vmcnt(36)
	ds_write_b32 v89, v49 offset:2904
	s_waitcnt vmcnt(35)
	ds_write_b32 v89, v50 offset:3168
	s_waitcnt vmcnt(34)
	ds_write_b32 v89, v51 offset:3432
	s_waitcnt vmcnt(33)
	ds_write_b32 v89, v52 offset:3696
	s_waitcnt vmcnt(32)
	ds_write_b32 v89, v53 offset:3960
	ds_read_b64 v[54:55], v90
	ds_read_b64 v[52:53], v90 offset:32
	ds_read_b64 v[48:49], v90 offset:64
	ds_read_b64 v[46:47], v90 offset:96
	ds_read_b64 v[44:45], v90 offset:128
	ds_read_b64 v[42:43], v90 offset:160
	ds_read_b64 v[40:41], v90 offset:192
	ds_read_b64 v[36:37], v90 offset:224
	s_waitcnt vmcnt(31)
	ds_write_b32 v89, v64
	s_waitcnt vmcnt(30)
	ds_write_b32 v89, v65 offset:264
	s_waitcnt vmcnt(29)
	ds_write_b32 v89, v66 offset:528
	s_waitcnt vmcnt(28)
	ds_write_b32 v89, v67 offset:792
	s_waitcnt vmcnt(27)
	ds_write_b32 v89, v68 offset:1056
	s_waitcnt vmcnt(26)
	ds_write_b32 v89, v69 offset:1320
	s_waitcnt vmcnt(25)
	ds_write_b32 v89, v70 offset:1584
	s_waitcnt vmcnt(24)
	ds_write_b32 v89, v71 offset:1848
	;; [unrolled: 40-line block ×3, first 2 shown]
	s_waitcnt vmcnt(7)
	ds_write_b32 v89, v93 offset:2112
	s_waitcnt vmcnt(6)
	ds_write_b32 v89, v94 offset:2376
	s_waitcnt vmcnt(5)
	ds_write_b32 v89, v95 offset:2640
	s_waitcnt vmcnt(4)
	ds_write_b32 v89, v96 offset:2904
	s_waitcnt vmcnt(3)
	ds_write_b32 v89, v97 offset:3168
	s_waitcnt vmcnt(2)
	ds_write_b32 v89, v98 offset:3432
	s_waitcnt vmcnt(1)
	ds_write_b32 v89, v99 offset:3696
	s_waitcnt vmcnt(0)
	ds_write_b32 v89, v100 offset:3960
	ds_read_b64 v[84:85], v90
	ds_read_b64 v[82:83], v90 offset:32
	ds_read_b64 v[78:79], v90 offset:64
	;; [unrolled: 1-line block ×7, first 2 shown]
	v_readlane_b32 vcc_lo, v118, 11
	v_readlane_b32 vcc_hi, v118, 12
	s_andn2_b64 vcc, exec, vcc
	v_mov_b32_e32 v91, 0
	v_mov_b32_e32 v18, 0
	s_cbranch_vccnz .LBB138_9
; %bb.7:                                ;   in Loop: Header=BB138_6 Depth=1
	s_load_dword s47, s[36:37], 0x0
	v_mov_b32_e32 v18, 0
	v_mov_b32_e32 v91, 0
	s_waitcnt lgkmcnt(0)
	s_mul_hi_u32 vcc_lo, s47, s16
	s_add_i32 vcc_lo, s47, vcc_lo
	s_lshr_b32 vcc_lo, vcc_lo, s17
	s_cmp_ge_i32 vcc_lo, s13
	s_cbranch_scc1 .LBB138_9
; %bb.8:                                ;   in Loop: Header=BB138_6 Depth=1
	s_mul_i32 vcc_hi, vcc_lo, s18
	s_sub_i32 s47, s47, vcc_hi
	s_mul_i32 vcc_lo, vcc_lo, s20
	s_mul_i32 s47, s47, s9
	v_add_u32_e32 v18, vcc_lo, v88
	v_lshl_add_u32 v92, v18, 1, s47
	v_ashrrev_i32_e32 v93, 31, v92
	v_lshl_add_u64 v[92:93], v[92:93], 2, s[6:7]
	global_load_dwordx2 v[92:93], v[92:93], off
	s_waitcnt vmcnt(0)
	v_cvt_pk_bf16_f32 v91, v92, s0
	v_cvt_pk_bf16_f32 v18, v93, s0
.LBB138_9:                              ;   in Loop: Header=BB138_6 Depth=1
	v_readlane_b32 vcc_lo, v118, 13
	v_readlane_b32 vcc_hi, v118, 14
	v_mov_b32_e32 v92, 0
	s_andn2_b64 vcc, exec, vcc
	v_mov_b32_e32 v94, 0
	v_mov_b32_e32 v93, 0
	s_cbranch_vccnz .LBB138_12
; %bb.10:                               ;   in Loop: Header=BB138_6 Depth=1
	s_load_dword s47, s[36:37], 0x4
	v_mov_b32_e32 v93, 0
	v_mov_b32_e32 v94, 0
	s_waitcnt lgkmcnt(0)
	s_mul_hi_u32 vcc_lo, s47, s16
	s_add_i32 vcc_lo, s47, vcc_lo
	s_lshr_b32 vcc_lo, vcc_lo, s17
	s_cmp_ge_i32 vcc_lo, s13
	s_cbranch_scc1 .LBB138_12
; %bb.11:                               ;   in Loop: Header=BB138_6 Depth=1
	s_mul_i32 vcc_hi, vcc_lo, s18
	s_sub_i32 s47, s47, vcc_hi
	s_mul_i32 vcc_lo, vcc_lo, s20
	s_mul_i32 s47, s47, s9
	v_add_u32_e32 v93, vcc_lo, v88
	v_lshl_add_u32 v94, v93, 1, s47
	v_ashrrev_i32_e32 v95, 31, v94
	v_lshl_add_u64 v[94:95], v[94:95], 2, s[6:7]
	global_load_dwordx2 v[94:95], v[94:95], off
	s_waitcnt vmcnt(0)
	v_cvt_pk_bf16_f32 v94, v94, s0
	v_cvt_pk_bf16_f32 v93, v95, s0
.LBB138_12:                             ;   in Loop: Header=BB138_6 Depth=1
	v_readlane_b32 vcc_lo, v118, 15
	v_readlane_b32 vcc_hi, v118, 16
	s_andn2_b64 vcc, exec, vcc
	v_mov_b32_e32 v95, 0
	s_cbranch_vccnz .LBB138_15
; %bb.13:                               ;   in Loop: Header=BB138_6 Depth=1
	s_load_dword s47, s[36:37], 0x8
	v_mov_b32_e32 v95, 0
	v_mov_b32_e32 v92, 0
	s_waitcnt lgkmcnt(0)
	s_mul_hi_u32 vcc_lo, s47, s16
	s_add_i32 vcc_lo, s47, vcc_lo
	s_lshr_b32 vcc_lo, vcc_lo, s17
	s_cmp_ge_i32 vcc_lo, s13
	s_cbranch_scc1 .LBB138_15
; %bb.14:                               ;   in Loop: Header=BB138_6 Depth=1
	s_mul_i32 vcc_hi, vcc_lo, s18
	s_sub_i32 s47, s47, vcc_hi
	s_mul_i32 vcc_lo, vcc_lo, s20
	s_mul_i32 s47, s47, s9
	v_add_u32_e32 v92, vcc_lo, v88
	v_lshl_add_u32 v96, v92, 1, s47
	v_ashrrev_i32_e32 v97, 31, v96
	v_lshl_add_u64 v[96:97], v[96:97], 2, s[6:7]
	global_load_dwordx2 v[96:97], v[96:97], off
	s_waitcnt vmcnt(0)
	v_cvt_pk_bf16_f32 v92, v96, s0
	v_cvt_pk_bf16_f32 v95, v97, s0
.LBB138_15:                             ;   in Loop: Header=BB138_6 Depth=1
	v_readlane_b32 vcc_lo, v118, 17
	v_readlane_b32 vcc_hi, v118, 18
	v_mov_b32_e32 v96, 0
	s_andn2_b64 vcc, exec, vcc
	v_mov_b32_e32 v98, 0
	v_mov_b32_e32 v97, 0
	s_cbranch_vccnz .LBB138_18
; %bb.16:                               ;   in Loop: Header=BB138_6 Depth=1
	s_load_dword s47, s[36:37], 0xc
	v_mov_b32_e32 v97, 0
	v_mov_b32_e32 v98, 0
	s_waitcnt lgkmcnt(0)
	s_mul_hi_u32 vcc_lo, s47, s16
	s_add_i32 vcc_lo, s47, vcc_lo
	s_lshr_b32 vcc_lo, vcc_lo, s17
	s_cmp_ge_i32 vcc_lo, s13
	s_cbranch_scc1 .LBB138_18
; %bb.17:                               ;   in Loop: Header=BB138_6 Depth=1
	s_mul_i32 vcc_hi, vcc_lo, s18
	s_sub_i32 s47, s47, vcc_hi
	s_mul_i32 vcc_lo, vcc_lo, s20
	s_mul_i32 s47, s47, s9
	v_add_u32_e32 v97, vcc_lo, v88
	v_lshl_add_u32 v98, v97, 1, s47
	v_ashrrev_i32_e32 v99, 31, v98
	v_lshl_add_u64 v[98:99], v[98:99], 2, s[6:7]
	global_load_dwordx2 v[98:99], v[98:99], off
	s_waitcnt vmcnt(0)
	v_cvt_pk_bf16_f32 v98, v98, s0
	v_cvt_pk_bf16_f32 v97, v99, s0
.LBB138_18:                             ;   in Loop: Header=BB138_6 Depth=1
	v_readlane_b32 vcc_lo, v118, 19
	v_readlane_b32 vcc_hi, v118, 20
	s_andn2_b64 vcc, exec, vcc
	v_mov_b32_e32 v99, 0
	s_cbranch_vccnz .LBB138_21
; %bb.19:                               ;   in Loop: Header=BB138_6 Depth=1
	s_load_dword s47, s[36:37], 0x10
	v_mov_b32_e32 v99, 0
	v_mov_b32_e32 v96, 0
	s_waitcnt lgkmcnt(0)
	s_mul_hi_u32 vcc_lo, s47, s16
	s_add_i32 vcc_lo, s47, vcc_lo
	s_lshr_b32 vcc_lo, vcc_lo, s17
	s_cmp_ge_i32 vcc_lo, s13
	s_cbranch_scc1 .LBB138_21
; %bb.20:                               ;   in Loop: Header=BB138_6 Depth=1
	s_mul_i32 vcc_hi, vcc_lo, s18
	s_sub_i32 s47, s47, vcc_hi
	s_mul_i32 vcc_lo, vcc_lo, s20
	s_mul_i32 s47, s47, s9
	v_add_u32_e32 v96, vcc_lo, v88
	v_lshl_add_u32 v100, v96, 1, s47
	v_ashrrev_i32_e32 v101, 31, v100
	v_lshl_add_u64 v[100:101], v[100:101], 2, s[6:7]
	global_load_dwordx2 v[100:101], v[100:101], off
	s_waitcnt vmcnt(0)
	v_cvt_pk_bf16_f32 v96, v100, s0
	v_cvt_pk_bf16_f32 v99, v101, s0
.LBB138_21:                             ;   in Loop: Header=BB138_6 Depth=1
	v_readlane_b32 vcc_lo, v118, 21
	v_readlane_b32 vcc_hi, v118, 22
	v_mov_b32_e32 v100, 0
	s_andn2_b64 vcc, exec, vcc
	v_mov_b32_e32 v102, 0
	v_mov_b32_e32 v101, 0
	s_cbranch_vccnz .LBB138_24
; %bb.22:                               ;   in Loop: Header=BB138_6 Depth=1
	s_load_dword s47, s[36:37], 0x14
	v_mov_b32_e32 v101, 0
	v_mov_b32_e32 v102, 0
	s_waitcnt lgkmcnt(0)
	s_mul_hi_u32 vcc_lo, s47, s16
	s_add_i32 vcc_lo, s47, vcc_lo
	s_lshr_b32 vcc_lo, vcc_lo, s17
	s_cmp_ge_i32 vcc_lo, s13
	s_cbranch_scc1 .LBB138_24
; %bb.23:                               ;   in Loop: Header=BB138_6 Depth=1
	s_mul_i32 vcc_hi, vcc_lo, s18
	s_sub_i32 s47, s47, vcc_hi
	s_mul_i32 vcc_lo, vcc_lo, s20
	s_mul_i32 s47, s47, s9
	v_add_u32_e32 v101, vcc_lo, v88
	v_lshl_add_u32 v102, v101, 1, s47
	v_ashrrev_i32_e32 v103, 31, v102
	v_lshl_add_u64 v[102:103], v[102:103], 2, s[6:7]
	global_load_dwordx2 v[102:103], v[102:103], off
	s_waitcnt vmcnt(0)
	v_cvt_pk_bf16_f32 v102, v102, s0
	v_cvt_pk_bf16_f32 v101, v103, s0
.LBB138_24:                             ;   in Loop: Header=BB138_6 Depth=1
	s_andn2_b64 vcc, exec, s[48:49]
	v_mov_b32_e32 v103, 0
	s_cbranch_vccnz .LBB138_27
; %bb.25:                               ;   in Loop: Header=BB138_6 Depth=1
	s_load_dword s47, s[36:37], 0x18
	v_mov_b32_e32 v103, 0
	v_mov_b32_e32 v100, 0
	s_waitcnt lgkmcnt(0)
	s_mul_hi_u32 vcc_lo, s47, s16
	s_add_i32 vcc_lo, s47, vcc_lo
	s_lshr_b32 vcc_lo, vcc_lo, s17
	s_cmp_ge_i32 vcc_lo, s13
	s_cbranch_scc1 .LBB138_27
; %bb.26:                               ;   in Loop: Header=BB138_6 Depth=1
	s_mul_i32 vcc_hi, vcc_lo, s18
	s_sub_i32 s47, s47, vcc_hi
	s_mul_i32 vcc_lo, vcc_lo, s20
	s_mul_i32 s47, s47, s9
	v_add_u32_e32 v100, vcc_lo, v88
	v_lshl_add_u32 v104, v100, 1, s47
	v_ashrrev_i32_e32 v105, 31, v104
	v_lshl_add_u64 v[104:105], v[104:105], 2, s[6:7]
	global_load_dwordx2 v[104:105], v[104:105], off
	s_waitcnt vmcnt(0)
	v_cvt_pk_bf16_f32 v100, v104, s0
	v_cvt_pk_bf16_f32 v103, v105, s0
.LBB138_27:                             ;   in Loop: Header=BB138_6 Depth=1
	v_mov_b32_e32 v104, 0
	s_andn2_b64 vcc, exec, s[50:51]
	v_mov_b32_e32 v106, 0
	v_mov_b32_e32 v105, 0
	s_cbranch_vccnz .LBB138_30
; %bb.28:                               ;   in Loop: Header=BB138_6 Depth=1
	s_load_dword s47, s[36:37], 0x1c
	v_mov_b32_e32 v105, 0
	v_mov_b32_e32 v106, 0
	s_waitcnt lgkmcnt(0)
	s_mul_hi_u32 vcc_lo, s47, s16
	s_add_i32 vcc_lo, s47, vcc_lo
	s_lshr_b32 vcc_lo, vcc_lo, s17
	s_cmp_ge_i32 vcc_lo, s13
	s_cbranch_scc1 .LBB138_30
; %bb.29:                               ;   in Loop: Header=BB138_6 Depth=1
	s_mul_i32 vcc_hi, vcc_lo, s18
	s_sub_i32 s47, s47, vcc_hi
	s_mul_i32 vcc_lo, vcc_lo, s20
	s_mul_i32 s47, s47, s9
	v_add_u32_e32 v105, vcc_lo, v88
	v_lshl_add_u32 v106, v105, 1, s47
	v_ashrrev_i32_e32 v107, 31, v106
	v_lshl_add_u64 v[106:107], v[106:107], 2, s[6:7]
	global_load_dwordx2 v[106:107], v[106:107], off
	s_waitcnt vmcnt(0)
	v_cvt_pk_bf16_f32 v106, v106, s0
	v_cvt_pk_bf16_f32 v105, v107, s0
.LBB138_30:                             ;   in Loop: Header=BB138_6 Depth=1
	s_andn2_b64 vcc, exec, s[52:53]
	v_mov_b32_e32 v107, 0
	s_cbranch_vccnz .LBB138_33
; %bb.31:                               ;   in Loop: Header=BB138_6 Depth=1
	s_load_dword s47, s[36:37], 0x20
	v_mov_b32_e32 v107, 0
	v_mov_b32_e32 v104, 0
	s_waitcnt lgkmcnt(0)
	s_mul_hi_u32 vcc_lo, s47, s16
	s_add_i32 vcc_lo, s47, vcc_lo
	s_lshr_b32 vcc_lo, vcc_lo, s17
	s_cmp_ge_i32 vcc_lo, s13
	s_cbranch_scc1 .LBB138_33
; %bb.32:                               ;   in Loop: Header=BB138_6 Depth=1
	s_mul_i32 vcc_hi, vcc_lo, s18
	s_sub_i32 s47, s47, vcc_hi
	s_mul_i32 vcc_lo, vcc_lo, s20
	s_mul_i32 s47, s47, s9
	v_add_u32_e32 v104, vcc_lo, v88
	v_lshl_add_u32 v108, v104, 1, s47
	v_ashrrev_i32_e32 v109, 31, v108
	v_lshl_add_u64 v[108:109], v[108:109], 2, s[6:7]
	global_load_dwordx2 v[108:109], v[108:109], off
	s_waitcnt vmcnt(0)
	v_cvt_pk_bf16_f32 v104, v108, s0
	v_cvt_pk_bf16_f32 v107, v109, s0
.LBB138_33:                             ;   in Loop: Header=BB138_6 Depth=1
	v_mov_b32_e32 v108, 0
	s_andn2_b64 vcc, exec, s[54:55]
	;; [unrolled: 56-line block ×3, first 2 shown]
	v_mov_b32_e32 v114, 0
	v_mov_b32_e32 v113, 0
	s_cbranch_vccnz .LBB138_42
; %bb.40:                               ;   in Loop: Header=BB138_6 Depth=1
	s_load_dword s47, s[36:37], 0x2c
	v_mov_b32_e32 v113, 0
	v_mov_b32_e32 v114, 0
	s_waitcnt lgkmcnt(0)
	s_mul_hi_u32 vcc_lo, s47, s16
	s_add_i32 vcc_lo, s47, vcc_lo
	s_lshr_b32 vcc_lo, vcc_lo, s17
	s_cmp_ge_i32 vcc_lo, s13
	s_cbranch_scc1 .LBB138_42
; %bb.41:                               ;   in Loop: Header=BB138_6 Depth=1
	s_mul_i32 vcc_hi, vcc_lo, s18
	s_sub_i32 s47, s47, vcc_hi
	s_mul_i32 vcc_lo, vcc_lo, s20
	s_mul_i32 s47, s47, s9
	v_add_u32_e32 v113, vcc_lo, v88
	v_lshl_add_u32 v114, v113, 1, s47
	v_ashrrev_i32_e32 v115, 31, v114
	v_lshl_add_u64 v[114:115], v[114:115], 2, s[6:7]
	global_load_dwordx2 v[114:115], v[114:115], off
	s_waitcnt vmcnt(0)
	v_cvt_pk_bf16_f32 v114, v114, s0
	v_cvt_pk_bf16_f32 v113, v115, s0
.LBB138_42:                             ;   in Loop: Header=BB138_6 Depth=1
	s_andn2_b64 vcc, exec, s[60:61]
	v_mov_b32_e32 v115, 0
	s_cbranch_vccnz .LBB138_5
; %bb.43:                               ;   in Loop: Header=BB138_6 Depth=1
	s_load_dword s47, s[36:37], 0x30
	v_mov_b32_e32 v115, 0
	v_mov_b32_e32 v112, 0
	s_waitcnt lgkmcnt(0)
	s_mul_hi_u32 vcc_lo, s47, s16
	s_add_i32 vcc_lo, s47, vcc_lo
	s_lshr_b32 vcc_lo, vcc_lo, s17
	s_cmp_ge_i32 vcc_lo, s13
	s_cbranch_scc1 .LBB138_5
; %bb.44:                               ;   in Loop: Header=BB138_6 Depth=1
	s_mul_i32 vcc_hi, vcc_lo, s18
	s_sub_i32 s47, s47, vcc_hi
	s_mul_i32 vcc_lo, vcc_lo, s20
	s_mul_i32 s47, s47, s9
	v_add_u32_e32 v112, vcc_lo, v88
	v_lshl_add_u32 v116, v112, 1, s47
	v_ashrrev_i32_e32 v117, 31, v116
	v_lshl_add_u64 v[116:117], v[116:117], 2, s[6:7]
	global_load_dwordx2 v[116:117], v[116:117], off
	s_waitcnt vmcnt(0)
	v_cvt_pk_bf16_f32 v112, v116, s0
	v_cvt_pk_bf16_f32 v115, v117, s0
	s_branch .LBB138_5
.LBB138_45:
	s_or_b64 exec, exec, s[4:5]
	v_readlane_b32 s24, v118, 6
	v_readlane_b32 s30, v118, 9
	;; [unrolled: 1-line block ×12, first 2 shown]
.LBB138_46:
	s_or_b64 exec, exec, s[36:37]
	s_lshl_b64 s[0:1], s[30:31], 2
	s_add_u32 s4, s22, s0
	v_lshl_add_u32 v18, v86, 2, 0
	v_mul_u32_u24_e32 v19, 0x608, v87
	v_and_b32_e32 v20, 0x3f0, v17
	s_addc_u32 s5, s23, s1
	v_add3_u32 v18, v18, v19, v20
	s_barrier
	ds_write2_b32 v18, v8, v9 offset1:1
	ds_write2_b32 v18, v10, v11 offset0:2 offset1:3
	ds_write2_b32 v18, v0, v1 offset0:16 offset1:17
	;; [unrolled: 1-line block ×7, first 2 shown]
	s_cmp_gt_i32 s14, 0
	v_add_u32_e32 v0, s28, v16
	s_cselect_b64 s[6:7], -1, 0
	v_cmp_gt_i32_e64 s[0:1], s26, v0
	v_cmp_gt_u32_e32 vcc, 13, v16
	s_and_b64 s[0:1], s[6:7], s[0:1]
	v_lshl_add_u32 v3, v17, 2, 0
	v_add_u32_e32 v2, s11, v17
	v_mul_u32_u24_e32 v4, 0x608, v16
	s_and_b64 s[2:3], vcc, s[0:1]
	s_waitcnt lgkmcnt(0)
	s_barrier
	s_and_saveexec_b64 s[0:1], s[2:3]
	s_cbranch_execz .LBB138_49
; %bb.47:
	v_ashrrev_i32_e32 v1, 31, v0
	v_lshl_add_u64 v[6:7], v[0:1], 2, s[4:5]
	global_load_dword v5, v[6:7], off
	s_waitcnt vmcnt(0)
	v_mul_hi_u32 v1, v5, s19
	v_add_u32_e32 v1, v5, v1
	v_lshrrev_b32_e32 v1, s24, v1
	v_cmp_gt_i32_e32 vcc, s13, v1
	s_and_b64 exec, exec, vcc
	s_cbranch_execz .LBB138_49
; %bb.48:
	v_add_u32_e32 v10, v3, v4
	ds_read2st64_b32 v[6:7], v10 offset1:1
	ds_read2st64_b32 v[8:9], v10 offset0:2 offset1:3
	ds_read2st64_b32 v[10:11], v10 offset0:4 offset1:5
	v_mul_lo_u32 v12, v1, s25
	v_sub_u32_e32 v5, v5, v12
	v_mul_lo_u32 v5, v5, s10
	s_waitcnt lgkmcnt(2)
	v_add_f32_e32 v6, 0, v6
	v_add_f32_e32 v6, v6, v7
	s_waitcnt lgkmcnt(1)
	v_add_f32_e32 v6, v6, v8
	v_add_f32_e32 v6, v6, v9
	s_waitcnt lgkmcnt(0)
	v_add_f32_e32 v6, v6, v10
	v_mul_lo_u32 v1, v1, s21
	v_readlane_b32 s2, v118, 0
	v_add_f32_e32 v8, v6, v11
	v_add3_u32 v6, v2, v1, v5
	v_mov_b32_e32 v7, 0
	v_readlane_b32 s3, v118, 1
	s_nop 1
	v_lshl_add_u64 v[6:7], v[6:7], 2, s[2:3]
	global_store_dword v[6:7], v8, off
.LBB138_49:
	s_or_b64 exec, exec, s[0:1]
	v_add_u32_e32 v0, 6, v0
	v_cmp_gt_i32_e64 s[0:1], s26, v0
	v_cmp_gt_u32_e32 vcc, 7, v16
	s_and_b64 s[0:1], s[6:7], s[0:1]
	s_and_b64 s[2:3], vcc, s[0:1]
	s_and_saveexec_b64 s[0:1], s[2:3]
	s_cbranch_execz .LBB138_52
; %bb.50:
	s_ashr_i32 s29, s28, 31
	v_mov_b32_e32 v17, 0
	v_lshl_add_u64 v[0:1], v[16:17], 0, s[28:29]
	v_lshl_add_u64 v[0:1], v[0:1], 2, s[4:5]
	global_load_dword v1, v[0:1], off offset:24
	s_waitcnt vmcnt(0)
	v_mul_hi_u32 v0, v1, s19
	v_add_u32_e32 v0, v1, v0
	v_lshrrev_b32_e32 v0, s24, v0
	v_cmp_gt_i32_e32 vcc, s13, v0
	s_and_b64 exec, exec, vcc
	s_cbranch_execz .LBB138_52
; %bb.51:
	v_add_u32_e32 v4, v4, v3
	v_add_u32_e32 v8, 48, v4
	ds_read2st64_b32 v[4:5], v8 offset0:36 offset1:37
	ds_read2st64_b32 v[6:7], v8 offset0:38 offset1:39
	v_mul_lo_u32 v9, v0, s25
	v_sub_u32_e32 v1, v1, v9
	ds_read2st64_b32 v[8:9], v8 offset0:40 offset1:41
	s_waitcnt lgkmcnt(2)
	v_add_f32_e32 v4, 0, v4
	v_add_f32_e32 v4, v4, v5
	s_waitcnt lgkmcnt(1)
	v_add_f32_e32 v4, v4, v6
	v_add_f32_e32 v4, v4, v7
	v_mul_lo_u32 v1, v1, s10
	v_mul_lo_u32 v0, v0, s21
	v_readlane_b32 s2, v118, 0
	s_waitcnt lgkmcnt(0)
	v_add_f32_e32 v4, v4, v8
	v_add3_u32 v0, v2, v0, v1
	v_mov_b32_e32 v1, v17
	v_readlane_b32 s3, v118, 1
	v_add_f32_e32 v4, v4, v9
	s_nop 0
	v_lshl_add_u64 v[0:1], v[0:1], 2, s[2:3]
	global_store_dword v[0:1], v4, off
.LBB138_52:
	s_or_b64 exec, exec, s[0:1]
	v_cmp_eq_u32_e32 vcc, 0, v16
	s_and_saveexec_b64 s[0:1], vcc
	s_cbranch_execz .LBB138_56
; %bb.53:
	s_add_i32 s0, s28, 12
	s_cmp_ge_i32 s0, s26
	s_cselect_b64 s[0:1], -1, 0
	s_xor_b64 s[2:3], s[6:7], -1
	s_or_b64 s[0:1], s[2:3], s[0:1]
	s_and_b64 vcc, exec, s[0:1]
	s_cbranch_vccnz .LBB138_56
; %bb.54:
	s_ashr_i32 s29, s28, 31
	s_lshl_b64 s[0:1], s[28:29], 2
	s_add_u32 s0, s4, s0
	s_addc_u32 s1, s5, s1
	s_load_dword s1, s[0:1], 0x30
	s_waitcnt lgkmcnt(0)
	s_mul_hi_u32 s0, s1, s19
	s_add_i32 s0, s1, s0
	s_lshr_b32 s0, s0, s24
	s_cmp_ge_i32 s0, s13
	s_cbranch_scc1 .LBB138_56
; %bb.55:
	v_add_u32_e32 v3, 0x60, v3
	ds_read2st64_b32 v[0:1], v3 offset0:72 offset1:73
	ds_read2st64_b32 v[4:5], v3 offset0:74 offset1:75
	ds_read2st64_b32 v[6:7], v3 offset0:76 offset1:77
	s_mul_i32 s2, s0, s25
	s_sub_i32 s1, s1, s2
	s_mul_i32 s1, s1, s10
	s_waitcnt lgkmcnt(2)
	v_add_f32_e32 v0, 0, v0
	v_add_f32_e32 v0, v0, v1
	s_waitcnt lgkmcnt(1)
	v_add_f32_e32 v0, v0, v4
	v_add_f32_e32 v0, v0, v5
	s_mul_i32 s0, s0, s21
	s_waitcnt lgkmcnt(0)
	v_add_f32_e32 v0, v0, v6
	s_add_i32 s1, s1, s0
	v_add_f32_e32 v3, v0, v7
	v_add_u32_e32 v0, s1, v2
	v_readlane_b32 s0, v118, 0
	v_mov_b32_e32 v1, 0
	v_readlane_b32 s1, v118, 1
	s_nop 1
	v_lshl_add_u64 v[0:1], v[0:1], 2, s[0:1]
	global_store_dword v[0:1], v3, off
.LBB138_56:
	s_endpgm
	.section	.rodata,"a",@progbits
	.p2align	6, 0x0
	.amdhsa_kernel _ZL13mul_mat_f_idsI15__hip_bfloat162Li64ELi13ELi6EEvPKT_PKfPKiS7_S7_Pfiiiiiiiiiiiiii15HIP_vector_typeIjLj3EESA_
		.amdhsa_group_segment_fixed_size 0
		.amdhsa_private_segment_fixed_size 0
		.amdhsa_kernarg_size 128
		.amdhsa_user_sgpr_count 2
		.amdhsa_user_sgpr_dispatch_ptr 0
		.amdhsa_user_sgpr_queue_ptr 0
		.amdhsa_user_sgpr_kernarg_segment_ptr 1
		.amdhsa_user_sgpr_dispatch_id 0
		.amdhsa_user_sgpr_kernarg_preload_length 0
		.amdhsa_user_sgpr_kernarg_preload_offset 0
		.amdhsa_user_sgpr_private_segment_size 0
		.amdhsa_uses_dynamic_stack 0
		.amdhsa_enable_private_segment 0
		.amdhsa_system_sgpr_workgroup_id_x 1
		.amdhsa_system_sgpr_workgroup_id_y 1
		.amdhsa_system_sgpr_workgroup_id_z 1
		.amdhsa_system_sgpr_workgroup_info 0
		.amdhsa_system_vgpr_workitem_id 1
		.amdhsa_next_free_vgpr 119
		.amdhsa_next_free_sgpr 100
		.amdhsa_accum_offset 120
		.amdhsa_reserve_vcc 1
		.amdhsa_float_round_mode_32 0
		.amdhsa_float_round_mode_16_64 0
		.amdhsa_float_denorm_mode_32 3
		.amdhsa_float_denorm_mode_16_64 3
		.amdhsa_dx10_clamp 1
		.amdhsa_ieee_mode 1
		.amdhsa_fp16_overflow 0
		.amdhsa_tg_split 0
		.amdhsa_exception_fp_ieee_invalid_op 0
		.amdhsa_exception_fp_denorm_src 0
		.amdhsa_exception_fp_ieee_div_zero 0
		.amdhsa_exception_fp_ieee_overflow 0
		.amdhsa_exception_fp_ieee_underflow 0
		.amdhsa_exception_fp_ieee_inexact 0
		.amdhsa_exception_int_div_zero 0
	.end_amdhsa_kernel
	.section	.text._ZL13mul_mat_f_idsI15__hip_bfloat162Li64ELi13ELi6EEvPKT_PKfPKiS7_S7_Pfiiiiiiiiiiiiii15HIP_vector_typeIjLj3EESA_,"axG",@progbits,_ZL13mul_mat_f_idsI15__hip_bfloat162Li64ELi13ELi6EEvPKT_PKfPKiS7_S7_Pfiiiiiiiiiiiiii15HIP_vector_typeIjLj3EESA_,comdat
.Lfunc_end138:
	.size	_ZL13mul_mat_f_idsI15__hip_bfloat162Li64ELi13ELi6EEvPKT_PKfPKiS7_S7_Pfiiiiiiiiiiiiii15HIP_vector_typeIjLj3EESA_, .Lfunc_end138-_ZL13mul_mat_f_idsI15__hip_bfloat162Li64ELi13ELi6EEvPKT_PKfPKiS7_S7_Pfiiiiiiiiiiiiii15HIP_vector_typeIjLj3EESA_
                                        ; -- End function
	.set _ZL13mul_mat_f_idsI15__hip_bfloat162Li64ELi13ELi6EEvPKT_PKfPKiS7_S7_Pfiiiiiiiiiiiiii15HIP_vector_typeIjLj3EESA_.num_vgpr, 119
	.set _ZL13mul_mat_f_idsI15__hip_bfloat162Li64ELi13ELi6EEvPKT_PKfPKiS7_S7_Pfiiiiiiiiiiiiii15HIP_vector_typeIjLj3EESA_.num_agpr, 0
	.set _ZL13mul_mat_f_idsI15__hip_bfloat162Li64ELi13ELi6EEvPKT_PKfPKiS7_S7_Pfiiiiiiiiiiiiii15HIP_vector_typeIjLj3EESA_.numbered_sgpr, 100
	.set _ZL13mul_mat_f_idsI15__hip_bfloat162Li64ELi13ELi6EEvPKT_PKfPKiS7_S7_Pfiiiiiiiiiiiiii15HIP_vector_typeIjLj3EESA_.num_named_barrier, 0
	.set _ZL13mul_mat_f_idsI15__hip_bfloat162Li64ELi13ELi6EEvPKT_PKfPKiS7_S7_Pfiiiiiiiiiiiiii15HIP_vector_typeIjLj3EESA_.private_seg_size, 0
	.set _ZL13mul_mat_f_idsI15__hip_bfloat162Li64ELi13ELi6EEvPKT_PKfPKiS7_S7_Pfiiiiiiiiiiiiii15HIP_vector_typeIjLj3EESA_.uses_vcc, 1
	.set _ZL13mul_mat_f_idsI15__hip_bfloat162Li64ELi13ELi6EEvPKT_PKfPKiS7_S7_Pfiiiiiiiiiiiiii15HIP_vector_typeIjLj3EESA_.uses_flat_scratch, 0
	.set _ZL13mul_mat_f_idsI15__hip_bfloat162Li64ELi13ELi6EEvPKT_PKfPKiS7_S7_Pfiiiiiiiiiiiiii15HIP_vector_typeIjLj3EESA_.has_dyn_sized_stack, 0
	.set _ZL13mul_mat_f_idsI15__hip_bfloat162Li64ELi13ELi6EEvPKT_PKfPKiS7_S7_Pfiiiiiiiiiiiiii15HIP_vector_typeIjLj3EESA_.has_recursion, 0
	.set _ZL13mul_mat_f_idsI15__hip_bfloat162Li64ELi13ELi6EEvPKT_PKfPKiS7_S7_Pfiiiiiiiiiiiiii15HIP_vector_typeIjLj3EESA_.has_indirect_call, 0
	.section	.AMDGPU.csdata,"",@progbits
; Kernel info:
; codeLenInByte = 6904
; TotalNumSgprs: 106
; NumVgprs: 119
; NumAgprs: 0
; TotalNumVgprs: 119
; ScratchSize: 0
; MemoryBound: 0
; FloatMode: 240
; IeeeMode: 1
; LDSByteSize: 0 bytes/workgroup (compile time only)
; SGPRBlocks: 13
; VGPRBlocks: 14
; NumSGPRsForWavesPerEU: 106
; NumVGPRsForWavesPerEU: 119
; AccumOffset: 120
; Occupancy: 4
; WaveLimiterHint : 1
; COMPUTE_PGM_RSRC2:SCRATCH_EN: 0
; COMPUTE_PGM_RSRC2:USER_SGPR: 2
; COMPUTE_PGM_RSRC2:TRAP_HANDLER: 0
; COMPUTE_PGM_RSRC2:TGID_X_EN: 1
; COMPUTE_PGM_RSRC2:TGID_Y_EN: 1
; COMPUTE_PGM_RSRC2:TGID_Z_EN: 1
; COMPUTE_PGM_RSRC2:TIDIG_COMP_CNT: 1
; COMPUTE_PGM_RSRC3_GFX90A:ACCUM_OFFSET: 29
; COMPUTE_PGM_RSRC3_GFX90A:TG_SPLIT: 0
	.section	.text._ZL9mul_mat_fI15__hip_bfloat162Li64ELi13ELi6ELb1EEvPKT_PKfPKiPfiiiiiiiiiiiiiiii,"axG",@progbits,_ZL9mul_mat_fI15__hip_bfloat162Li64ELi13ELi6ELb1EEvPKT_PKfPKiPfiiiiiiiiiiiiiiii,comdat
	.globl	_ZL9mul_mat_fI15__hip_bfloat162Li64ELi13ELi6ELb1EEvPKT_PKfPKiPfiiiiiiiiiiiiiiii ; -- Begin function _ZL9mul_mat_fI15__hip_bfloat162Li64ELi13ELi6ELb1EEvPKT_PKfPKiPfiiiiiiiiiiiiiiii
	.p2align	8
	.type	_ZL9mul_mat_fI15__hip_bfloat162Li64ELi13ELi6ELb1EEvPKT_PKfPKiPfiiiiiiiiiiiiiiii,@function
_ZL9mul_mat_fI15__hip_bfloat162Li64ELi13ELi6ELb1EEvPKT_PKfPKiPfiiiiiiiiiiiiiiii: ; @_ZL9mul_mat_fI15__hip_bfloat162Li64ELi13ELi6ELb1EEvPKT_PKfPKiPfiiiiiiiiiiiiiiii
; %bb.0:
	s_load_dwordx8 s[40:47], s[0:1], 0x20
	s_mov_b32 s22, s4
	v_and_b32_e32 v16, 0x3ff, v0
	v_bfe_u32 v17, v0, 10, 10
	s_waitcnt lgkmcnt(0)
	s_add_i32 s4, s41, 12
	s_mul_hi_i32 s4, s4, 0x4ec4ec4f
	s_lshr_b32 s5, s4, 31
	s_ashr_i32 s4, s4, 2
	s_add_i32 s4, s4, s5
	v_cvt_f32_u32_e32 v1, s4
	s_load_dword s5, s[0:1], 0x64
	s_add_u32 s12, s0, 0x60
	s_addc_u32 s13, s1, 0
	v_rcp_iflag_f32_e32 v1, v1
	s_sub_i32 s6, 0, s4
	s_load_dwordx4 s[48:51], s[0:1], 0x44
	s_load_dwordx2 s[8:9], s[0:1], 0x10
	v_mul_f32_e32 v1, 0x4f7ffffe, v1
	v_cvt_u32_f32_e32 v1, v1
	v_mul_lo_u32 v2, s6, v1
	v_mul_hi_u32 v2, v1, v2
	v_add_u32_e32 v1, v1, v2
	s_waitcnt lgkmcnt(0)
	v_mul_hi_u32 v1, s5, v1
	v_mul_lo_u32 v2, v1, s4
	v_sub_u32_e32 v2, s5, v2
	v_add_u32_e32 v3, 1, v1
	v_subrev_u32_e32 v4, s4, v2
	v_cmp_le_u32_e32 vcc, s4, v2
	s_nop 1
	v_cndmask_b32_e32 v1, v1, v3, vcc
	v_cndmask_b32_e32 v2, v2, v4, vcc
	v_add_u32_e32 v3, 1, v1
	v_cmp_le_u32_e32 vcc, s4, v2
	s_abs_i32 s4, s51
	s_nop 0
	v_cndmask_b32_e32 v1, v1, v3, vcc
	v_cvt_f32_u32_e32 v2, v1
	v_cvt_f32_u32_e32 v3, s4
	v_sub_u32_e32 v4, 0, v1
	v_cmp_eq_u32_e32 vcc, 0, v16
	v_rcp_iflag_f32_e32 v2, v2
	v_rcp_iflag_f32_e32 v3, v3
	v_mul_f32_e32 v2, 0x4f7ffffe, v2
	v_cvt_u32_f32_e32 v2, v2
	v_mul_lo_u32 v4, v4, v2
	v_mul_hi_u32 v4, v2, v4
	v_add_u32_e32 v2, v2, v4
	v_mul_hi_u32 v2, s3, v2
	s_and_saveexec_b64 s[6:7], vcc
; %bb.1:
	v_mov_b32_e32 v4, 0x100
	v_lshl_add_u32 v4, v17, 2, v4
	v_mov_b32_e32 v5, -1
	ds_write_b32 v4, v5
; %bb.2:
	s_or_b64 exec, exec, s[6:7]
	v_mul_f32_e32 v8, 0x4f7ffffe, v3
	v_mul_lo_u32 v3, v2, v1
	v_sub_u32_e32 v3, s3, v3
	v_add_u32_e32 v4, 1, v2
	v_sub_u32_e32 v5, v3, v1
	v_cmp_ge_u32_e64 s[6:7], v3, v1
	s_nop 1
	v_cndmask_b32_e64 v2, v2, v4, s[6:7]
	v_cndmask_b32_e64 v3, v3, v5, s[6:7]
	v_add_u32_e32 v4, 1, v2
	v_cmp_ge_u32_e64 s[6:7], v3, v1
	s_nop 1
	v_cndmask_b32_e64 v2, v2, v4, s[6:7]
	v_mul_lo_u32 v94, v2, 13
	v_mul_lo_u32 v1, v2, v1
	v_mul_hi_i32 v3, v94, s47
	v_mul_lo_u32 v2, v94, s47
	v_sub_u32_e32 v18, s3, v1
	v_lshlrev_b64 v[2:3], 2, v[2:3]
	v_add_u32_e32 v1, v17, v94
	v_lshl_add_u64 v[2:3], s[8:9], 0, v[2:3]
	v_cmp_gt_i32_e64 s[6:7], s42, v16
	v_cmp_gt_i32_e64 s[24:25], s41, v1
	v_mov_b32_e32 v1, 0
	s_and_saveexec_b64 s[14:15], s[24:25]
	s_cbranch_execz .LBB139_10
; %bb.3:
	v_mov_b32_e32 v1, 0
	s_and_saveexec_b64 s[16:17], s[6:7]
	s_cbranch_execz .LBB139_9
; %bb.4:
	v_mul_lo_u32 v4, v17, s47
	v_ashrrev_i32_e32 v5, 31, v4
	v_mov_b32_e32 v1, 0x100
	v_lshl_add_u64 v[4:5], v[4:5], 2, v[2:3]
	v_lshl_add_u32 v9, v17, 2, v1
	v_mul_lo_u32 v6, v16, s46
	s_lshl_b32 s3, s46, 6
	v_mov_b32_e32 v1, 0
	s_mov_b64 s[18:19], 0
	v_mov_b32_e32 v10, v16
	s_branch .LBB139_6
.LBB139_5:                              ;   in Loop: Header=BB139_6 Depth=1
	s_or_b64 exec, exec, s[20:21]
	v_add_u32_e32 v10, 64, v10
	v_cmp_le_i32_e64 s[10:11], s42, v10
	s_xor_b64 s[8:9], s[8:9], -1
	s_or_b64 s[8:9], s[8:9], s[10:11]
	s_and_b64 s[8:9], exec, s[8:9]
	s_or_b64 s[18:19], s[8:9], s[18:19]
	v_add_u32_e32 v6, s3, v6
	s_andn2_b64 exec, exec, s[18:19]
	s_cbranch_execz .LBB139_8
.LBB139_6:                              ; =>This Inner Loop Header: Depth=1
	v_ashrrev_i32_e32 v7, 31, v6
	v_lshl_add_u64 v[12:13], v[6:7], 2, v[4:5]
	global_load_dword v7, v[12:13], off
	s_waitcnt vmcnt(0)
	v_cmp_ne_u32_e64 s[8:9], v7, v18
	v_cmp_eq_u32_e64 s[10:11], v7, v18
	s_and_saveexec_b64 s[20:21], s[10:11]
	s_cbranch_execz .LBB139_5
; %bb.7:                                ;   in Loop: Header=BB139_6 Depth=1
	v_mov_b32_e32 v1, 1
	ds_write_b32 v9, v10
	s_branch .LBB139_5
.LBB139_8:
	s_or_b64 exec, exec, s[18:19]
.LBB139_9:
	s_or_b64 exec, exec, s[16:17]
.LBB139_10:
	s_or_b64 exec, exec, s[14:15]
	v_cvt_u32_f32_e32 v8, v8
	s_sub_i32 s3, 0, s4
	s_and_saveexec_b64 s[8:9], vcc
; %bb.11:
	v_mov_b32_e32 v4, 0x100
	v_lshl_add_u32 v4, v17, 2, v4
	v_mov_b32_e32 v5, -1
	ds_write_b32 v4, v5 offset:24
; %bb.12:
	s_or_b64 exec, exec, s[8:9]
	v_add_u32_e32 v95, 6, v17
	v_mul_lo_u32 v9, s3, v8
	v_add_u32_e32 v4, v95, v94
	v_cmp_gt_i32_e64 s[8:9], s41, v4
	s_mov_b64 s[14:15], exec
                                        ; implicit-def: $vgpr109 : SGPR spill to VGPR lane
	s_nop 0
	v_writelane_b32 v109, s8, 0
	s_nop 1
	v_writelane_b32 v109, s9, 1
	s_and_b64 s[8:9], s[14:15], s[8:9]
	s_mov_b64 exec, s[8:9]
	s_cbranch_execz .LBB139_20
; %bb.13:
	s_and_saveexec_b64 s[16:17], s[6:7]
	s_cbranch_execz .LBB139_19
; %bb.14:
	v_mul_lo_u32 v4, v95, s47
	v_ashrrev_i32_e32 v5, 31, v4
	v_mov_b32_e32 v6, 0x100
	v_lshl_add_u64 v[4:5], v[4:5], 2, v[2:3]
	v_lshl_add_u32 v10, v17, 2, v6
	v_mul_lo_u32 v6, v16, s46
	s_lshl_b32 s3, s46, 6
	s_mov_b64 s[18:19], 0
	v_mov_b32_e32 v11, v16
	s_branch .LBB139_16
.LBB139_15:                             ;   in Loop: Header=BB139_16 Depth=1
	s_or_b64 exec, exec, s[20:21]
	v_add_u32_e32 v11, 64, v11
	v_cmp_le_i32_e64 s[10:11], s42, v11
	s_xor_b64 s[8:9], s[8:9], -1
	s_or_b64 s[8:9], s[8:9], s[10:11]
	s_and_b64 s[8:9], exec, s[8:9]
	s_or_b64 s[18:19], s[8:9], s[18:19]
	v_add_u32_e32 v6, s3, v6
	s_andn2_b64 exec, exec, s[18:19]
	s_cbranch_execz .LBB139_18
.LBB139_16:                             ; =>This Inner Loop Header: Depth=1
	v_ashrrev_i32_e32 v7, 31, v6
	v_lshl_add_u64 v[12:13], v[6:7], 2, v[4:5]
	global_load_dword v7, v[12:13], off
	s_waitcnt vmcnt(0)
	v_cmp_ne_u32_e64 s[8:9], v7, v18
	v_cmp_eq_u32_e64 s[10:11], v7, v18
	s_and_saveexec_b64 s[20:21], s[10:11]
	s_cbranch_execz .LBB139_15
; %bb.17:                               ;   in Loop: Header=BB139_16 Depth=1
	v_mov_b32_e32 v1, 1
	ds_write_b32 v10, v11 offset:24
	s_branch .LBB139_15
.LBB139_18:
	s_or_b64 exec, exec, s[18:19]
.LBB139_19:
	s_or_b64 exec, exec, s[16:17]
.LBB139_20:
	s_or_b64 exec, exec, s[14:15]
	v_mul_hi_u32 v4, v8, v9
	s_and_saveexec_b64 s[8:9], vcc
; %bb.21:
	v_mov_b32_e32 v5, 0x100
	v_lshl_add_u32 v5, v17, 2, v5
	v_mov_b32_e32 v6, -1
	ds_write_b32 v5, v6 offset:48
; %bb.22:
	s_or_b64 exec, exec, s[8:9]
	s_load_dwordx4 s[28:31], s[0:1], 0x54
	v_add_u32_e32 v6, v8, v4
	v_add_u32_e32 v4, 12, v17
	s_abs_i32 s3, s22
	v_add_u32_e32 v5, v4, v94
	v_cmp_gt_i32_e64 s[10:11], s41, v5
	s_mov_b64 s[8:9], exec
	s_nop 0
	v_writelane_b32 v109, s10, 2
	s_nop 1
	v_writelane_b32 v109, s11, 3
	s_and_b64 s[10:11], s[8:9], s[10:11]
	s_mov_b64 exec, s[10:11]
	s_cbranch_execz .LBB139_30
; %bb.23:
	s_and_saveexec_b64 s[10:11], s[6:7]
	s_cbranch_execz .LBB139_29
; %bb.24:
	v_mul_lo_u32 v4, v4, s47
	v_ashrrev_i32_e32 v5, 31, v4
	v_lshl_add_u64 v[2:3], v[4:5], 2, v[2:3]
	v_mov_b32_e32 v4, 0x100
	v_lshl_add_u32 v7, v17, 2, v4
	v_mul_lo_u32 v4, v16, s46
	s_lshl_b32 s5, s46, 6
	s_mov_b64 s[14:15], 0
	v_mov_b32_e32 v8, v16
	s_branch .LBB139_26
.LBB139_25:                             ;   in Loop: Header=BB139_26 Depth=1
	s_or_b64 exec, exec, s[16:17]
	v_add_u32_e32 v8, 64, v8
	v_cmp_le_i32_e64 s[6:7], s42, v8
	s_xor_b64 s[16:17], vcc, -1
	s_or_b64 s[6:7], s[16:17], s[6:7]
	s_and_b64 s[6:7], exec, s[6:7]
	s_or_b64 s[14:15], s[6:7], s[14:15]
	v_add_u32_e32 v4, s5, v4
	s_andn2_b64 exec, exec, s[14:15]
	s_cbranch_execz .LBB139_28
.LBB139_26:                             ; =>This Inner Loop Header: Depth=1
	v_ashrrev_i32_e32 v5, 31, v4
	v_lshl_add_u64 v[10:11], v[4:5], 2, v[2:3]
	global_load_dword v5, v[10:11], off
	s_waitcnt vmcnt(0)
	v_cmp_ne_u32_e32 vcc, v5, v18
	v_cmp_eq_u32_e64 s[6:7], v5, v18
	s_and_saveexec_b64 s[16:17], s[6:7]
	s_cbranch_execz .LBB139_25
; %bb.27:                               ;   in Loop: Header=BB139_26 Depth=1
	v_mov_b32_e32 v1, 1
	ds_write_b32 v7, v8 offset:48
	s_branch .LBB139_25
.LBB139_28:
	s_or_b64 exec, exec, s[14:15]
.LBB139_29:
	s_or_b64 exec, exec, s[10:11]
.LBB139_30:
	s_or_b64 exec, exec, s[8:9]
	s_load_dwordx2 s[6:7], s[12:13], 0xc
	s_load_dwordx2 s[8:9], s[0:1], 0x8
	;; [unrolled: 1-line block ×3, first 2 shown]
	v_or_b32_dpp v1, v1, v1 row_shl:1 row_mask:0xf bank_mask:0xf bound_ctrl:1
	v_mul_hi_u32 v19, s3, v6
	s_waitcnt lgkmcnt(0)
	s_and_b32 s5, s7, 0xffff
	s_lshr_b32 s7, s6, 16
	v_writelane_b32 v109, s10, 4
	s_and_b32 s6, s6, 0xffff
	v_or_b32_dpp v1, v1, v1 row_shl:2 row_mask:0xf bank_mask:0xf bound_ctrl:1
	v_writelane_b32 v109, s11, 5
	s_mul_i32 s10, s7, s6
	v_or_b32_dpp v1, v1, v1 row_shl:4 row_mask:0xf bank_mask:0xf bound_ctrl:1
	s_bfe_i32 s10, s10, 0x180000
	s_mul_i32 s5, s10, s5
	v_or_b32_dpp v1, v1, v1 row_shl:8 row_mask:0xf bank_mask:0xf bound_ctrl:1
	s_add_i32 s10, s5, 63
	s_bitcmp1_b32 exec_hi, 0
	v_mov_b32_dpp v2, v1 wave_shl:1 row_mask:0xf bank_mask:0xf bound_ctrl:1
                                        ; kill: killed $sgpr12 killed $sgpr13
	s_nop 1
	v_or_b32_dpp v1, v2, v1 row_mirror row_mask:0xf bank_mask:0xf bound_ctrl:1
	s_nop 0
	v_readlane_b32 s5, v1, 32
	s_cselect_b32 s5, s5, 0
	v_readlane_b32 s11, v1, 0
	s_or_b32 s5, s5, s11
	s_andn2_b32 s10, s10, 63
	s_cmp_lg_u32 s10, 64
	v_mov_b32_e32 v1, s5
	s_cbranch_scc0 .LBB139_37
; %bb.31:
	v_bfe_u32 v0, v0, 20, 10
	v_mbcnt_lo_u32_b32 v1, -1, 0
	v_mad_u32_u24 v0, v0, s7, v17
	v_mbcnt_hi_u32_b32 v2, -1, v1
	v_mad_u64_u32 v[0:1], s[6:7], v0, s6, v[16:17]
	v_lshrrev_b32_e32 v1, 6, v0
	v_or_b32_e32 v1, v2, v1
	v_cmp_eq_u32_e32 vcc, 0, v1
	s_and_saveexec_b64 s[6:7], vcc
; %bb.32:
	v_mov_b32_e32 v1, 0
	v_mov_b32_e32 v3, s5
	ds_write_b32 v1, v3
; %bb.33:
	s_or_b64 exec, exec, s[6:7]
	v_cmp_eq_u32_e32 vcc, 0, v2
	v_cmp_lt_u32_e64 s[6:7], 63, v0
	s_and_b64 s[10:11], s[6:7], vcc
	s_waitcnt lgkmcnt(0)
	s_barrier
	s_and_saveexec_b64 s[6:7], s[10:11]
	s_cbranch_execz .LBB139_36
; %bb.34:
	v_mbcnt_lo_u32_b32 v0, exec_lo, 0
	v_mbcnt_hi_u32_b32 v0, exec_hi, v0
	v_cmp_eq_u32_e32 vcc, 0, v0
	s_and_b64 exec, exec, vcc
; %bb.35:
	v_mov_b32_e32 v0, 0
	v_mov_b32_e32 v1, s5
	ds_or_b32 v0, v1
.LBB139_36:
	s_or_b64 exec, exec, s[6:7]
	v_mov_b32_e32 v0, 0
	s_waitcnt lgkmcnt(0)
	s_barrier
	ds_read_b32 v1, v0
	s_waitcnt lgkmcnt(0)
	s_barrier
.LBB139_37:
	s_load_dwordx2 s[6:7], s[0:1], 0x0
	v_cmp_ne_u32_e32 vcc, 0, v1
	s_ashr_i32 s5, s22, 31
	s_ashr_i32 s10, s51, 31
	s_cbranch_vccz .LBB139_107
; %bb.38:
	v_lshlrev_b32_e32 v96, 6, v17
	v_add_u32_e32 v98, v96, v16
	v_cmp_le_i32_e32 vcc, s40, v98
	v_and_b32_e32 v97, 15, v16
	s_and_saveexec_b64 s[0:1], vcc
	s_xor_b64 s[0:1], exec, s[0:1]
; %bb.39:
	v_and_b32_e32 v97, 15, v16
                                        ; implicit-def: $vgpr98
                                        ; implicit-def: $vgpr19
                                        ; implicit-def: $vgpr18
; %bb.40:
	s_or_saveexec_b64 s[0:1], s[0:1]
	v_mov_b32_e32 v7, 0
	s_lshl_b32 s11, s2, 6
	v_mov_b32_e32 v6, v7
	v_mov_b32_e32 v5, v7
	;; [unrolled: 1-line block ×15, first 2 shown]
	v_writelane_b32 v109, s0, 6
	s_nop 1
	v_writelane_b32 v109, s1, 7
	s_xor_b64 exec, exec, s[0:1]
	s_cbranch_execz .LBB139_96
; %bb.41:
	v_mul_lo_u32 v0, v19, s4
	v_sub_u32_e32 v0, s3, v0
	v_add_u32_e32 v1, 1, v19
	v_subrev_u32_e32 v2, s4, v0
	v_cmp_le_u32_e32 vcc, s4, v0
	s_xor_b32 s0, s5, s10
	v_writelane_b32 v109, s24, 8
	v_cndmask_b32_e32 v1, v19, v1, vcc
	v_cndmask_b32_e32 v0, v0, v2, vcc
	v_add_u32_e32 v2, 1, v1
	v_cmp_le_u32_e32 vcc, s4, v0
	v_writelane_b32 v109, s25, 9
	v_writelane_b32 v109, s11, 10
	v_cndmask_b32_e32 v0, v1, v2, vcc
	v_xor_b32_e32 v0, s0, v0
	v_subrev_u32_e32 v0, s0, v0
	s_mul_i32 s0, s43, s11
	v_mul_hi_i32 v1, v0, s28
	v_mul_lo_u32 v0, v0, s28
	v_mul_lo_u32 v2, v18, s48
	s_ashr_i32 s1, s0, 31
	v_ashrrev_i32_e32 v3, 31, v2
	v_lshlrev_b64 v[0:1], 2, v[0:1]
	s_lshl_b64 s[2:3], s[0:1], 2
	s_movk_i32 s0, 0x1080
	v_mov_b32_e32 v99, 0x100
	v_writelane_b32 v109, s22, 11
	s_waitcnt lgkmcnt(0)
	v_lshl_add_u64 v[4:5], s[6:7], 0, v[0:1]
	v_lshlrev_b64 v[2:3], 2, v[2:3]
	v_mad_u32_u24 v6, v17, s0, v99
	s_mul_hi_i32 s1, s29, s22
	v_writelane_b32 v109, s28, 12
	s_mul_i32 s0, s29, s22
	v_lshl_add_u64 v[4:5], v[4:5], 0, v[2:3]
	s_lshl_b64 s[0:1], s[0:1], 2
	v_lshl_add_u64 v[18:19], v[4:5], 0, s[2:3]
	v_writelane_b32 v109, s29, 13
	v_mul_hi_i32 v5, s44, v94
	v_mul_lo_u32 v4, s44, v94
	s_add_u32 s0, s8, s0
	v_writelane_b32 v109, s30, 14
	v_lshlrev_b64 v[4:5], 3, v[4:5]
	s_addc_u32 s1, s9, s1
	v_writelane_b32 v109, s31, 15
	v_lshl_add_u64 v[20:21], s[0:1], 0, v[4:5]
	s_lshl_b32 s0, s44, 3
	v_writelane_b32 v109, s0, 16
	s_mul_i32 s0, s44, 6
	v_writelane_b32 v109, s0, 17
	s_lshl_b32 s0, s44, 4
	v_writelane_b32 v109, s0, 18
	s_mul_i32 s0, s44, 10
	v_writelane_b32 v109, s0, 19
	s_mul_i32 s0, s44, 12
	s_ashr_i32 s9, s43, 31
	s_mov_b32 s8, s43
	v_writelane_b32 v109, s0, 20
	v_lshl_add_u64 v[0:1], v[0:1], 0, s[2:3]
	s_lshl_b64 s[2:3], s[8:9], 2
	s_mul_i32 s8, s44, 24
	v_writelane_b32 v109, s8, 21
	s_mul_i32 s8, s44, 22
	v_lshrrev_b32_e32 v5, 1, v16
	v_lshl_add_u64 v[0:1], v[0:1], 0, v[2:3]
	v_writelane_b32 v109, s8, 22
	s_mul_i32 s8, s44, 20
	v_mul_u32_u24_e32 v4, 0x108, v97
	v_and_b32_e32 v5, 0x1f8, v5
	v_add_u32_e32 v26, 1, v94
	v_add_u32_e32 v27, 2, v94
	s_lshl_b32 s42, s44, 2
	v_add_u32_e32 v28, 3, v94
	v_add_u32_e32 v29, 4, v94
	v_add_u32_e32 v30, 5, v94
	v_add_u32_e32 v31, 6, v94
	v_add_u32_e32 v32, 7, v94
	v_add_u32_e32 v33, 8, v94
	v_add_u32_e32 v34, 9, v94
	v_add_u32_e32 v35, 10, v94
	v_add_u32_e32 v36, 11, v94
	v_add_u32_e32 v37, 12, v94
	v_lshl_add_u64 v[0:1], s[6:7], 0, v[0:1]
	v_lshlrev_b32_e32 v2, 1, v16
	v_lshlrev_b32_e32 v22, 2, v98
	v_mov_b32_e32 v23, 0
	v_writelane_b32 v109, s8, 23
	s_mul_i32 s8, s44, 18
	v_lshl_add_u32 v100, v16, 2, v6
	v_add3_u32 v101, v6, v4, v5
	s_add_i32 s56, s43, s43
	s_mul_i32 s57, s43, 3
	s_lshl_b32 s58, s43, 2
	s_mul_i32 s59, s43, 5
	s_mul_i32 s60, s43, 6
	;; [unrolled: 1-line block ×3, first 2 shown]
	s_lshl_b32 s62, s43, 3
	s_mul_i32 s63, s43, 9
	s_mul_i32 s64, s43, 10
	;; [unrolled: 1-line block ×7, first 2 shown]
	s_lshl_b32 s70, s43, 4
	s_mul_i32 s71, s43, 17
	s_mul_i32 s72, s43, 18
	;; [unrolled: 1-line block ×15, first 2 shown]
	s_lshl_b32 s86, s43, 5
	s_mul_i32 s87, s43, 33
	s_mul_i32 s88, s43, 34
	;; [unrolled: 1-line block ×17, first 2 shown]
	v_cmp_gt_i32_e64 s[6:7], s41, v94
	s_mul_i32 s37, s43, 50
	s_mul_i32 s46, s43, 51
	v_lshl_add_u32 v102, v17, 7, v2
	v_lshl_add_u64 v[24:25], v[0:1], 0, v[22:23]
	v_mov_b32_e32 v12, 0
	v_mov_b32_e32 v13, v23
	;; [unrolled: 1-line block ×16, first 2 shown]
	s_mul_i32 s47, s43, 52
	s_mul_i32 s34, s43, 53
	;; [unrolled: 1-line block ×12, first 2 shown]
	v_writelane_b32 v109, s8, 24
	s_mul_i32 s55, s44, 14
	s_lshl_b32 s44, s44, 1
	v_cmp_gt_i32_e64 s[8:9], s41, v26
	v_cmp_gt_i32_e64 s[10:11], s41, v27
	;; [unrolled: 1-line block ×12, first 2 shown]
	s_mov_b32 s41, s42
	s_mov_b64 s[42:43], 0
	s_branch .LBB139_44
.LBB139_42:                             ;   in Loop: Header=BB139_44 Depth=1
	v_mul_lo_u32 v22, v22, s49
	v_readlane_b32 vcc_lo, v109, 21
	s_nop 1
	v_add_u32_e32 v22, vcc_lo, v22
	v_add_u32_e32 v90, v22, v102
	v_ashrrev_i32_e32 v91, 31, v90
	v_lshl_add_u64 v[90:91], v[90:91], 2, v[20:21]
	global_load_dwordx2 v[90:91], v[90:91], off
.LBB139_43:                             ;   in Loop: Header=BB139_44 Depth=1
	s_waitcnt vmcnt(0)
	v_cvt_pk_bf16_f32 v22, v90, v91
	v_add_u32_e32 v90, 0xc00, v100
	ds_write2_b32 v90, v22, v23 offset0:40 offset1:106
	ds_write2_b32 v90, v23, v23 offset0:172 offset1:238
	ds_read2_b64 v[90:93], v101 offset0:8 offset1:12
	v_add_u32_e32 v98, 0x180, v98
	s_mov_b64 vcc, 0x600
	v_lshl_add_u64 v[24:25], v[24:25], 0, vcc
	s_waitcnt lgkmcnt(0)
	v_mfma_f32_16x16x16_bf16 v[0:3], v[58:59], v[90:91], v[0:3]
	v_cmp_le_i32_e32 vcc, s40, v98
	v_add_u32_e32 v102, 0x300, v102
	s_or_b64 s[42:43], vcc, s[42:43]
	v_mfma_f32_16x16x16_bf16 v[4:7], v[42:43], v[90:91], v[4:7]
	v_mfma_f32_16x16x16_bf16 v[8:11], v[74:75], v[90:91], v[8:11]
	v_mfma_f32_16x16x16_bf16 v[12:15], v[88:89], v[90:91], v[12:15]
	v_mfma_f32_16x16x16_bf16 v[0:3], v[56:57], v[92:93], v[0:3]
	ds_read2_b64 v[56:59], v101 offset0:16 offset1:20
	v_mfma_f32_16x16x16_bf16 v[4:7], v[38:39], v[92:93], v[4:7]
	v_mfma_f32_16x16x16_bf16 v[8:11], v[72:73], v[92:93], v[8:11]
	v_mfma_f32_16x16x16_bf16 v[12:15], v[86:87], v[92:93], v[12:15]
	s_waitcnt lgkmcnt(0)
	v_mfma_f32_16x16x16_bf16 v[4:7], v[36:37], v[56:57], v[4:7]
	v_mfma_f32_16x16x16_bf16 v[0:3], v[54:55], v[56:57], v[0:3]
	v_mfma_f32_16x16x16_bf16 v[8:11], v[70:71], v[56:57], v[8:11]
	v_mfma_f32_16x16x16_bf16 v[12:15], v[82:83], v[56:57], v[12:15]
	v_mfma_f32_16x16x16_bf16 v[4:7], v[34:35], v[58:59], v[4:7]
	ds_read2_b64 v[34:37], v101 offset0:24 offset1:28
	v_mfma_f32_16x16x16_bf16 v[0:3], v[52:53], v[58:59], v[0:3]
	v_mfma_f32_16x16x16_bf16 v[8:11], v[68:69], v[58:59], v[8:11]
	v_mfma_f32_16x16x16_bf16 v[12:15], v[78:79], v[58:59], v[12:15]
	s_waitcnt lgkmcnt(0)
	v_mfma_f32_16x16x16_bf16 v[4:7], v[32:33], v[34:35], v[4:7]
	;; [unrolled: 10-line block ×3, first 2 shown]
	v_mfma_f32_16x16x16_bf16 v[0:3], v[46:47], v[30:31], v[0:3]
	v_mfma_f32_16x16x16_bf16 v[8:11], v[60:61], v[30:31], v[8:11]
	;; [unrolled: 1-line block ×7, first 2 shown]
	s_andn2_b64 exec, exec, s[42:43]
	s_cbranch_execz .LBB139_95
.LBB139_44:                             ; =>This Inner Loop Header: Depth=1
	v_lshl_add_u64 v[26:27], v[24:25], 0, s[2:3]
	global_load_dword v22, v[24:25], off
	global_load_dword v52, v[26:27], off
	v_add_u32_e32 v26, s56, v98
	v_ashrrev_i32_e32 v27, 31, v26
	v_add_u32_e32 v28, s57, v98
	v_add_u32_e32 v30, s58, v98
	;; [unrolled: 1-line block ×5, first 2 shown]
	v_lshl_add_u64 v[26:27], v[26:27], 2, v[18:19]
	v_ashrrev_i32_e32 v29, 31, v28
	v_ashrrev_i32_e32 v31, 31, v30
	;; [unrolled: 1-line block ×5, first 2 shown]
	v_lshl_add_u64 v[28:29], v[28:29], 2, v[18:19]
	v_lshl_add_u64 v[30:31], v[30:31], 2, v[18:19]
	;; [unrolled: 1-line block ×5, first 2 shown]
	global_load_dword v53, v[26:27], off
	global_load_dword v54, v[28:29], off
	;; [unrolled: 1-line block ×6, first 2 shown]
	v_add_u32_e32 v26, s62, v98
	v_add_u32_e32 v44, s71, v98
	;; [unrolled: 1-line block ×10, first 2 shown]
	v_ashrrev_i32_e32 v27, 31, v26
	v_ashrrev_i32_e32 v45, 31, v44
	;; [unrolled: 1-line block ×10, first 2 shown]
	v_lshl_add_u64 v[26:27], v[26:27], 2, v[18:19]
	v_lshl_add_u64 v[44:45], v[44:45], 2, v[18:19]
	v_add_u32_e32 v46, s72, v98
	v_add_u32_e32 v48, s73, v98
	;; [unrolled: 1-line block ×3, first 2 shown]
	v_lshl_add_u64 v[28:29], v[28:29], 2, v[18:19]
	v_lshl_add_u64 v[30:31], v[30:31], 2, v[18:19]
	;; [unrolled: 1-line block ×8, first 2 shown]
	global_load_dword v59, v[26:27], off
	global_load_dword v60, v[28:29], off
	;; [unrolled: 1-line block ×9, first 2 shown]
	s_nop 0
	global_load_dword v44, v[44:45], off
	v_add_u32_e32 v26, s75, v98
	v_ashrrev_i32_e32 v47, 31, v46
	v_ashrrev_i32_e32 v49, 31, v48
	;; [unrolled: 1-line block ×4, first 2 shown]
	v_add_u32_e32 v28, s76, v98
	v_add_u32_e32 v30, s77, v98
	;; [unrolled: 1-line block ×4, first 2 shown]
	v_lshl_add_u64 v[46:47], v[46:47], 2, v[18:19]
	v_lshl_add_u64 v[48:49], v[48:49], 2, v[18:19]
	;; [unrolled: 1-line block ×4, first 2 shown]
	v_ashrrev_i32_e32 v29, 31, v28
	v_ashrrev_i32_e32 v31, 31, v30
	;; [unrolled: 1-line block ×4, first 2 shown]
	v_lshl_add_u64 v[28:29], v[28:29], 2, v[18:19]
	v_lshl_add_u64 v[30:31], v[30:31], 2, v[18:19]
	;; [unrolled: 1-line block ×4, first 2 shown]
	v_add_u32_e32 v36, s85, v98
	v_add_u32_e32 v38, s86, v98
	;; [unrolled: 1-line block ×3, first 2 shown]
	v_ashrrev_i32_e32 v37, 31, v36
	v_ashrrev_i32_e32 v39, 31, v38
	;; [unrolled: 1-line block ×3, first 2 shown]
	v_lshl_add_u64 v[36:37], v[36:37], 2, v[18:19]
	s_waitcnt vmcnt(17)
	ds_write_b32 v100, v22 offset:64
	s_waitcnt vmcnt(16)
	ds_write_b32 v100, v52 offset:328
	;; [unrolled: 2-line block ×8, first 2 shown]
	global_load_dword v22, v[46:47], off
	global_load_dword v45, v[48:49], off
	s_nop 0
	global_load_dword v46, v[50:51], off
	global_load_dword v47, v[26:27], off
	;; [unrolled: 1-line block ×4, first 2 shown]
	s_nop 0
	global_load_dword v50, v[32:33], off
	global_load_dword v51, v[34:35], off
	v_add_u32_e32 v26, s80, v98
	v_ashrrev_i32_e32 v27, 31, v26
	v_add_u32_e32 v28, s81, v98
	v_add_u32_e32 v30, s82, v98
	;; [unrolled: 1-line block ×4, first 2 shown]
	v_lshl_add_u64 v[26:27], v[26:27], 2, v[18:19]
	v_ashrrev_i32_e32 v29, 31, v28
	v_ashrrev_i32_e32 v31, 31, v30
	;; [unrolled: 1-line block ×4, first 2 shown]
	v_lshl_add_u64 v[28:29], v[28:29], 2, v[18:19]
	v_lshl_add_u64 v[30:31], v[30:31], 2, v[18:19]
	v_lshl_add_u64 v[32:33], v[32:33], 2, v[18:19]
	v_lshl_add_u64 v[34:35], v[34:35], 2, v[18:19]
	v_lshl_add_u64 v[38:39], v[38:39], 2, v[18:19]
	v_lshl_add_u64 v[40:41], v[40:41], 2, v[18:19]
	global_load_dword v52, v[26:27], off
	global_load_dword v53, v[28:29], off
	global_load_dword v54, v[30:31], off
	global_load_dword v55, v[32:33], off
	global_load_dword v56, v[34:35], off
	global_load_dword v57, v[36:37], off
	global_load_dword v68, v[38:39], off
	global_load_dword v69, v[40:41], off
	v_add_u32_e32 v26, s88, v98
	v_ashrrev_i32_e32 v27, 31, v26
	v_add_u32_e32 v28, s89, v98
	v_add_u32_e32 v30, s90, v98
	v_add_u32_e32 v32, s91, v98
	v_add_u32_e32 v34, s92, v98
	v_add_u32_e32 v36, s93, v98
	v_add_u32_e32 v38, s94, v98
	v_add_u32_e32 v40, s95, v98
	v_lshl_add_u64 v[26:27], v[26:27], 2, v[18:19]
	v_ashrrev_i32_e32 v29, 31, v28
	v_ashrrev_i32_e32 v31, 31, v30
	v_ashrrev_i32_e32 v33, 31, v32
	v_ashrrev_i32_e32 v35, 31, v34
	v_ashrrev_i32_e32 v37, 31, v36
	v_ashrrev_i32_e32 v39, 31, v38
	v_ashrrev_i32_e32 v41, 31, v40
	v_lshl_add_u64 v[28:29], v[28:29], 2, v[18:19]
	v_lshl_add_u64 v[30:31], v[30:31], 2, v[18:19]
	v_lshl_add_u64 v[32:33], v[32:33], 2, v[18:19]
	v_lshl_add_u64 v[34:35], v[34:35], 2, v[18:19]
	v_lshl_add_u64 v[36:37], v[36:37], 2, v[18:19]
	v_lshl_add_u64 v[38:39], v[38:39], 2, v[18:19]
	v_lshl_add_u64 v[40:41], v[40:41], 2, v[18:19]
	global_load_dword v70, v[26:27], off
	global_load_dword v71, v[28:29], off
	global_load_dword v72, v[30:31], off
	global_load_dword v73, v[32:33], off
	global_load_dword v74, v[34:35], off
	global_load_dword v75, v[36:37], off
	global_load_dword v76, v[38:39], off
	global_load_dword v77, v[40:41], off
	v_add_u32_e32 v26, s96, v98
	v_ashrrev_i32_e32 v27, 31, v26
	v_add_u32_e32 v28, s97, v98
	v_add_u32_e32 v30, s98, v98
	v_add_u32_e32 v32, s99, v98
	v_add_u32_e32 v34, s5, v98
	v_add_u32_e32 v36, s0, v98
	v_add_u32_e32 v38, s1, v98
	v_add_u32_e32 v40, s36, v98
	v_lshl_add_u64 v[26:27], v[26:27], 2, v[18:19]
	v_ashrrev_i32_e32 v29, 31, v28
	v_ashrrev_i32_e32 v31, 31, v30
	v_ashrrev_i32_e32 v33, 31, v32
	v_ashrrev_i32_e32 v35, 31, v34
	v_ashrrev_i32_e32 v37, 31, v36
	v_ashrrev_i32_e32 v39, 31, v38
	v_ashrrev_i32_e32 v41, 31, v40
	v_lshl_add_u64 v[28:29], v[28:29], 2, v[18:19]
	;; [unrolled: 32-line block ×3, first 2 shown]
	v_lshl_add_u64 v[30:31], v[30:31], 2, v[18:19]
	v_lshl_add_u64 v[32:33], v[32:33], 2, v[18:19]
	;; [unrolled: 1-line block ×6, first 2 shown]
	global_load_dword v86, v[26:27], off
	global_load_dword v87, v[28:29], off
	global_load_dword v88, v[30:31], off
	global_load_dword v89, v[32:33], off
	global_load_dword v90, v[34:35], off
	global_load_dword v91, v[36:37], off
	global_load_dword v92, v[38:39], off
	global_load_dword v93, v[40:41], off
	v_add_u32_e32 v26, s33, v98
	v_ashrrev_i32_e32 v27, 31, v26
	v_add_u32_e32 v28, s4, v98
	v_add_u32_e32 v30, s48, v98
	v_add_u32_e32 v32, s51, v98
	v_add_u32_e32 v34, s52, v98
	v_add_u32_e32 v36, s53, v98
	v_lshl_add_u64 v[26:27], v[26:27], 2, v[18:19]
	v_ashrrev_i32_e32 v29, 31, v28
	v_ashrrev_i32_e32 v31, 31, v30
	;; [unrolled: 1-line block ×5, first 2 shown]
	v_lshl_add_u64 v[28:29], v[28:29], 2, v[18:19]
	v_lshl_add_u64 v[30:31], v[30:31], 2, v[18:19]
	;; [unrolled: 1-line block ×5, first 2 shown]
	global_load_dword v103, v[26:27], off
	global_load_dword v104, v[28:29], off
	;; [unrolled: 1-line block ×6, first 2 shown]
	s_waitcnt vmcnt(55)
	ds_write_b32 v100, v59 offset:2176
	s_waitcnt vmcnt(54)
	ds_write_b32 v100, v60 offset:2440
	s_waitcnt vmcnt(53)
	ds_write_b32 v100, v61 offset:2704
	s_waitcnt vmcnt(52)
	ds_write_b32 v100, v62 offset:2968
	s_waitcnt vmcnt(51)
	ds_write_b32 v100, v63 offset:3232
	s_waitcnt vmcnt(50)
	ds_write_b32 v100, v64 offset:3496
	s_waitcnt vmcnt(49)
	ds_write_b32 v100, v65 offset:3760
	s_waitcnt vmcnt(48)
	ds_write_b32 v100, v66 offset:4024
	ds_read_b64 v[42:43], v101 offset:64
	ds_read_b64 v[38:39], v101 offset:96
	ds_read_b64 v[36:37], v101 offset:128
	ds_read_b64 v[34:35], v101 offset:160
	ds_read_b64 v[32:33], v101 offset:192
	ds_read_b64 v[30:31], v101 offset:224
	ds_read_b64 v[28:29], v101 offset:256
	ds_read_b64 v[26:27], v101 offset:288
	s_waitcnt vmcnt(47)
	ds_write_b32 v100, v67 offset:64
	s_waitcnt vmcnt(46)
	ds_write_b32 v100, v44 offset:328
	s_waitcnt vmcnt(45)
	ds_write_b32 v100, v22 offset:592
	s_waitcnt vmcnt(44)
	ds_write_b32 v100, v45 offset:856
	s_waitcnt vmcnt(43)
	ds_write_b32 v100, v46 offset:1120
	s_waitcnt vmcnt(42)
	ds_write_b32 v100, v47 offset:1384
	s_waitcnt vmcnt(41)
	ds_write_b32 v100, v48 offset:1648
	s_waitcnt vmcnt(40)
	ds_write_b32 v100, v49 offset:1912
	s_waitcnt vmcnt(39)
	ds_write_b32 v100, v50 offset:2176
	s_waitcnt vmcnt(38)
	ds_write_b32 v100, v51 offset:2440
	s_waitcnt vmcnt(37)
	ds_write_b32 v100, v52 offset:2704
	s_waitcnt vmcnt(36)
	ds_write_b32 v100, v53 offset:2968
	s_waitcnt vmcnt(35)
	ds_write_b32 v100, v54 offset:3232
	s_waitcnt vmcnt(34)
	ds_write_b32 v100, v55 offset:3496
	s_waitcnt vmcnt(33)
	ds_write_b32 v100, v56 offset:3760
	s_waitcnt vmcnt(32)
	ds_write_b32 v100, v57 offset:4024
	ds_read_b64 v[58:59], v101 offset:64
	ds_read_b64 v[56:57], v101 offset:96
	ds_read_b64 v[54:55], v101 offset:128
	ds_read_b64 v[52:53], v101 offset:160
	ds_read_b64 v[50:51], v101 offset:192
	ds_read_b64 v[48:49], v101 offset:224
	ds_read_b64 v[46:47], v101 offset:256
	ds_read_b64 v[40:41], v101 offset:288
	s_waitcnt vmcnt(31)
	ds_write_b32 v100, v68 offset:64
	s_waitcnt vmcnt(30)
	ds_write_b32 v100, v69 offset:328
	s_waitcnt vmcnt(29)
	ds_write_b32 v100, v70 offset:592
	s_waitcnt vmcnt(28)
	ds_write_b32 v100, v71 offset:856
	s_waitcnt vmcnt(27)
	ds_write_b32 v100, v72 offset:1120
	s_waitcnt vmcnt(26)
	ds_write_b32 v100, v73 offset:1384
	s_waitcnt vmcnt(25)
	ds_write_b32 v100, v74 offset:1648
	s_waitcnt vmcnt(24)
	ds_write_b32 v100, v75 offset:1912
	;; [unrolled: 40-line block ×3, first 2 shown]
	s_waitcnt vmcnt(7)
	ds_write_b32 v100, v92 offset:2176
	s_waitcnt vmcnt(6)
	ds_write_b32 v100, v93 offset:2440
	s_waitcnt vmcnt(5)
	ds_write_b32 v100, v103 offset:2704
	s_waitcnt vmcnt(4)
	ds_write_b32 v100, v104 offset:2968
	s_waitcnt vmcnt(3)
	ds_write_b32 v100, v105 offset:3232
	s_waitcnt vmcnt(2)
	ds_write_b32 v100, v106 offset:3496
	s_waitcnt vmcnt(1)
	ds_write_b32 v100, v107 offset:3760
	s_waitcnt vmcnt(0)
	ds_write_b32 v100, v108 offset:4024
	ds_read_b64 v[88:89], v101 offset:64
	ds_read_b64 v[86:87], v101 offset:96
	;; [unrolled: 1-line block ×8, first 2 shown]
	s_andn2_b64 vcc, exec, s[6:7]
	v_mov_b32_e32 v90, 0
	v_mov_b32_e32 v91, 0
	s_cbranch_vccnz .LBB139_48
; %bb.45:                               ;   in Loop: Header=BB139_44 Depth=1
	ds_read_b32 v22, v99
	s_waitcnt lgkmcnt(0)
	v_cmp_gt_i32_e32 vcc, 0, v22
	s_cbranch_vccnz .LBB139_47
; %bb.46:                               ;   in Loop: Header=BB139_44 Depth=1
	v_mul_lo_u32 v22, v22, s49
	v_add_u32_e32 v90, v102, v22
	v_ashrrev_i32_e32 v91, 31, v90
	v_lshl_add_u64 v[90:91], v[90:91], 2, v[20:21]
	global_load_dwordx2 v[90:91], v[90:91], off
	s_branch .LBB139_48
.LBB139_47:                             ;   in Loop: Header=BB139_44 Depth=1
	v_mov_b32_e32 v90, 0
	v_mov_b32_e32 v91, 0
.LBB139_48:                             ;   in Loop: Header=BB139_44 Depth=1
	s_waitcnt vmcnt(0)
	v_cvt_pk_bf16_f32 v22, v90, v91
	v_mov_b32_e32 v90, 0
	s_andn2_b64 vcc, exec, s[8:9]
	v_mov_b32_e32 v92, 0
	v_mov_b32_e32 v93, 0
	ds_write_b32 v100, v22 offset:64
	s_cbranch_vccnz .LBB139_52
; %bb.49:                               ;   in Loop: Header=BB139_44 Depth=1
	ds_read_b32 v22, v99 offset:4
	s_waitcnt lgkmcnt(0)
	v_cmp_gt_i32_e32 vcc, 0, v22
	s_cbranch_vccnz .LBB139_51
; %bb.50:                               ;   in Loop: Header=BB139_44 Depth=1
	v_mul_lo_u32 v22, v22, s49
	v_add_u32_e32 v22, s44, v22
	v_add_u32_e32 v92, v22, v102
	v_ashrrev_i32_e32 v93, 31, v92
	v_lshl_add_u64 v[92:93], v[92:93], 2, v[20:21]
	global_load_dwordx2 v[92:93], v[92:93], off
	s_branch .LBB139_52
.LBB139_51:                             ;   in Loop: Header=BB139_44 Depth=1
	v_mov_b32_e32 v92, 0
	v_mov_b32_e32 v93, 0
.LBB139_52:                             ;   in Loop: Header=BB139_44 Depth=1
	s_waitcnt vmcnt(0)
	v_cvt_pk_bf16_f32 v22, v92, v93
	s_andn2_b64 vcc, exec, s[10:11]
	v_mov_b32_e32 v91, 0
	ds_write_b32 v100, v22 offset:328
	s_cbranch_vccnz .LBB139_56
; %bb.53:                               ;   in Loop: Header=BB139_44 Depth=1
	ds_read_b32 v22, v99 offset:8
	s_waitcnt lgkmcnt(0)
	v_cmp_gt_i32_e32 vcc, 0, v22
	s_cbranch_vccnz .LBB139_55
; %bb.54:                               ;   in Loop: Header=BB139_44 Depth=1
	v_mul_lo_u32 v22, v22, s49
	v_add_u32_e32 v22, s41, v22
	v_add_u32_e32 v90, v22, v102
	v_ashrrev_i32_e32 v91, 31, v90
	v_lshl_add_u64 v[90:91], v[90:91], 2, v[20:21]
	global_load_dwordx2 v[90:91], v[90:91], off
	s_branch .LBB139_56
.LBB139_55:                             ;   in Loop: Header=BB139_44 Depth=1
	v_mov_b32_e32 v90, 0
	v_mov_b32_e32 v91, 0
.LBB139_56:                             ;   in Loop: Header=BB139_44 Depth=1
	s_waitcnt vmcnt(0)
	v_cvt_pk_bf16_f32 v22, v90, v91
	v_mov_b32_e32 v90, 0
	s_andn2_b64 vcc, exec, s[12:13]
	v_mov_b32_e32 v92, 0
	v_mov_b32_e32 v93, 0
	ds_write_b32 v100, v22 offset:592
	s_cbranch_vccnz .LBB139_60
; %bb.57:                               ;   in Loop: Header=BB139_44 Depth=1
	ds_read_b32 v22, v99 offset:12
	s_waitcnt lgkmcnt(0)
	v_cmp_gt_i32_e32 vcc, 0, v22
	s_cbranch_vccnz .LBB139_59
; %bb.58:                               ;   in Loop: Header=BB139_44 Depth=1
	v_mul_lo_u32 v22, v22, s49
	v_readlane_b32 vcc_lo, v109, 17
	s_nop 1
	v_add_u32_e32 v22, vcc_lo, v22
	v_add_u32_e32 v92, v22, v102
	v_ashrrev_i32_e32 v93, 31, v92
	v_lshl_add_u64 v[92:93], v[92:93], 2, v[20:21]
	global_load_dwordx2 v[92:93], v[92:93], off
	s_branch .LBB139_60
.LBB139_59:                             ;   in Loop: Header=BB139_44 Depth=1
	v_mov_b32_e32 v92, 0
	v_mov_b32_e32 v93, 0
.LBB139_60:                             ;   in Loop: Header=BB139_44 Depth=1
	s_waitcnt vmcnt(0)
	v_cvt_pk_bf16_f32 v22, v92, v93
	s_andn2_b64 vcc, exec, s[14:15]
	v_mov_b32_e32 v91, 0
	ds_write_b32 v100, v22 offset:856
	s_cbranch_vccnz .LBB139_64
; %bb.61:                               ;   in Loop: Header=BB139_44 Depth=1
	ds_read_b32 v22, v99 offset:16
	s_waitcnt lgkmcnt(0)
	v_cmp_gt_i32_e32 vcc, 0, v22
	s_cbranch_vccnz .LBB139_63
; %bb.62:                               ;   in Loop: Header=BB139_44 Depth=1
	v_mul_lo_u32 v22, v22, s49
	v_readlane_b32 vcc_lo, v109, 16
	s_nop 1
	v_add_u32_e32 v22, vcc_lo, v22
	v_add_u32_e32 v90, v22, v102
	v_ashrrev_i32_e32 v91, 31, v90
	v_lshl_add_u64 v[90:91], v[90:91], 2, v[20:21]
	global_load_dwordx2 v[90:91], v[90:91], off
	s_branch .LBB139_64
.LBB139_63:                             ;   in Loop: Header=BB139_44 Depth=1
	v_mov_b32_e32 v90, 0
	v_mov_b32_e32 v91, 0
.LBB139_64:                             ;   in Loop: Header=BB139_44 Depth=1
	s_waitcnt vmcnt(0)
	v_cvt_pk_bf16_f32 v22, v90, v91
	v_mov_b32_e32 v90, 0
	s_andn2_b64 vcc, exec, s[16:17]
	v_mov_b32_e32 v92, 0
	v_mov_b32_e32 v93, 0
	ds_write_b32 v100, v22 offset:1120
	s_cbranch_vccnz .LBB139_68
; %bb.65:                               ;   in Loop: Header=BB139_44 Depth=1
	ds_read_b32 v22, v99 offset:20
	s_waitcnt lgkmcnt(0)
	v_cmp_gt_i32_e32 vcc, 0, v22
	s_cbranch_vccnz .LBB139_67
; %bb.66:                               ;   in Loop: Header=BB139_44 Depth=1
	v_mul_lo_u32 v22, v22, s49
	v_readlane_b32 vcc_lo, v109, 19
	s_nop 1
	v_add_u32_e32 v22, vcc_lo, v22
	v_add_u32_e32 v92, v22, v102
	v_ashrrev_i32_e32 v93, 31, v92
	v_lshl_add_u64 v[92:93], v[92:93], 2, v[20:21]
	global_load_dwordx2 v[92:93], v[92:93], off
	s_branch .LBB139_68
.LBB139_67:                             ;   in Loop: Header=BB139_44 Depth=1
	v_mov_b32_e32 v92, 0
	v_mov_b32_e32 v93, 0
.LBB139_68:                             ;   in Loop: Header=BB139_44 Depth=1
	s_waitcnt vmcnt(0)
	v_cvt_pk_bf16_f32 v22, v92, v93
	s_andn2_b64 vcc, exec, s[18:19]
	v_mov_b32_e32 v91, 0
	ds_write_b32 v100, v22 offset:1384
	s_cbranch_vccnz .LBB139_72
; %bb.69:                               ;   in Loop: Header=BB139_44 Depth=1
	ds_read_b32 v22, v99 offset:24
	s_waitcnt lgkmcnt(0)
	v_cmp_gt_i32_e32 vcc, 0, v22
	s_cbranch_vccnz .LBB139_71
; %bb.70:                               ;   in Loop: Header=BB139_44 Depth=1
	v_mul_lo_u32 v22, v22, s49
	v_readlane_b32 vcc_lo, v109, 20
	s_nop 1
	v_add_u32_e32 v22, vcc_lo, v22
	v_add_u32_e32 v90, v22, v102
	v_ashrrev_i32_e32 v91, 31, v90
	v_lshl_add_u64 v[90:91], v[90:91], 2, v[20:21]
	global_load_dwordx2 v[90:91], v[90:91], off
	s_branch .LBB139_72
.LBB139_71:                             ;   in Loop: Header=BB139_44 Depth=1
	v_mov_b32_e32 v90, 0
	v_mov_b32_e32 v91, 0
.LBB139_72:                             ;   in Loop: Header=BB139_44 Depth=1
	s_waitcnt vmcnt(0)
	v_cvt_pk_bf16_f32 v22, v90, v91
	v_mov_b32_e32 v90, 0
	s_andn2_b64 vcc, exec, s[20:21]
	v_mov_b32_e32 v92, 0
	v_mov_b32_e32 v93, 0
	ds_write_b32 v100, v22 offset:1648
	s_cbranch_vccnz .LBB139_76
; %bb.73:                               ;   in Loop: Header=BB139_44 Depth=1
	ds_read_b32 v22, v99 offset:28
	s_waitcnt lgkmcnt(0)
	v_cmp_gt_i32_e32 vcc, 0, v22
	s_cbranch_vccnz .LBB139_75
; %bb.74:                               ;   in Loop: Header=BB139_44 Depth=1
	v_mul_lo_u32 v22, v22, s49
	v_add_u32_e32 v22, s55, v22
	v_add_u32_e32 v92, v22, v102
	v_ashrrev_i32_e32 v93, 31, v92
	v_lshl_add_u64 v[92:93], v[92:93], 2, v[20:21]
	global_load_dwordx2 v[92:93], v[92:93], off
	s_branch .LBB139_76
.LBB139_75:                             ;   in Loop: Header=BB139_44 Depth=1
	v_mov_b32_e32 v92, 0
	v_mov_b32_e32 v93, 0
.LBB139_76:                             ;   in Loop: Header=BB139_44 Depth=1
	s_waitcnt vmcnt(0)
	v_cvt_pk_bf16_f32 v22, v92, v93
	s_andn2_b64 vcc, exec, s[22:23]
	v_mov_b32_e32 v91, 0
	ds_write_b32 v100, v22 offset:1912
	s_cbranch_vccnz .LBB139_80
; %bb.77:                               ;   in Loop: Header=BB139_44 Depth=1
	ds_read_b32 v22, v99 offset:32
	s_waitcnt lgkmcnt(0)
	v_cmp_gt_i32_e32 vcc, 0, v22
	s_cbranch_vccnz .LBB139_79
; %bb.78:                               ;   in Loop: Header=BB139_44 Depth=1
	v_mul_lo_u32 v22, v22, s49
	v_readlane_b32 vcc_lo, v109, 18
	s_nop 1
	v_add_u32_e32 v22, vcc_lo, v22
	v_add_u32_e32 v90, v22, v102
	v_ashrrev_i32_e32 v91, 31, v90
	v_lshl_add_u64 v[90:91], v[90:91], 2, v[20:21]
	global_load_dwordx2 v[90:91], v[90:91], off
	s_branch .LBB139_80
.LBB139_79:                             ;   in Loop: Header=BB139_44 Depth=1
	v_mov_b32_e32 v90, 0
	v_mov_b32_e32 v91, 0
.LBB139_80:                             ;   in Loop: Header=BB139_44 Depth=1
	s_waitcnt vmcnt(0)
	v_cvt_pk_bf16_f32 v22, v90, v91
	v_mov_b32_e32 v90, 0
	s_andn2_b64 vcc, exec, s[24:25]
	v_mov_b32_e32 v92, 0
	v_mov_b32_e32 v93, 0
	ds_write_b32 v100, v22 offset:2176
	s_cbranch_vccnz .LBB139_84
; %bb.81:                               ;   in Loop: Header=BB139_44 Depth=1
	ds_read_b32 v22, v99 offset:36
	s_waitcnt lgkmcnt(0)
	v_cmp_gt_i32_e32 vcc, 0, v22
	s_cbranch_vccnz .LBB139_83
; %bb.82:                               ;   in Loop: Header=BB139_44 Depth=1
	v_mul_lo_u32 v22, v22, s49
	v_readlane_b32 vcc_lo, v109, 24
	s_nop 1
	v_add_u32_e32 v22, vcc_lo, v22
	v_add_u32_e32 v92, v22, v102
	v_ashrrev_i32_e32 v93, 31, v92
	v_lshl_add_u64 v[92:93], v[92:93], 2, v[20:21]
	global_load_dwordx2 v[92:93], v[92:93], off
	s_branch .LBB139_84
.LBB139_83:                             ;   in Loop: Header=BB139_44 Depth=1
	v_mov_b32_e32 v92, 0
	v_mov_b32_e32 v93, 0
.LBB139_84:                             ;   in Loop: Header=BB139_44 Depth=1
	s_waitcnt vmcnt(0)
	v_cvt_pk_bf16_f32 v22, v92, v93
	s_andn2_b64 vcc, exec, s[26:27]
	v_mov_b32_e32 v91, 0
	ds_write_b32 v100, v22 offset:2440
	s_cbranch_vccnz .LBB139_88
; %bb.85:                               ;   in Loop: Header=BB139_44 Depth=1
	ds_read_b32 v22, v99 offset:40
	s_waitcnt lgkmcnt(0)
	v_cmp_gt_i32_e32 vcc, 0, v22
	s_cbranch_vccnz .LBB139_87
; %bb.86:                               ;   in Loop: Header=BB139_44 Depth=1
	v_mul_lo_u32 v22, v22, s49
	v_readlane_b32 vcc_lo, v109, 23
	s_nop 1
	v_add_u32_e32 v22, vcc_lo, v22
	v_add_u32_e32 v90, v22, v102
	v_ashrrev_i32_e32 v91, 31, v90
	v_lshl_add_u64 v[90:91], v[90:91], 2, v[20:21]
	global_load_dwordx2 v[90:91], v[90:91], off
	s_branch .LBB139_88
.LBB139_87:                             ;   in Loop: Header=BB139_44 Depth=1
	v_mov_b32_e32 v90, 0
	v_mov_b32_e32 v91, 0
.LBB139_88:                             ;   in Loop: Header=BB139_44 Depth=1
	s_waitcnt vmcnt(0)
	v_cvt_pk_bf16_f32 v22, v90, v91
	v_mov_b32_e32 v90, 0
	s_andn2_b64 vcc, exec, s[28:29]
	v_mov_b32_e32 v92, 0
	v_mov_b32_e32 v93, 0
	ds_write_b32 v100, v22 offset:2704
	s_cbranch_vccnz .LBB139_92
; %bb.89:                               ;   in Loop: Header=BB139_44 Depth=1
	ds_read_b32 v22, v99 offset:44
	s_waitcnt lgkmcnt(0)
	v_cmp_gt_i32_e32 vcc, 0, v22
	s_cbranch_vccnz .LBB139_91
; %bb.90:                               ;   in Loop: Header=BB139_44 Depth=1
	v_mul_lo_u32 v22, v22, s49
	v_readlane_b32 vcc_lo, v109, 22
	s_nop 1
	v_add_u32_e32 v22, vcc_lo, v22
	v_add_u32_e32 v92, v22, v102
	v_ashrrev_i32_e32 v93, 31, v92
	v_lshl_add_u64 v[92:93], v[92:93], 2, v[20:21]
	global_load_dwordx2 v[92:93], v[92:93], off
	s_branch .LBB139_92
.LBB139_91:                             ;   in Loop: Header=BB139_44 Depth=1
	v_mov_b32_e32 v92, 0
	v_mov_b32_e32 v93, 0
.LBB139_92:                             ;   in Loop: Header=BB139_44 Depth=1
	s_waitcnt vmcnt(0)
	v_cvt_pk_bf16_f32 v22, v92, v93
	s_andn2_b64 vcc, exec, s[30:31]
	v_mov_b32_e32 v91, 0
	ds_write_b32 v100, v22 offset:2968
	s_cbranch_vccnz .LBB139_43
; %bb.93:                               ;   in Loop: Header=BB139_44 Depth=1
	ds_read_b32 v22, v99 offset:48
	s_waitcnt lgkmcnt(0)
	v_cmp_gt_i32_e32 vcc, 0, v22
	s_cbranch_vccz .LBB139_42
; %bb.94:                               ;   in Loop: Header=BB139_44 Depth=1
	v_mov_b32_e32 v90, 0
	v_mov_b32_e32 v91, 0
	s_branch .LBB139_43
.LBB139_95:
	s_or_b64 exec, exec, s[42:43]
	v_readlane_b32 s24, v109, 8
	v_readlane_b32 s28, v109, 12
	;; [unrolled: 1-line block ×8, first 2 shown]
.LBB139_96:
	v_readlane_b32 s0, v109, 6
	v_readlane_b32 s1, v109, 7
	s_or_b64 exec, exec, s[0:1]
	v_mov_b32_e32 v19, 0x100
	v_lshl_add_u32 v18, v96, 2, v19
	v_mul_u32_u24_e32 v20, 0x608, v97
	v_and_b32_e32 v21, 0x3f0, v16
	v_add3_u32 v20, v18, v20, v21
	s_waitcnt lgkmcnt(0)
	s_barrier
	s_movk_i32 s0, 0x608
	ds_write2_b32 v20, v4, v5 offset0:16 offset1:17
	ds_write2_b32 v20, v6, v7 offset0:18 offset1:19
	;; [unrolled: 1-line block ×8, first 2 shown]
	v_lshl_add_u32 v8, v16, 2, v19
	v_mad_u32_u24 v0, v17, s0, v8
	s_waitcnt lgkmcnt(0)
	s_barrier
	ds_read2_b32 v[6:7], v0 offset0:16 offset1:80
	ds_read2_b32 v[2:3], v0 offset0:144 offset1:208
	v_add_u32_e32 v0, 64, v0
	ds_read2st64_b32 v[4:5], v0 offset0:4 offset1:5
	v_cmp_gt_u32_e32 vcc, 13, v17
	v_mov_b32_e32 v10, -1
	s_and_saveexec_b64 s[0:1], vcc
; %bb.97:
	s_movk_i32 s2, 0xff04
	v_mad_i32_i24 v0, v17, s2, v18
	ds_read_b32 v10, v0
; %bb.98:
	s_or_b64 exec, exec, s[0:1]
	s_mul_hi_i32 s1, s30, s22
	s_mul_i32 s0, s30, s22
	s_lshl_b64 s[0:1], s[0:1], 2
	v_readlane_b32 s2, v109, 4
	v_mul_hi_i32 v1, v94, s45
	v_mul_lo_u32 v0, v94, s45
	v_readlane_b32 s3, v109, 5
	s_add_u32 s0, s2, s0
	s_addc_u32 s1, s3, s1
	v_lshlrev_b64 v[0:1], 2, v[0:1]
	s_waitcnt lgkmcnt(0)
	v_cmp_lt_i32_e32 vcc, -1, v10
	v_mul_u32_u24_e32 v11, 0x608, v17
	v_add_u32_e32 v9, s11, v16
	v_lshl_add_u64 v[0:1], s[0:1], 0, v[0:1]
	s_and_b64 s[2:3], vcc, s[24:25]
	s_and_saveexec_b64 s[0:1], s[2:3]
	s_cbranch_execz .LBB139_100
; %bb.99:
	v_add_f32_e32 v6, 0, v6
	v_add_f32_e32 v6, v6, v7
	;; [unrolled: 1-line block ×6, first 2 shown]
	v_mul_lo_u32 v2, v10, s50
	v_mul_lo_u32 v3, v17, s45
	v_add3_u32 v2, v9, v3, v2
	v_mov_b32_e32 v3, 0
	v_lshl_add_u64 v[2:3], v[2:3], 2, v[0:1]
	global_store_dword v[2:3], v4, off
.LBB139_100:
	s_or_b64 exec, exec, s[0:1]
	v_add_u32_e32 v2, v11, v8
	v_add_u32_e32 v2, 0x70, v2
	ds_read2st64_b32 v[6:7], v2 offset0:36 offset1:37
	ds_read2st64_b32 v[4:5], v2 offset0:38 offset1:39
	;; [unrolled: 1-line block ×3, first 2 shown]
	v_cmp_gt_u32_e32 vcc, 7, v17
	v_mov_b32_e32 v10, -1
	s_and_saveexec_b64 s[0:1], vcc
; %bb.101:
	v_mov_b32_e32 v10, 0x100
	v_lshl_add_u32 v10, v17, 2, v10
	ds_read_b32 v10, v10 offset:24
; %bb.102:
	s_or_b64 exec, exec, s[0:1]
	v_readlane_b32 s0, v109, 0
	s_waitcnt lgkmcnt(0)
	v_cmp_lt_i32_e32 vcc, -1, v10
	v_readlane_b32 s1, v109, 1
	s_and_b64 s[2:3], vcc, s[0:1]
	s_and_saveexec_b64 s[0:1], s[2:3]
	s_cbranch_execz .LBB139_104
; %bb.103:
	v_add_f32_e32 v6, 0, v6
	v_add_f32_e32 v6, v6, v7
	;; [unrolled: 1-line block ×6, first 2 shown]
	v_mul_lo_u32 v2, v10, s50
	v_mul_lo_u32 v3, v95, s45
	v_add3_u32 v2, v9, v3, v2
	v_mov_b32_e32 v3, 0
	v_lshl_add_u64 v[2:3], v[2:3], 2, v[0:1]
	global_store_dword v[2:3], v4, off
.LBB139_104:
	s_or_b64 exec, exec, s[0:1]
	v_cmp_eq_u32_e32 vcc, 0, v17
	s_and_saveexec_b64 s[0:1], vcc
	s_cbranch_execz .LBB139_107
; %bb.105:
	v_mov_b32_e32 v2, 0x100
	ds_read_b32 v2, v2 offset:48
	v_readlane_b32 s2, v109, 2
	v_readlane_b32 s3, v109, 3
	s_waitcnt lgkmcnt(0)
	v_readfirstlane_b32 s0, v2
	s_cmp_gt_i32 s0, -1
	s_cselect_b64 s[0:1], -1, 0
	s_and_b64 s[0:1], s[0:1], s[2:3]
	s_and_b64 exec, exec, s[0:1]
	s_cbranch_execz .LBB139_107
; %bb.106:
	v_add_u32_e32 v6, 0xa0, v8
	ds_read2st64_b32 v[4:5], v6 offset0:72 offset1:73
	v_mul_lo_u32 v8, v2, s50
	ds_read2st64_b32 v[2:3], v6 offset0:74 offset1:75
	ds_read2st64_b32 v[6:7], v6 offset0:76 offset1:77
	s_mul_i32 s0, s45, 12
	s_waitcnt lgkmcnt(2)
	v_add_f32_e32 v4, 0, v4
	v_add_f32_e32 v4, v4, v5
	s_waitcnt lgkmcnt(1)
	v_add_f32_e32 v2, v4, v2
	v_add_f32_e32 v2, v2, v3
	;; [unrolled: 3-line block ×3, first 2 shown]
	v_add_u32_e32 v2, s0, v8
	v_add_u32_e32 v2, v2, v9
	v_mov_b32_e32 v3, 0
	v_lshl_add_u64 v[0:1], v[2:3], 2, v[0:1]
	global_store_dword v[0:1], v4, off
.LBB139_107:
	s_endpgm
	.section	.rodata,"a",@progbits
	.p2align	6, 0x0
	.amdhsa_kernel _ZL9mul_mat_fI15__hip_bfloat162Li64ELi13ELi6ELb1EEvPKT_PKfPKiPfiiiiiiiiiiiiiiii
		.amdhsa_group_segment_fixed_size 256
		.amdhsa_private_segment_fixed_size 0
		.amdhsa_kernarg_size 352
		.amdhsa_user_sgpr_count 2
		.amdhsa_user_sgpr_dispatch_ptr 0
		.amdhsa_user_sgpr_queue_ptr 0
		.amdhsa_user_sgpr_kernarg_segment_ptr 1
		.amdhsa_user_sgpr_dispatch_id 0
		.amdhsa_user_sgpr_kernarg_preload_length 0
		.amdhsa_user_sgpr_kernarg_preload_offset 0
		.amdhsa_user_sgpr_private_segment_size 0
		.amdhsa_uses_dynamic_stack 0
		.amdhsa_enable_private_segment 0
		.amdhsa_system_sgpr_workgroup_id_x 1
		.amdhsa_system_sgpr_workgroup_id_y 1
		.amdhsa_system_sgpr_workgroup_id_z 1
		.amdhsa_system_sgpr_workgroup_info 0
		.amdhsa_system_vgpr_workitem_id 2
		.amdhsa_next_free_vgpr 110
		.amdhsa_next_free_sgpr 100
		.amdhsa_accum_offset 112
		.amdhsa_reserve_vcc 1
		.amdhsa_float_round_mode_32 0
		.amdhsa_float_round_mode_16_64 0
		.amdhsa_float_denorm_mode_32 3
		.amdhsa_float_denorm_mode_16_64 3
		.amdhsa_dx10_clamp 1
		.amdhsa_ieee_mode 1
		.amdhsa_fp16_overflow 0
		.amdhsa_tg_split 0
		.amdhsa_exception_fp_ieee_invalid_op 0
		.amdhsa_exception_fp_denorm_src 0
		.amdhsa_exception_fp_ieee_div_zero 0
		.amdhsa_exception_fp_ieee_overflow 0
		.amdhsa_exception_fp_ieee_underflow 0
		.amdhsa_exception_fp_ieee_inexact 0
		.amdhsa_exception_int_div_zero 0
	.end_amdhsa_kernel
	.section	.text._ZL9mul_mat_fI15__hip_bfloat162Li64ELi13ELi6ELb1EEvPKT_PKfPKiPfiiiiiiiiiiiiiiii,"axG",@progbits,_ZL9mul_mat_fI15__hip_bfloat162Li64ELi13ELi6ELb1EEvPKT_PKfPKiPfiiiiiiiiiiiiiiii,comdat
.Lfunc_end139:
	.size	_ZL9mul_mat_fI15__hip_bfloat162Li64ELi13ELi6ELb1EEvPKT_PKfPKiPfiiiiiiiiiiiiiiii, .Lfunc_end139-_ZL9mul_mat_fI15__hip_bfloat162Li64ELi13ELi6ELb1EEvPKT_PKfPKiPfiiiiiiiiiiiiiiii
                                        ; -- End function
	.set _ZL9mul_mat_fI15__hip_bfloat162Li64ELi13ELi6ELb1EEvPKT_PKfPKiPfiiiiiiiiiiiiiiii.num_vgpr, 110
	.set _ZL9mul_mat_fI15__hip_bfloat162Li64ELi13ELi6ELb1EEvPKT_PKfPKiPfiiiiiiiiiiiiiiii.num_agpr, 0
	.set _ZL9mul_mat_fI15__hip_bfloat162Li64ELi13ELi6ELb1EEvPKT_PKfPKiPfiiiiiiiiiiiiiiii.numbered_sgpr, 100
	.set _ZL9mul_mat_fI15__hip_bfloat162Li64ELi13ELi6ELb1EEvPKT_PKfPKiPfiiiiiiiiiiiiiiii.num_named_barrier, 0
	.set _ZL9mul_mat_fI15__hip_bfloat162Li64ELi13ELi6ELb1EEvPKT_PKfPKiPfiiiiiiiiiiiiiiii.private_seg_size, 0
	.set _ZL9mul_mat_fI15__hip_bfloat162Li64ELi13ELi6ELb1EEvPKT_PKfPKiPfiiiiiiiiiiiiiiii.uses_vcc, 1
	.set _ZL9mul_mat_fI15__hip_bfloat162Li64ELi13ELi6ELb1EEvPKT_PKfPKiPfiiiiiiiiiiiiiiii.uses_flat_scratch, 0
	.set _ZL9mul_mat_fI15__hip_bfloat162Li64ELi13ELi6ELb1EEvPKT_PKfPKiPfiiiiiiiiiiiiiiii.has_dyn_sized_stack, 0
	.set _ZL9mul_mat_fI15__hip_bfloat162Li64ELi13ELi6ELb1EEvPKT_PKfPKiPfiiiiiiiiiiiiiiii.has_recursion, 0
	.set _ZL9mul_mat_fI15__hip_bfloat162Li64ELi13ELi6ELb1EEvPKT_PKfPKiPfiiiiiiiiiiiiiiii.has_indirect_call, 0
	.section	.AMDGPU.csdata,"",@progbits
; Kernel info:
; codeLenInByte = 7960
; TotalNumSgprs: 106
; NumVgprs: 110
; NumAgprs: 0
; TotalNumVgprs: 110
; ScratchSize: 0
; MemoryBound: 0
; FloatMode: 240
; IeeeMode: 1
; LDSByteSize: 256 bytes/workgroup (compile time only)
; SGPRBlocks: 13
; VGPRBlocks: 13
; NumSGPRsForWavesPerEU: 106
; NumVGPRsForWavesPerEU: 110
; AccumOffset: 112
; Occupancy: 4
; WaveLimiterHint : 0
; COMPUTE_PGM_RSRC2:SCRATCH_EN: 0
; COMPUTE_PGM_RSRC2:USER_SGPR: 2
; COMPUTE_PGM_RSRC2:TRAP_HANDLER: 0
; COMPUTE_PGM_RSRC2:TGID_X_EN: 1
; COMPUTE_PGM_RSRC2:TGID_Y_EN: 1
; COMPUTE_PGM_RSRC2:TGID_Z_EN: 1
; COMPUTE_PGM_RSRC2:TIDIG_COMP_CNT: 2
; COMPUTE_PGM_RSRC3_GFX90A:ACCUM_OFFSET: 27
; COMPUTE_PGM_RSRC3_GFX90A:TG_SPLIT: 0
	.section	.text._ZL9mul_mat_fI15__hip_bfloat162Li64ELi13ELi6ELb0EEvPKT_PKfPKiPfiiiiiiiiiiiiiiii,"axG",@progbits,_ZL9mul_mat_fI15__hip_bfloat162Li64ELi13ELi6ELb0EEvPKT_PKfPKiPfiiiiiiiiiiiiiiii,comdat
	.globl	_ZL9mul_mat_fI15__hip_bfloat162Li64ELi13ELi6ELb0EEvPKT_PKfPKiPfiiiiiiiiiiiiiiii ; -- Begin function _ZL9mul_mat_fI15__hip_bfloat162Li64ELi13ELi6ELb0EEvPKT_PKfPKiPfiiiiiiiiiiiiiiii
	.p2align	8
	.type	_ZL9mul_mat_fI15__hip_bfloat162Li64ELi13ELi6ELb0EEvPKT_PKfPKiPfiiiiiiiiiiiiiiii,@function
_ZL9mul_mat_fI15__hip_bfloat162Li64ELi13ELi6ELb0EEvPKT_PKfPKiPfiiiiiiiiiiiiiiii: ; @_ZL9mul_mat_fI15__hip_bfloat162Li64ELi13ELi6ELb0EEvPKT_PKfPKiPfiiiiiiiiiiiiiiii
; %bb.0:
	s_load_dword s5, s[0:1], 0x20
	s_load_dwordx4 s[16:19], s[0:1], 0x2c
	v_bfe_u32 v34, v0, 10, 10
	v_lshlrev_b32_e32 v36, 6, v34
	v_and_b32_e32 v35, 0x3ff, v0
	v_add_u32_e32 v38, v36, v35
	s_waitcnt lgkmcnt(0)
	s_ashr_i32 s19, s4, 31
	v_cmp_le_i32_e32 vcc, s5, v38
	v_and_b32_e32 v37, 15, v35
	s_and_saveexec_b64 s[6:7], vcc
	s_xor_b64 s[6:7], exec, s[6:7]
; %bb.1:
	v_and_b32_e32 v37, 15, v35
                                        ; implicit-def: $vgpr38
; %bb.2:
	s_or_saveexec_b64 s[24:25], s[6:7]
	s_load_dwordx8 s[8:15], s[0:1], 0x40
	s_load_dwordx2 s[6:7], s[0:1], 0x18
	v_mov_b32_e32 v15, 0
	s_lshl_b32 s2, s2, 6
	v_mov_b32_e32 v14, v15
	v_mov_b32_e32 v13, v15
	;; [unrolled: 1-line block ×15, first 2 shown]
	s_xor_b64 exec, exec, s[24:25]
	s_cbranch_execz .LBB140_6
; %bb.3:
	s_waitcnt lgkmcnt(0)
	s_abs_i32 s26, s8
	v_cvt_f32_u32_e32 v0, s26
	s_abs_i32 s27, s12
	v_cvt_f32_u32_e32 v1, s27
	s_sub_i32 s20, 0, s26
	v_rcp_iflag_f32_e32 v0, v0
	s_abs_i32 s28, s3
	v_rcp_iflag_f32_e32 v1, v1
	s_sub_i32 s21, 0, s27
	v_mul_f32_e32 v0, 0x4f7ffffe, v0
	v_cvt_u32_f32_e32 v0, v0
	v_mul_f32_e32 v1, 0x4f7ffffe, v1
	v_cvt_u32_f32_e32 v1, v1
	s_abs_i32 s29, s4
	v_mul_lo_u32 v2, s20, v0
	v_mul_hi_u32 v2, v0, v2
	v_add_u32_e32 v0, v0, v2
	v_mul_hi_u32 v0, s28, v0
	v_mul_lo_u32 v3, s21, v1
	v_mul_lo_u32 v2, v0, s26
	v_mul_hi_u32 v3, v1, v3
	v_sub_u32_e32 v2, s28, v2
	v_add_u32_e32 v1, v1, v3
	v_add_u32_e32 v3, 1, v0
	v_subrev_u32_e32 v4, s26, v2
	v_cmp_le_u32_e32 vcc, s26, v2
	s_load_dwordx4 s[20:23], s[0:1], 0x0
	s_ashr_i32 s0, s3, 31
	v_cndmask_b32_e32 v0, v0, v3, vcc
	v_cndmask_b32_e32 v2, v2, v4, vcc
	s_ashr_i32 s1, s8, 31
	v_add_u32_e32 v3, 1, v0
	v_cmp_le_u32_e32 vcc, s26, v2
	s_xor_b32 s0, s0, s1
	v_mul_hi_u32 v1, s29, v1
	v_cndmask_b32_e32 v0, v0, v3, vcc
	v_xor_b32_e32 v0, s0, v0
	v_subrev_u32_e32 v2, s0, v0
	v_mul_lo_u32 v0, v1, s27
	v_sub_u32_e32 v0, s29, v0
	v_add_u32_e32 v3, 1, v1
	v_subrev_u32_e32 v4, s27, v0
	v_cmp_le_u32_e32 vcc, s27, v0
	s_ashr_i32 s8, s12, 31
	s_xor_b32 s0, s19, s8
	v_cndmask_b32_e32 v1, v1, v3, vcc
	v_cndmask_b32_e32 v0, v0, v4, vcc
	v_add_u32_e32 v3, 1, v1
	v_cmp_le_u32_e32 vcc, s27, v0
	v_mul_lo_u32 v2, v2, s9
	s_mul_hi_i32 s9, s14, s4
	v_cndmask_b32_e32 v0, v1, v3, vcc
	v_xor_b32_e32 v0, s0, v0
	s_mul_i32 s8, s14, s4
	v_subrev_u32_e32 v0, s0, v0
	s_lshl_b64 s[26:27], s[8:9], 2
	v_mul_hi_i32 v1, v0, s13
	v_mul_lo_u32 v0, v0, s13
	s_mul_i32 s0, s16, s2
	s_mul_i32 s28, s10, s3
	s_waitcnt lgkmcnt(0)
	s_add_u32 s8, s22, s26
	v_ashrrev_i32_e32 v3, 31, v2
	v_lshlrev_b64 v[0:1], 2, v[0:1]
	s_addc_u32 s9, s23, s27
	s_ashr_i32 s1, s0, 31
	s_ashr_i32 s29, s28, 31
	v_lshl_add_u64 v[4:5], s[20:21], 0, v[0:1]
	v_lshlrev_b64 v[2:3], 2, v[2:3]
	s_lshl_b64 s[12:13], s[0:1], 2
	s_lshl_b64 s[28:29], s[28:29], 2
	v_lshl_add_u64 v[4:5], v[4:5], 0, v[2:3]
	s_add_u32 s0, s8, s28
	s_movk_i32 s8, 0x1080
	v_lshrrev_b32_e32 v7, 1, v35
	v_lshl_add_u64 v[2:3], v[2:3], 0, s[12:13]
	v_lshl_add_u64 v[16:17], v[4:5], 0, s[12:13]
	v_mov_b32_e32 v19, 0
	v_mad_u32_u24 v5, v34, s8, 0
	v_lshlrev_b32_e32 v4, 2, v35
	v_mul_u32_u24_e32 v6, 0x108, v37
	v_and_b32_e32 v7, 0x1f8, v7
	v_lshlrev_b32_e32 v18, 8, v34
	v_lshl_add_u64 v[0:1], v[2:3], 0, v[0:1]
	s_addc_u32 s1, s9, s29
	v_add_u32_e32 v39, v5, v4
	v_add3_u32 v40, v5, v6, v7
	s_ashr_i32 s9, s16, 31
	s_mov_b32 s8, s16
	s_ashr_i32 s75, s17, 31
	s_mov_b32 s74, s17
	v_lshl_add_u64 v[0:1], v[0:1], 0, v[18:19]
	v_mov_b32_e32 v5, v19
	s_add_i32 s10, s16, s16
	s_add_i32 s14, s17, s17
	s_lshl_b32 s30, s17, 2
	s_lshl_b32 s35, s17, 3
	;; [unrolled: 1-line block ×6, first 2 shown]
	s_lshl_b64 s[8:9], s[8:9], 2
	s_lshl_b64 s[12:13], s[74:75], 3
	v_lshl_add_u64 v[0:1], v[0:1], 0, v[4:5]
	v_lshlrev_b32_e32 v18, 9, v34
	s_add_u32 s22, s22, s28
	v_lshl_add_u64 v[20:21], s[20:21], 0, v[0:1]
	v_lshl_add_u64 v[0:1], s[26:27], 0, v[18:19]
	v_lshlrev_b32_e32 v18, 3, v35
	s_addc_u32 s23, s23, s29
	v_lshl_add_u64 v[0:1], v[0:1], 0, v[18:19]
	s_mul_i32 s19, s17, 3
	s_mul_i32 s31, s17, 5
	;; [unrolled: 1-line block ×45, first 2 shown]
	v_lshl_add_u64 v[22:23], s[22:23], 0, v[0:1]
	s_mul_i32 s77, s16, 44
	s_mul_i32 s78, s16, 45
	v_mov_b32_e32 v4, 0
	v_mov_b32_e32 v6, v19
	;; [unrolled: 1-line block ×15, first 2 shown]
	s_mul_i32 s79, s16, 46
	s_mul_i32 s80, s16, 47
	;; [unrolled: 1-line block ×18, first 2 shown]
	s_mov_b64 s[16:17], 0
	s_mov_b64 s[20:21], 0x600
	s_mov_b64 s[22:23], 0xc00
.LBB140_4:                              ; =>This Inner Loop Header: Depth=1
	v_add_u32_e32 v30, s10, v38
	v_add_u32_e32 v26, s58, v38
	v_lshl_add_u64 v[24:25], v[20:21], 0, s[8:9]
	v_add_u32_e32 v32, s40, v38
	v_ashrrev_i32_e32 v31, 31, v30
	v_ashrrev_i32_e32 v27, 31, v26
	v_add_u32_e32 v28, s59, v38
	global_load_dword v45, v[24:25], off
	v_lshl_add_u64 v[30:31], v[30:31], 2, v[16:17]
	v_add_u32_e32 v24, s60, v38
	v_ashrrev_i32_e32 v33, 31, v32
	v_lshl_add_u64 v[26:27], v[26:27], 2, v[16:17]
	v_add_u32_e32 v42, s41, v38
	global_load_dword v46, v[30:31], off
	v_ashrrev_i32_e32 v29, 31, v28
	global_load_dword v26, v[26:27], off
	v_lshl_add_u64 v[30:31], v[32:33], 2, v[16:17]
	v_add_u32_e32 v32, s61, v38
	v_ashrrev_i32_e32 v25, 31, v24
	v_add_u32_e32 v48, s42, v38
	v_ashrrev_i32_e32 v43, 31, v42
	v_lshl_add_u64 v[28:29], v[28:29], 2, v[16:17]
	v_lshl_add_u64 v[24:25], v[24:25], 2, v[16:17]
	v_ashrrev_i32_e32 v33, 31, v32
	global_load_dword v47, v[30:31], off
	v_ashrrev_i32_e32 v49, 31, v48
	global_load_dword v24, v[24:25], off
	v_add_u32_e32 v54, s43, v38
	global_load_dword v27, v[28:29], off
	v_lshl_add_u64 v[30:31], v[42:43], 2, v[16:17]
	v_lshl_add_u64 v[28:29], v[32:33], 2, v[16:17]
	global_load_dword v50, v[30:31], off
	global_load_dword v25, v[28:29], off
	v_lshl_add_u64 v[30:31], v[48:49], 2, v[16:17]
	global_load_dword v52, v[30:31], off
	v_add_u32_e32 v30, s62, v38
	v_add_u32_e32 v56, s44, v38
	v_ashrrev_i32_e32 v55, 31, v54
	v_add_u32_e32 v48, s63, v38
	v_ashrrev_i32_e32 v31, 31, v30
	v_add_u32_e32 v58, s45, v38
	v_lshl_add_u64 v[42:43], v[54:55], 2, v[16:17]
	v_ashrrev_i32_e32 v57, 31, v56
	v_add_u32_e32 v84, s64, v38
	v_lshl_add_u64 v[28:29], v[30:31], 2, v[16:17]
	v_ashrrev_i32_e32 v49, 31, v48
	v_add_u32_e32 v60, s46, v38
	global_load_dword v53, v[42:43], off
	v_ashrrev_i32_e32 v59, 31, v58
	v_add_u32_e32 v86, s65, v38
	global_load_dword v28, v[28:29], off
	v_lshl_add_u64 v[42:43], v[56:57], 2, v[16:17]
	v_lshl_add_u64 v[30:31], v[48:49], 2, v[16:17]
	v_ashrrev_i32_e32 v85, 31, v84
	v_add_u32_e32 v62, s47, v38
	global_load_dword v54, v[42:43], off
	global_load_dword v29, v[30:31], off
	v_lshl_add_u64 v[42:43], v[58:59], 2, v[16:17]
	v_ashrrev_i32_e32 v61, 31, v60
	v_add_u32_e32 v88, s66, v38
	v_lshl_add_u64 v[30:31], v[84:85], 2, v[16:17]
	v_ashrrev_i32_e32 v87, 31, v86
	v_add_u32_e32 v64, s48, v38
	global_load_dword v57, v[42:43], off
	v_ashrrev_i32_e32 v63, 31, v62
	global_load_dword v30, v[30:31], off
	v_lshl_add_u64 v[42:43], v[60:61], 2, v[16:17]
	v_lshl_add_u64 v[32:33], v[86:87], 2, v[16:17]
	v_ashrrev_i32_e32 v89, 31, v88
	v_add_u32_e32 v66, s49, v38
	global_load_dword v58, v[42:43], off
	global_load_dword v31, v[32:33], off
	v_lshl_add_u64 v[42:43], v[62:63], 2, v[16:17]
	v_ashrrev_i32_e32 v65, 31, v64
	v_lshl_add_u64 v[32:33], v[88:89], 2, v[16:17]
	v_add_u32_e32 v68, s50, v38
	global_load_dword v61, v[42:43], off
	v_ashrrev_i32_e32 v67, 31, v66
	global_load_dword v32, v[32:33], off
	v_lshl_add_u64 v[42:43], v[64:65], 2, v[16:17]
	v_add_u32_e32 v70, s51, v38
	global_load_dword v62, v[42:43], off
	v_lshl_add_u64 v[42:43], v[66:67], 2, v[16:17]
	v_ashrrev_i32_e32 v69, 31, v68
	v_add_u32_e32 v72, s52, v38
	global_load_dword v65, v[42:43], off
	v_lshl_add_u64 v[42:43], v[68:69], 2, v[16:17]
	v_ashrrev_i32_e32 v71, 31, v70
	global_load_dword v66, v[42:43], off
	v_lshl_add_u64 v[42:43], v[70:71], 2, v[16:17]
	v_ashrrev_i32_e32 v73, 31, v72
	global_load_dword v68, v[42:43], off
	v_lshl_add_u64 v[42:43], v[72:73], 2, v[16:17]
	v_add_u32_e32 v72, s67, v38
	v_add_u32_e32 v74, s53, v38
	v_ashrrev_i32_e32 v73, 31, v72
	v_ashrrev_i32_e32 v75, 31, v74
	v_lshl_add_u64 v[48:49], v[72:73], 2, v[16:17]
	global_load_dword v70, v[42:43], off
	global_load_dword v33, v[48:49], off
	v_lshl_add_u64 v[42:43], v[74:75], 2, v[16:17]
	v_add_u32_e32 v74, s68, v38
	v_add_u32_e32 v76, s54, v38
	;; [unrolled: 1-line block ×3, first 2 shown]
	v_ashrrev_i32_e32 v75, 31, v74
	v_add_u32_e32 v78, s55, v38
	v_ashrrev_i32_e32 v77, 31, v76
	v_lshl_add_u64 v[48:49], v[74:75], 2, v[16:17]
	v_ashrrev_i32_e32 v73, 31, v72
	global_load_dword v18, v[42:43], off
	v_ashrrev_i32_e32 v79, 31, v78
	global_load_dword v48, v[48:49], off
	v_lshl_add_u64 v[42:43], v[76:77], 2, v[16:17]
	v_lshl_add_u64 v[72:73], v[72:73], 2, v[16:17]
	global_load_dword v41, v[42:43], off
	global_load_dword v60, v[72:73], off
	v_lshl_add_u64 v[42:43], v[78:79], 2, v[16:17]
	v_add_u32_e32 v78, s69, v38
	v_ashrrev_i32_e32 v79, 31, v78
	v_add_u32_e32 v80, s56, v38
	v_lshl_add_u64 v[74:75], v[78:79], 2, v[16:17]
	v_add_u32_e32 v78, s73, v38
	v_add_u32_e32 v82, s57, v38
	v_ashrrev_i32_e32 v81, 31, v80
	v_ashrrev_i32_e32 v79, 31, v78
	v_lshl_add_u64 v[76:77], v[80:81], 2, v[16:17]
	v_ashrrev_i32_e32 v83, 31, v82
	v_lshl_add_u64 v[72:73], v[78:79], 2, v[16:17]
	global_load_dword v42, v[42:43], off
	v_add_u32_e32 v80, s71, v38
	global_load_dword v49, v[74:75], off
	global_load_dword v63, v[72:73], off
	global_load_dword v43, v[76:77], off
	v_lshl_add_u64 v[76:77], v[82:83], 2, v[16:17]
	global_load_dword v44, v[76:77], off
	v_add_u32_e32 v76, s70, v38
	v_ashrrev_i32_e32 v77, 31, v76
	v_lshl_add_u64 v[74:75], v[76:77], 2, v[16:17]
	v_add_u32_e32 v76, s74, v38
	v_ashrrev_i32_e32 v77, 31, v76
	v_ashrrev_i32_e32 v81, 31, v80
	v_lshl_add_u64 v[72:73], v[76:77], 2, v[16:17]
	global_load_dword v51, v[74:75], off
	global_load_dword v64, v[72:73], off
	v_lshl_add_u64 v[74:75], v[80:81], 2, v[16:17]
	v_add_u32_e32 v80, s75, v38
	v_add_u32_e32 v82, s72, v38
	v_ashrrev_i32_e32 v81, 31, v80
	v_add_u32_e32 v84, s28, v38
	v_ashrrev_i32_e32 v83, 31, v82
	v_lshl_add_u64 v[72:73], v[80:81], 2, v[16:17]
	global_load_dword v55, v[74:75], off
	global_load_dword v67, v[72:73], off
	v_lshl_add_u64 v[74:75], v[82:83], 2, v[16:17]
	v_ashrrev_i32_e32 v85, 31, v84
	global_load_dword v56, v[74:75], off
	v_lshl_add_u64 v[74:75], v[84:85], 2, v[16:17]
	global_load_dword v59, v[74:75], off
	v_add_u32_e32 v74, s76, v38
	v_add_u32_e32 v76, s26, v38
	v_ashrrev_i32_e32 v75, 31, v74
	v_lshl_add_u64 v[72:73], v[74:75], 2, v[16:17]
	v_ashrrev_i32_e32 v77, 31, v76
	v_add_u32_e32 v74, s27, v38
	global_load_dword v69, v[72:73], off
	v_lshl_add_u64 v[72:73], v[76:77], 2, v[16:17]
	v_ashrrev_i32_e32 v75, 31, v74
	global_load_dword v71, v[72:73], off
	v_lshl_add_u64 v[72:73], v[74:75], 2, v[16:17]
	v_add_u32_e32 v74, s77, v38
	v_ashrrev_i32_e32 v75, 31, v74
	v_lshl_add_u64 v[74:75], v[74:75], 2, v[16:17]
	global_load_dword v72, v[72:73], off
	v_add_u32_e32 v76, s79, v38
	global_load_dword v73, v[74:75], off
	v_add_u32_e32 v74, s78, v38
	v_ashrrev_i32_e32 v75, 31, v74
	v_ashrrev_i32_e32 v77, 31, v76
	v_lshl_add_u64 v[74:75], v[74:75], 2, v[16:17]
	v_lshl_add_u64 v[76:77], v[76:77], 2, v[16:17]
	global_load_dword v74, v[74:75], off
	v_add_u32_e32 v78, s81, v38
	global_load_dword v75, v[76:77], off
	v_add_u32_e32 v76, s80, v38
	v_ashrrev_i32_e32 v77, 31, v76
	v_ashrrev_i32_e32 v79, 31, v78
	v_lshl_add_u64 v[76:77], v[76:77], 2, v[16:17]
	;; [unrolled: 8-line block ×9, first 2 shown]
	v_lshl_add_u64 v[92:93], v[92:93], 2, v[16:17]
	global_load_dword v90, v[90:91], off
	v_add_u32_e32 v94, s31, v38
	global_load_dword v91, v[92:93], off
	v_add_u32_e32 v92, s96, v38
	v_ashrrev_i32_e32 v93, 31, v92
	v_lshl_add_u64 v[92:93], v[92:93], 2, v[16:17]
	global_load_dword v106, v[92:93], off
	s_nop 0
	global_load_dword v92, v[20:21], off
	s_waitcnt vmcnt(62)
	ds_write_b32 v39, v45 offset:264
	v_ashrrev_i32_e32 v95, 31, v94
	v_lshl_add_u64 v[94:95], v[94:95], 3, s[0:1]
	v_lshl_add_u64 v[20:21], v[20:21], 0, s[20:21]
	s_waitcnt vmcnt(0)
	ds_write_b32 v39, v92
	global_load_dwordx2 v[92:93], v[22:23], off
	s_waitcnt vmcnt(0)
	v_cvt_pk_bf16_f32 v107, v92, v93
	v_lshl_add_u64 v[92:93], v[22:23], 0, s[12:13]
	global_load_dwordx2 v[92:93], v[92:93], off
	ds_write_b32 v39, v46 offset:528
	ds_write_b32 v39, v47 offset:792
	;; [unrolled: 1-line block ×14, first 2 shown]
	v_add_u32_e32 v46, s14, v38
	v_add_u32_e32 v52, s19, v38
	v_ashrrev_i32_e32 v47, 31, v46
	v_ashrrev_i32_e32 v53, 31, v52
	v_lshl_add_u64 v[46:47], v[46:47], 3, s[0:1]
	v_lshl_add_u64 v[52:53], v[52:53], 3, s[0:1]
	;; [unrolled: 1-line block ×3, first 2 shown]
	s_waitcnt vmcnt(0)
	v_cvt_pk_bf16_f32 v108, v92, v93
	v_add_u32_e32 v92, s30, v38
	v_ashrrev_i32_e32 v93, 31, v92
	v_lshl_add_u64 v[92:93], v[92:93], 3, s[0:1]
	global_load_dwordx2 v[46:47], v[46:47], off
	s_nop 0
	global_load_dwordx2 v[52:53], v[52:53], off
	s_nop 0
	;; [unrolled: 2-line block ×3, first 2 shown]
	global_load_dwordx2 v[94:95], v[94:95], off
	s_waitcnt vmcnt(3)
	v_cvt_pk_bf16_f32 v109, v46, v47
	s_waitcnt vmcnt(2)
	v_cvt_pk_bf16_f32 v110, v52, v53
	;; [unrolled: 2-line block ×4, first 2 shown]
	v_add_u32_e32 v46, s33, v38
	v_add_u32_e32 v52, s34, v38
	;; [unrolled: 1-line block ×4, first 2 shown]
	v_ashrrev_i32_e32 v47, 31, v46
	v_ashrrev_i32_e32 v53, 31, v52
	;; [unrolled: 1-line block ×4, first 2 shown]
	v_lshl_add_u64 v[46:47], v[46:47], 3, s[0:1]
	v_lshl_add_u64 v[52:53], v[52:53], 3, s[0:1]
	;; [unrolled: 1-line block ×4, first 2 shown]
	global_load_dwordx2 v[46:47], v[46:47], off
	s_nop 0
	global_load_dwordx2 v[52:53], v[52:53], off
	s_nop 0
	;; [unrolled: 2-line block ×3, first 2 shown]
	global_load_dwordx2 v[94:95], v[94:95], off
	s_waitcnt vmcnt(3)
	v_cvt_pk_bf16_f32 v113, v46, v47
	s_waitcnt vmcnt(2)
	v_cvt_pk_bf16_f32 v114, v52, v53
	;; [unrolled: 2-line block ×3, first 2 shown]
	v_add_u32_e32 v46, s37, v38
	v_add_u32_e32 v52, s38, v38
	;; [unrolled: 1-line block ×3, first 2 shown]
	v_ashrrev_i32_e32 v47, 31, v46
	v_ashrrev_i32_e32 v53, 31, v52
	;; [unrolled: 1-line block ×3, first 2 shown]
	v_lshl_add_u64 v[46:47], v[46:47], 3, s[0:1]
	v_lshl_add_u64 v[52:53], v[52:53], 3, s[0:1]
	;; [unrolled: 1-line block ×3, first 2 shown]
	global_load_dwordx2 v[46:47], v[46:47], off
	s_nop 0
	global_load_dwordx2 v[52:53], v[52:53], off
	s_nop 0
	global_load_dwordx2 v[92:93], v[92:93], off
	s_waitcnt vmcnt(3)
	v_cvt_pk_bf16_f32 v116, v94, v95
	v_add_u32_e32 v38, 0x180, v38
	v_cmp_le_i32_e32 vcc, s5, v38
	s_or_b64 s[16:17], vcc, s[16:17]
	s_waitcnt vmcnt(2)
	v_cvt_pk_bf16_f32 v117, v46, v47
	s_waitcnt vmcnt(1)
	v_cvt_pk_bf16_f32 v118, v52, v53
	;; [unrolled: 2-line block ×3, first 2 shown]
	ds_read_b64 v[46:47], v40
	ds_read_b64 v[52:53], v40 offset:32
	ds_read_b64 v[92:93], v40 offset:64
	ds_read_b64 v[94:95], v40 offset:96
	ds_read_b64 v[96:97], v40 offset:128
	ds_read_b64 v[98:99], v40 offset:160
	ds_read_b64 v[100:101], v40 offset:192
	ds_read_b64 v[102:103], v40 offset:224
	ds_write_b32 v39, v18
	ds_write_b32 v39, v41 offset:264
	ds_write_b32 v39, v42 offset:528
	ds_write_b32 v39, v43 offset:792
	ds_write_b32 v39, v44 offset:1056
	ds_write_b32 v39, v26 offset:1320
	ds_write_b32 v39, v27 offset:1584
	ds_write_b32 v39, v24 offset:1848
	ds_write_b32 v39, v25 offset:2112
	ds_write_b32 v39, v28 offset:2376
	ds_write_b32 v39, v29 offset:2640
	ds_write_b32 v39, v30 offset:2904
	ds_write_b32 v39, v31 offset:3168
	ds_write_b32 v39, v32 offset:3432
	ds_write_b32 v39, v33 offset:3696
	ds_write_b32 v39, v48 offset:3960
	ds_read_b64 v[24:25], v40
	ds_read_b64 v[26:27], v40 offset:32
	ds_read_b64 v[28:29], v40 offset:64
	ds_read_b64 v[30:31], v40 offset:96
	ds_read_b64 v[32:33], v40 offset:128
	ds_read_b64 v[42:43], v40 offset:160
	ds_read_b64 v[44:45], v40 offset:192
	ds_read_b64 v[104:105], v40 offset:224
	ds_write_b32 v39, v49
	ds_write_b32 v39, v51 offset:264
	ds_write_b32 v39, v55 offset:528
	ds_write_b32 v39, v56 offset:792
	ds_write_b32 v39, v59 offset:1056
	ds_write_b32 v39, v60 offset:1320
	ds_write_b32 v39, v63 offset:1584
	ds_write_b32 v39, v64 offset:1848
	ds_write_b32 v39, v67 offset:2112
	ds_write_b32 v39, v69 offset:2376
	ds_write_b32 v39, v71 offset:2640
	ds_write_b32 v39, v72 offset:2904
	ds_write_b32 v39, v73 offset:3168
	ds_write_b32 v39, v74 offset:3432
	ds_write_b32 v39, v75 offset:3696
	ds_write_b32 v39, v76 offset:3960
	;; [unrolled: 24-line block ×4, first 2 shown]
	ds_read_b64 v[82:83], v40
	ds_read_b64 v[84:85], v40 offset:32
	ds_read_b64 v[86:87], v40 offset:64
	ds_read_b64 v[88:89], v40 offset:96
	s_waitcnt lgkmcnt(3)
	v_mfma_f32_16x16x16_bf16 v[12:15], v[46:47], v[82:83], v[12:15]
	v_mfma_f32_16x16x16_bf16 v[8:11], v[24:25], v[82:83], v[8:11]
	ds_read_b64 v[24:25], v40 offset:128
	v_mfma_f32_16x16x16_bf16 v[0:3], v[48:49], v[82:83], v[0:3]
	v_mfma_f32_16x16x16_bf16 v[4:7], v[66:67], v[82:83], v[4:7]
	s_waitcnt lgkmcnt(3)
	v_mfma_f32_16x16x16_bf16 v[12:15], v[52:53], v[84:85], v[12:15]
	v_mfma_f32_16x16x16_bf16 v[8:11], v[26:27], v[84:85], v[8:11]
	v_mfma_f32_16x16x16_bf16 v[0:3], v[50:51], v[84:85], v[0:3]
	v_mfma_f32_16x16x16_bf16 v[4:7], v[68:69], v[84:85], v[4:7]
	s_waitcnt lgkmcnt(2)
	v_mfma_f32_16x16x16_bf16 v[12:15], v[92:93], v[86:87], v[12:15]
	v_mfma_f32_16x16x16_bf16 v[8:11], v[28:29], v[86:87], v[8:11]
	;; [unrolled: 5-line block ×3, first 2 shown]
	ds_read_b64 v[26:27], v40 offset:160
	ds_read_b64 v[28:29], v40 offset:192
	ds_read_b64 v[30:31], v40 offset:224
	v_mfma_f32_16x16x16_bf16 v[0:3], v[56:57], v[88:89], v[0:3]
	v_mfma_f32_16x16x16_bf16 v[4:7], v[72:73], v[88:89], v[4:7]
	s_waitcnt lgkmcnt(3)
	v_mfma_f32_16x16x16_bf16 v[12:15], v[96:97], v[24:25], v[12:15]
	v_mfma_f32_16x16x16_bf16 v[8:11], v[32:33], v[24:25], v[8:11]
	v_mfma_f32_16x16x16_bf16 v[0:3], v[58:59], v[24:25], v[0:3]
	v_mfma_f32_16x16x16_bf16 v[4:7], v[74:75], v[24:25], v[4:7]
	s_waitcnt lgkmcnt(2)
	v_mfma_f32_16x16x16_bf16 v[12:15], v[98:99], v[26:27], v[12:15]
	v_mfma_f32_16x16x16_bf16 v[8:11], v[42:43], v[26:27], v[8:11]
	;; [unrolled: 5-line block ×4, first 2 shown]
	v_mfma_f32_16x16x16_bf16 v[0:3], v[64:65], v[30:31], v[0:3]
	v_mfma_f32_16x16x16_bf16 v[4:7], v[80:81], v[30:31], v[4:7]
	s_andn2_b64 exec, exec, s[16:17]
	s_cbranch_execnz .LBB140_4
; %bb.5:
	s_or_b64 exec, exec, s[16:17]
.LBB140_6:
	s_or_b64 exec, exec, s[24:25]
	s_waitcnt lgkmcnt(0)
	s_mul_hi_i32 s1, s15, s4
	s_mul_i32 s0, s15, s4
	s_lshl_b64 s[0:1], s[0:1], 2
	s_mul_i32 s4, s11, s3
	s_add_u32 s3, s6, s0
	s_addc_u32 s6, s7, s1
	s_ashr_i32 s5, s4, 31
	v_lshl_add_u32 v16, v36, 2, 0
	v_mul_u32_u24_e32 v17, 0x608, v37
	v_and_b32_e32 v18, 0x3f0, v35
	s_lshl_b64 s[0:1], s[4:5], 2
	v_add3_u32 v16, v16, v17, v18
	s_add_u32 s0, s3, s0
	s_barrier
	s_movk_i32 s3, 0x608
	ds_write2_b32 v16, v12, v13 offset1:1
	ds_write2_b32 v16, v14, v15 offset0:2 offset1:3
	ds_write2_b32 v16, v8, v9 offset0:16 offset1:17
	;; [unrolled: 1-line block ×7, first 2 shown]
	v_lshl_add_u32 v1, v35, 2, 0
	v_mad_u32_u24 v8, v34, s3, v1
	s_waitcnt lgkmcnt(0)
	s_barrier
	ds_read2st64_b32 v[2:3], v8 offset1:1
	ds_read2st64_b32 v[4:5], v8 offset0:2 offset1:3
	ds_read2st64_b32 v[6:7], v8 offset0:4 offset1:5
	v_add_u32_e32 v11, 48, v8
	v_add_u32_e32 v0, s2, v35
	s_waitcnt lgkmcnt(2)
	v_add_f32_e32 v2, 0, v2
	v_add_f32_e32 v2, v2, v3
	s_waitcnt lgkmcnt(1)
	v_add_f32_e32 v2, v2, v4
	v_add_f32_e32 v2, v2, v5
	s_waitcnt lgkmcnt(0)
	v_add_f32_e32 v2, v2, v6
	ds_read2st64_b32 v[4:5], v11 offset0:36 offset1:37
	ds_read2st64_b32 v[8:9], v11 offset0:38 offset1:39
	v_add_f32_e32 v10, v2, v7
	v_mad_u64_u32 v[2:3], s[2:3], v34, s18, v[0:1]
	s_addc_u32 s1, s6, s1
	v_mov_b32_e32 v3, 0
	v_lshl_add_u64 v[6:7], v[2:3], 2, s[0:1]
	global_store_dword v[6:7], v10, off
	ds_read2st64_b32 v[6:7], v11 offset0:40 offset1:41
	s_waitcnt lgkmcnt(2)
	v_add_f32_e32 v4, 0, v4
	v_add_f32_e32 v4, v4, v5
	s_waitcnt lgkmcnt(1)
	v_add_f32_e32 v4, v4, v8
	v_add_f32_e32 v4, v4, v9
	;; [unrolled: 3-line block ×3, first 2 shown]
	v_mad_u64_u32 v[4:5], s[2:3], s18, 6, v[2:3]
	v_mov_b32_e32 v5, v3
	v_lshl_add_u64 v[4:5], v[4:5], 2, s[0:1]
	v_cmp_eq_u32_e32 vcc, 0, v34
	global_store_dword v[4:5], v6, off
	s_and_saveexec_b64 s[2:3], vcc
	s_cbranch_execz .LBB140_8
; %bb.7:
	v_add_u32_e32 v2, 0x60, v1
	ds_read2st64_b32 v[4:5], v2 offset0:72 offset1:73
	ds_read2st64_b32 v[6:7], v2 offset0:74 offset1:75
	v_mad_u64_u32 v[0:1], s[2:3], s18, 12, v[0:1]
	ds_read2st64_b32 v[8:9], v2 offset0:76 offset1:77
	s_waitcnt lgkmcnt(2)
	v_add_f32_e32 v1, 0, v4
	v_add_f32_e32 v1, v1, v5
	s_waitcnt lgkmcnt(1)
	v_add_f32_e32 v1, v1, v6
	v_add_f32_e32 v1, v1, v7
	;; [unrolled: 3-line block ×3, first 2 shown]
	v_mov_b32_e32 v1, v3
	v_lshl_add_u64 v[0:1], v[0:1], 2, s[0:1]
	global_store_dword v[0:1], v2, off
.LBB140_8:
	s_endpgm
	.section	.rodata,"a",@progbits
	.p2align	6, 0x0
	.amdhsa_kernel _ZL9mul_mat_fI15__hip_bfloat162Li64ELi13ELi6ELb0EEvPKT_PKfPKiPfiiiiiiiiiiiiiiii
		.amdhsa_group_segment_fixed_size 0
		.amdhsa_private_segment_fixed_size 0
		.amdhsa_kernarg_size 96
		.amdhsa_user_sgpr_count 2
		.amdhsa_user_sgpr_dispatch_ptr 0
		.amdhsa_user_sgpr_queue_ptr 0
		.amdhsa_user_sgpr_kernarg_segment_ptr 1
		.amdhsa_user_sgpr_dispatch_id 0
		.amdhsa_user_sgpr_kernarg_preload_length 0
		.amdhsa_user_sgpr_kernarg_preload_offset 0
		.amdhsa_user_sgpr_private_segment_size 0
		.amdhsa_uses_dynamic_stack 0
		.amdhsa_enable_private_segment 0
		.amdhsa_system_sgpr_workgroup_id_x 1
		.amdhsa_system_sgpr_workgroup_id_y 1
		.amdhsa_system_sgpr_workgroup_id_z 1
		.amdhsa_system_sgpr_workgroup_info 0
		.amdhsa_system_vgpr_workitem_id 1
		.amdhsa_next_free_vgpr 120
		.amdhsa_next_free_sgpr 97
		.amdhsa_accum_offset 120
		.amdhsa_reserve_vcc 1
		.amdhsa_float_round_mode_32 0
		.amdhsa_float_round_mode_16_64 0
		.amdhsa_float_denorm_mode_32 3
		.amdhsa_float_denorm_mode_16_64 3
		.amdhsa_dx10_clamp 1
		.amdhsa_ieee_mode 1
		.amdhsa_fp16_overflow 0
		.amdhsa_tg_split 0
		.amdhsa_exception_fp_ieee_invalid_op 0
		.amdhsa_exception_fp_denorm_src 0
		.amdhsa_exception_fp_ieee_div_zero 0
		.amdhsa_exception_fp_ieee_overflow 0
		.amdhsa_exception_fp_ieee_underflow 0
		.amdhsa_exception_fp_ieee_inexact 0
		.amdhsa_exception_int_div_zero 0
	.end_amdhsa_kernel
	.section	.text._ZL9mul_mat_fI15__hip_bfloat162Li64ELi13ELi6ELb0EEvPKT_PKfPKiPfiiiiiiiiiiiiiiii,"axG",@progbits,_ZL9mul_mat_fI15__hip_bfloat162Li64ELi13ELi6ELb0EEvPKT_PKfPKiPfiiiiiiiiiiiiiiii,comdat
.Lfunc_end140:
	.size	_ZL9mul_mat_fI15__hip_bfloat162Li64ELi13ELi6ELb0EEvPKT_PKfPKiPfiiiiiiiiiiiiiiii, .Lfunc_end140-_ZL9mul_mat_fI15__hip_bfloat162Li64ELi13ELi6ELb0EEvPKT_PKfPKiPfiiiiiiiiiiiiiiii
                                        ; -- End function
	.set _ZL9mul_mat_fI15__hip_bfloat162Li64ELi13ELi6ELb0EEvPKT_PKfPKiPfiiiiiiiiiiiiiiii.num_vgpr, 120
	.set _ZL9mul_mat_fI15__hip_bfloat162Li64ELi13ELi6ELb0EEvPKT_PKfPKiPfiiiiiiiiiiiiiiii.num_agpr, 0
	.set _ZL9mul_mat_fI15__hip_bfloat162Li64ELi13ELi6ELb0EEvPKT_PKfPKiPfiiiiiiiiiiiiiiii.numbered_sgpr, 97
	.set _ZL9mul_mat_fI15__hip_bfloat162Li64ELi13ELi6ELb0EEvPKT_PKfPKiPfiiiiiiiiiiiiiiii.num_named_barrier, 0
	.set _ZL9mul_mat_fI15__hip_bfloat162Li64ELi13ELi6ELb0EEvPKT_PKfPKiPfiiiiiiiiiiiiiiii.private_seg_size, 0
	.set _ZL9mul_mat_fI15__hip_bfloat162Li64ELi13ELi6ELb0EEvPKT_PKfPKiPfiiiiiiiiiiiiiiii.uses_vcc, 1
	.set _ZL9mul_mat_fI15__hip_bfloat162Li64ELi13ELi6ELb0EEvPKT_PKfPKiPfiiiiiiiiiiiiiiii.uses_flat_scratch, 0
	.set _ZL9mul_mat_fI15__hip_bfloat162Li64ELi13ELi6ELb0EEvPKT_PKfPKiPfiiiiiiiiiiiiiiii.has_dyn_sized_stack, 0
	.set _ZL9mul_mat_fI15__hip_bfloat162Li64ELi13ELi6ELb0EEvPKT_PKfPKiPfiiiiiiiiiiiiiiii.has_recursion, 0
	.set _ZL9mul_mat_fI15__hip_bfloat162Li64ELi13ELi6ELb0EEvPKT_PKfPKiPfiiiiiiiiiiiiiiii.has_indirect_call, 0
	.section	.AMDGPU.csdata,"",@progbits
; Kernel info:
; codeLenInByte = 4844
; TotalNumSgprs: 103
; NumVgprs: 120
; NumAgprs: 0
; TotalNumVgprs: 120
; ScratchSize: 0
; MemoryBound: 0
; FloatMode: 240
; IeeeMode: 1
; LDSByteSize: 0 bytes/workgroup (compile time only)
; SGPRBlocks: 12
; VGPRBlocks: 14
; NumSGPRsForWavesPerEU: 103
; NumVGPRsForWavesPerEU: 120
; AccumOffset: 120
; Occupancy: 4
; WaveLimiterHint : 0
; COMPUTE_PGM_RSRC2:SCRATCH_EN: 0
; COMPUTE_PGM_RSRC2:USER_SGPR: 2
; COMPUTE_PGM_RSRC2:TRAP_HANDLER: 0
; COMPUTE_PGM_RSRC2:TGID_X_EN: 1
; COMPUTE_PGM_RSRC2:TGID_Y_EN: 1
; COMPUTE_PGM_RSRC2:TGID_Z_EN: 1
; COMPUTE_PGM_RSRC2:TIDIG_COMP_CNT: 1
; COMPUTE_PGM_RSRC3_GFX90A:ACCUM_OFFSET: 29
; COMPUTE_PGM_RSRC3_GFX90A:TG_SPLIT: 0
	.section	.text._ZL13mul_mat_f_idsI15__hip_bfloat162Li64ELi13ELi7EEvPKT_PKfPKiS7_S7_Pfiiiiiiiiiiiiii15HIP_vector_typeIjLj3EESA_,"axG",@progbits,_ZL13mul_mat_f_idsI15__hip_bfloat162Li64ELi13ELi7EEvPKT_PKfPKiS7_S7_Pfiiiiiiiiiiiiii15HIP_vector_typeIjLj3EESA_,comdat
	.globl	_ZL13mul_mat_f_idsI15__hip_bfloat162Li64ELi13ELi7EEvPKT_PKfPKiS7_S7_Pfiiiiiiiiiiiiii15HIP_vector_typeIjLj3EESA_ ; -- Begin function _ZL13mul_mat_f_idsI15__hip_bfloat162Li64ELi13ELi7EEvPKT_PKfPKiS7_S7_Pfiiiiiiiiiiiiii15HIP_vector_typeIjLj3EESA_
	.p2align	8
	.type	_ZL13mul_mat_f_idsI15__hip_bfloat162Li64ELi13ELi7EEvPKT_PKfPKiS7_S7_Pfiiiiiiiiiiiiii15HIP_vector_typeIjLj3EESA_,@function
_ZL13mul_mat_f_idsI15__hip_bfloat162Li64ELi13ELi7EEvPKT_PKfPKiS7_S7_Pfiiiiiiiiiiiiii15HIP_vector_typeIjLj3EESA_: ; @_ZL13mul_mat_f_idsI15__hip_bfloat162Li64ELi13ELi7EEvPKT_PKfPKiS7_S7_Pfiiiiiiiiiiiiii15HIP_vector_typeIjLj3EESA_
; %bb.0:
	s_load_dwordx2 s[6:7], s[0:1], 0x20
	s_mov_b32 s34, s3
	s_ashr_i32 s35, s3, 31
	s_lshl_b64 s[8:9], s[34:35], 2
	s_waitcnt lgkmcnt(0)
	s_add_u32 s6, s6, s8
	s_addc_u32 s7, s7, s9
	s_load_dwordx2 s[30:31], s[6:7], 0x0
	s_waitcnt lgkmcnt(0)
	s_sub_i32 s26, s31, s30
	s_add_i32 s3, s26, 12
	s_mul_hi_i32 s3, s3, 0x4ec4ec4f
	s_lshr_b32 s5, s3, 31
	s_ashr_i32 s3, s3, 2
	s_add_i32 s3, s3, s5
	s_cmp_ge_i32 s4, s3
	s_cbranch_scc1 .LBB141_53
; %bb.1:
	v_bfe_u32 v16, v0, 10, 10
	v_lshlrev_b32_e32 v86, 6, v16
	v_and_b32_e32 v17, 0x3ff, v0
	s_load_dwordx4 s[12:15], s[0:1], 0x30
	s_load_dwordx2 s[20:21], s[0:1], 0x40
	s_load_dwordx4 s[8:11], s[0:1], 0x4c
	s_load_dwordx4 s[16:19], s[0:1], 0x68
	s_load_dwordx2 s[24:25], s[0:1], 0x78
	v_add_u32_e32 v88, v86, v17
	s_ashr_i32 s31, s30, 31
	s_waitcnt lgkmcnt(0)
	v_cmp_le_i32_e32 vcc, s12, v88
	v_and_b32_e32 v87, 15, v17
	s_and_saveexec_b64 s[6:7], vcc
	s_xor_b64 s[6:7], exec, s[6:7]
; %bb.2:
	v_and_b32_e32 v87, 15, v17
                                        ; implicit-def: $vgpr88
; %bb.3:
	s_or_saveexec_b64 s[36:37], s[6:7]
	s_load_dwordx2 s[22:23], s[0:1], 0x18
	s_load_dwordx2 s[6:7], s[0:1], 0x28
                                        ; implicit-def: $vgpr118 : SGPR spill to VGPR lane
	v_mov_b32_e32 v15, 0
	s_lshl_b32 s11, s2, 6
	s_mul_i32 s28, s4, 13
	v_mov_b32_e32 v14, v15
	s_waitcnt lgkmcnt(0)
	v_writelane_b32 v118, s6, 0
	v_mov_b32_e32 v13, v15
	v_mov_b32_e32 v12, v15
	;; [unrolled: 1-line block ×14, first 2 shown]
	v_writelane_b32 v118, s7, 1
	s_xor_b64 exec, exec, s[36:37]
	s_cbranch_execz .LBB141_46
; %bb.4:
	s_load_dwordx4 s[4:7], s[0:1], 0x0
	s_load_dwordx2 s[2:3], s[0:1], 0x10
	v_writelane_b32 v118, s36, 2
	s_mul_i32 s0, s8, s34
	s_ashr_i32 s1, s0, 31
	v_writelane_b32 v118, s37, 3
	v_writelane_b32 v118, s22, 4
	s_lshl_b64 s[64:65], s[0:1], 2
	s_waitcnt lgkmcnt(0)
	s_add_u32 s0, s4, s64
	v_writelane_b32 v118, s23, 5
	s_mul_i32 s22, s15, s11
	v_writelane_b32 v118, s24, 6
	s_addc_u32 s1, s5, s65
	s_ashr_i32 s23, s22, 31
	v_writelane_b32 v118, s25, 7
	s_lshl_b64 s[66:67], s[22:23], 2
	v_writelane_b32 v118, s11, 8
	s_add_u32 s0, s0, s66
	s_addc_u32 s1, s1, s67
	v_writelane_b32 v118, s30, 9
	s_lshl_b64 s[22:23], s[30:31], 2
	s_add_u32 s8, s2, s22
	s_addc_u32 s11, s3, s23
	s_movk_i32 s2, 0x1080
	s_cmp_lt_i32 s28, s26
	v_writelane_b32 v118, s31, 10
	v_mad_u32_u24 v1, v16, s2, 0
	s_cselect_b64 s[2:3], -1, 0
	v_writelane_b32 v118, s2, 11
	s_ashr_i32 s29, s28, 31
	s_mov_b32 s22, s15
	v_writelane_b32 v118, s3, 12
	s_lshl_b64 s[2:3], s[28:29], 2
	s_add_u32 s36, s8, s2
	s_addc_u32 s37, s11, s3
	s_add_i32 s2, s28, 1
	s_cmp_lt_i32 s2, s26
	s_cselect_b64 s[2:3], -1, 0
	v_writelane_b32 v118, s2, 13
	v_lshrrev_b32_e32 v3, 1, v17
	v_mov_b32_e32 v19, 0
	v_writelane_b32 v118, s3, 14
	s_add_i32 s2, s28, 2
	s_cmp_lt_i32 s2, s26
	s_cselect_b64 s[2:3], -1, 0
	v_writelane_b32 v118, s2, 15
	v_lshlrev_b32_e32 v0, 2, v17
	v_mul_u32_u24_e32 v2, 0x108, v87
	v_writelane_b32 v118, s3, 16
	s_add_i32 s2, s28, 3
	s_cmp_lt_i32 s2, s26
	s_cselect_b64 s[2:3], -1, 0
	v_writelane_b32 v118, s2, 17
	v_and_b32_e32 v3, 0x1f8, v3
	v_lshlrev_b32_e32 v18, 8, v16
	v_writelane_b32 v118, s3, 18
	s_add_i32 s2, s28, 4
	s_cmp_lt_i32 s2, s26
	s_cselect_b64 s[2:3], -1, 0
	v_writelane_b32 v118, s2, 19
	v_add_u32_e32 v89, v1, v0
	v_add3_u32 v90, v1, v2, v3
	v_writelane_b32 v118, s3, 20
	s_add_i32 s2, s28, 5
	s_cmp_lt_i32 s2, s26
	s_cselect_b64 s[2:3], -1, 0
	v_writelane_b32 v118, s2, 21
	v_mov_b32_e32 v1, v19
	s_mul_i32 s8, s15, 3
	v_writelane_b32 v118, s3, 22
	s_add_i32 s2, s28, 6
	s_cmp_lt_i32 s2, s26
	s_cselect_b64 s[48:49], -1, 0
	s_add_i32 s2, s28, 7
	s_cmp_lt_i32 s2, s26
	s_cselect_b64 s[50:51], -1, 0
	;; [unrolled: 3-line block ×5, first 2 shown]
	s_add_i32 s2, s28, 11
	s_cmp_lt_i32 s2, s26
	s_mov_b32 s2, s28
	v_writelane_b32 v118, s2, 23
	s_cselect_b64 s[58:59], -1, 0
	s_mul_i32 s69, s15, 5
	v_writelane_b32 v118, s3, 24
	s_add_i32 s2, s28, 12
	s_cmp_lt_i32 s2, s26
	s_cselect_b64 s[60:61], -1, 0
	s_ashr_i32 s23, s15, 31
	s_add_i32 s3, s15, s15
	s_lshl_b32 s68, s15, 2
	s_lshl_b32 s72, s15, 3
	;; [unrolled: 1-line block ×4, first 2 shown]
	s_lshl_b64 s[62:63], s[22:23], 2
	s_add_u32 s22, s64, s66
	s_addc_u32 s23, s65, s67
	v_lshl_add_u64 v[2:3], s[22:23], 0, v[18:19]
	v_lshl_add_u64 v[0:1], v[2:3], 0, v[0:1]
	v_writelane_b32 v118, s26, 25
	s_mul_i32 s70, s15, 6
	s_mul_i32 s71, s15, 7
	;; [unrolled: 1-line block ×21, first 2 shown]
	v_lshl_add_u64 v[20:21], s[4:5], 0, v[0:1]
	v_mov_b32_e32 v8, 0
	v_mov_b32_e32 v9, v19
	;; [unrolled: 1-line block ×16, first 2 shown]
	s_mul_i32 s90, s15, 29
	s_mul_i32 s91, s15, 30
	;; [unrolled: 1-line block ×34, first 2 shown]
	s_mov_b32 s46, 0x5040100
	s_mov_b64 s[4:5], 0
	s_branch .LBB141_6
.LBB141_5:                              ;   in Loop: Header=BB141_6 Depth=1
	v_perm_b32 v18, v18, v91, s46
	v_perm_b32 v91, v93, v94, s46
	ds_write2_b32 v89, v18, v91 offset1:66
	v_perm_b32 v18, v95, v92, s46
	v_perm_b32 v91, v97, v98, s46
	ds_write2_b32 v89, v18, v91 offset0:132 offset1:198
	v_perm_b32 v18, v99, v96, s46
	v_perm_b32 v91, v101, v102, s46
	v_add_u32_e32 v92, 0x400, v89
	ds_write2_b32 v92, v18, v91 offset0:8 offset1:74
	v_perm_b32 v18, v103, v100, s46
	v_perm_b32 v91, v105, v106, s46
	ds_write2_b32 v92, v18, v91 offset0:140 offset1:206
	v_perm_b32 v18, v107, v104, s46
	v_perm_b32 v91, v109, v110, s46
	v_add_u32_e32 v92, 0x800, v89
	ds_write2_b32 v92, v18, v91 offset0:16 offset1:82
	v_perm_b32 v18, v111, v108, s46
	v_perm_b32 v91, v113, v114, s46
	ds_write2_b32 v92, v18, v91 offset0:148 offset1:214
	v_perm_b32 v18, v115, v112, s46
	v_add_u32_e32 v91, 0xc00, v89
	ds_write2_b32 v91, v18, v19 offset0:24 offset1:90
	ds_write2_b32 v91, v19, v19 offset0:156 offset1:222
	ds_read2_b64 v[92:95], v90 offset1:4
	s_waitcnt lgkmcnt(0)
	v_mfma_f32_16x16x16_bf16 v[0:3], v[54:55], v[92:93], v[0:3]
	v_add_u32_e32 v88, 0x1c0, v88
	s_mov_b64 vcc, 0x700
	v_lshl_add_u64 v[20:21], v[20:21], 0, vcc
	v_mfma_f32_16x16x16_bf16 v[8:11], v[38:39], v[92:93], v[8:11]
	v_cmp_le_i32_e32 vcc, s12, v88
	s_or_b64 s[4:5], vcc, s[4:5]
	v_mfma_f32_16x16x16_bf16 v[4:7], v[70:71], v[92:93], v[4:7]
	v_mfma_f32_16x16x16_bf16 v[12:15], v[84:85], v[92:93], v[12:15]
	v_mfma_f32_16x16x16_bf16 v[0:3], v[52:53], v[94:95], v[0:3]
	ds_read2_b64 v[52:55], v90 offset0:8 offset1:12
	v_mfma_f32_16x16x16_bf16 v[8:11], v[34:35], v[94:95], v[8:11]
	v_mfma_f32_16x16x16_bf16 v[4:7], v[68:69], v[94:95], v[4:7]
	v_mfma_f32_16x16x16_bf16 v[12:15], v[82:83], v[94:95], v[12:15]
	s_waitcnt lgkmcnt(0)
	v_mfma_f32_16x16x16_bf16 v[8:11], v[32:33], v[52:53], v[8:11]
	v_mfma_f32_16x16x16_bf16 v[0:3], v[48:49], v[52:53], v[0:3]
	v_mfma_f32_16x16x16_bf16 v[4:7], v[66:67], v[52:53], v[4:7]
	v_mfma_f32_16x16x16_bf16 v[12:15], v[78:79], v[52:53], v[12:15]
	v_mfma_f32_16x16x16_bf16 v[8:11], v[30:31], v[54:55], v[8:11]
	ds_read2_b64 v[30:33], v90 offset0:16 offset1:20
	v_mfma_f32_16x16x16_bf16 v[0:3], v[46:47], v[54:55], v[0:3]
	v_mfma_f32_16x16x16_bf16 v[4:7], v[64:65], v[54:55], v[4:7]
	v_mfma_f32_16x16x16_bf16 v[12:15], v[74:75], v[54:55], v[12:15]
	s_waitcnt lgkmcnt(0)
	v_mfma_f32_16x16x16_bf16 v[8:11], v[28:29], v[30:31], v[8:11]
	v_mfma_f32_16x16x16_bf16 v[0:3], v[44:45], v[30:31], v[0:3]
	v_mfma_f32_16x16x16_bf16 v[4:7], v[62:63], v[30:31], v[4:7]
	v_mfma_f32_16x16x16_bf16 v[12:15], v[80:81], v[30:31], v[12:15]
	v_mfma_f32_16x16x16_bf16 v[8:11], v[26:27], v[32:33], v[8:11]
	ds_read2_b64 v[26:29], v90 offset0:24 offset1:28
	v_mfma_f32_16x16x16_bf16 v[0:3], v[42:43], v[32:33], v[0:3]
	v_mfma_f32_16x16x16_bf16 v[4:7], v[58:59], v[32:33], v[4:7]
	v_mfma_f32_16x16x16_bf16 v[12:15], v[76:77], v[32:33], v[12:15]
	s_waitcnt lgkmcnt(0)
	v_mfma_f32_16x16x16_bf16 v[8:11], v[24:25], v[26:27], v[8:11]
	v_mfma_f32_16x16x16_bf16 v[0:3], v[40:41], v[26:27], v[0:3]
	v_mfma_f32_16x16x16_bf16 v[4:7], v[56:57], v[26:27], v[4:7]
	v_mfma_f32_16x16x16_bf16 v[12:15], v[72:73], v[26:27], v[12:15]
	;; [unrolled: 1-line block ×6, first 2 shown]
	s_andn2_b64 exec, exec, s[4:5]
	s_cbranch_execz .LBB141_45
.LBB141_6:                              ; =>This Inner Loop Header: Depth=1
	v_lshl_add_u64 v[22:23], v[20:21], 0, s[62:63]
	global_load_dword v18, v[20:21], off
	global_load_dword v48, v[22:23], off
	v_add_u32_e32 v22, s3, v88
	v_ashrrev_i32_e32 v23, 31, v22
	v_add_u32_e32 v24, s8, v88
	v_add_u32_e32 v26, s68, v88
	;; [unrolled: 1-line block ×5, first 2 shown]
	v_lshl_add_u64 v[22:23], v[22:23], 2, s[0:1]
	v_ashrrev_i32_e32 v25, 31, v24
	v_ashrrev_i32_e32 v27, 31, v26
	;; [unrolled: 1-line block ×5, first 2 shown]
	v_lshl_add_u64 v[24:25], v[24:25], 2, s[0:1]
	v_lshl_add_u64 v[26:27], v[26:27], 2, s[0:1]
	;; [unrolled: 1-line block ×5, first 2 shown]
	global_load_dword v49, v[22:23], off
	global_load_dword v50, v[24:25], off
	;; [unrolled: 1-line block ×6, first 2 shown]
	v_add_u32_e32 v22, s72, v88
	v_add_u32_e32 v40, s81, v88
	;; [unrolled: 1-line block ×10, first 2 shown]
	v_ashrrev_i32_e32 v23, 31, v22
	v_ashrrev_i32_e32 v41, 31, v40
	v_ashrrev_i32_e32 v25, 31, v24
	v_ashrrev_i32_e32 v27, 31, v26
	v_ashrrev_i32_e32 v29, 31, v28
	v_ashrrev_i32_e32 v31, 31, v30
	v_ashrrev_i32_e32 v33, 31, v32
	v_ashrrev_i32_e32 v35, 31, v34
	v_ashrrev_i32_e32 v37, 31, v36
	v_ashrrev_i32_e32 v39, 31, v38
	v_lshl_add_u64 v[22:23], v[22:23], 2, s[0:1]
	v_lshl_add_u64 v[40:41], v[40:41], 2, s[0:1]
	v_add_u32_e32 v42, s82, v88
	v_add_u32_e32 v44, s83, v88
	;; [unrolled: 1-line block ×3, first 2 shown]
	v_lshl_add_u64 v[24:25], v[24:25], 2, s[0:1]
	v_lshl_add_u64 v[26:27], v[26:27], 2, s[0:1]
	;; [unrolled: 1-line block ×8, first 2 shown]
	global_load_dword v55, v[22:23], off
	global_load_dword v56, v[24:25], off
	;; [unrolled: 1-line block ×9, first 2 shown]
	s_nop 0
	global_load_dword v40, v[40:41], off
	v_add_u32_e32 v22, s64, v88
	v_ashrrev_i32_e32 v43, 31, v42
	v_ashrrev_i32_e32 v45, 31, v44
	;; [unrolled: 1-line block ×4, first 2 shown]
	v_add_u32_e32 v24, s65, v88
	v_add_u32_e32 v26, s66, v88
	;; [unrolled: 1-line block ×4, first 2 shown]
	v_lshl_add_u64 v[42:43], v[42:43], 2, s[0:1]
	v_lshl_add_u64 v[44:45], v[44:45], 2, s[0:1]
	;; [unrolled: 1-line block ×4, first 2 shown]
	v_ashrrev_i32_e32 v25, 31, v24
	v_ashrrev_i32_e32 v27, 31, v26
	;; [unrolled: 1-line block ×4, first 2 shown]
	v_lshl_add_u64 v[24:25], v[24:25], 2, s[0:1]
	v_lshl_add_u64 v[26:27], v[26:27], 2, s[0:1]
	;; [unrolled: 1-line block ×4, first 2 shown]
	v_add_u32_e32 v32, s92, v88
	v_add_u32_e32 v34, s85, v88
	;; [unrolled: 1-line block ×3, first 2 shown]
	v_ashrrev_i32_e32 v33, 31, v32
	v_ashrrev_i32_e32 v35, 31, v34
	;; [unrolled: 1-line block ×3, first 2 shown]
	v_lshl_add_u64 v[32:33], v[32:33], 2, s[0:1]
	s_waitcnt vmcnt(17)
	ds_write_b32 v89, v18
	s_waitcnt vmcnt(16)
	ds_write_b32 v89, v48 offset:264
	s_waitcnt vmcnt(15)
	ds_write_b32 v89, v49 offset:528
	;; [unrolled: 2-line block ×7, first 2 shown]
	global_load_dword v18, v[42:43], off
	global_load_dword v41, v[44:45], off
	s_nop 0
	global_load_dword v42, v[46:47], off
	global_load_dword v43, v[22:23], off
	;; [unrolled: 1-line block ×4, first 2 shown]
	s_nop 0
	global_load_dword v46, v[28:29], off
	global_load_dword v47, v[30:31], off
	v_add_u32_e32 v22, s87, v88
	v_ashrrev_i32_e32 v23, 31, v22
	v_add_u32_e32 v24, s88, v88
	v_add_u32_e32 v26, s89, v88
	;; [unrolled: 1-line block ×4, first 2 shown]
	v_lshl_add_u64 v[22:23], v[22:23], 2, s[0:1]
	v_ashrrev_i32_e32 v25, 31, v24
	v_ashrrev_i32_e32 v27, 31, v26
	v_ashrrev_i32_e32 v29, 31, v28
	v_ashrrev_i32_e32 v31, 31, v30
	v_lshl_add_u64 v[24:25], v[24:25], 2, s[0:1]
	v_lshl_add_u64 v[26:27], v[26:27], 2, s[0:1]
	v_lshl_add_u64 v[28:29], v[28:29], 2, s[0:1]
	v_lshl_add_u64 v[30:31], v[30:31], 2, s[0:1]
	v_lshl_add_u64 v[34:35], v[34:35], 2, s[0:1]
	v_lshl_add_u64 v[36:37], v[36:37], 2, s[0:1]
	global_load_dword v48, v[22:23], off
	global_load_dword v49, v[24:25], off
	global_load_dword v50, v[26:27], off
	global_load_dword v51, v[28:29], off
	global_load_dword v52, v[30:31], off
	global_load_dword v53, v[32:33], off
	global_load_dword v64, v[34:35], off
	global_load_dword v65, v[36:37], off
	v_add_u32_e32 v22, s94, v88
	v_ashrrev_i32_e32 v23, 31, v22
	v_add_u32_e32 v24, s95, v88
	v_add_u32_e32 v26, s96, v88
	v_add_u32_e32 v28, s97, v88
	v_add_u32_e32 v30, s98, v88
	v_add_u32_e32 v32, s99, v88
	v_add_u32_e32 v34, s24, v88
	v_add_u32_e32 v36, s25, v88
	v_lshl_add_u64 v[22:23], v[22:23], 2, s[0:1]
	v_ashrrev_i32_e32 v25, 31, v24
	v_ashrrev_i32_e32 v27, 31, v26
	v_ashrrev_i32_e32 v29, 31, v28
	v_ashrrev_i32_e32 v31, 31, v30
	v_ashrrev_i32_e32 v33, 31, v32
	v_ashrrev_i32_e32 v35, 31, v34
	v_ashrrev_i32_e32 v37, 31, v36
	v_lshl_add_u64 v[24:25], v[24:25], 2, s[0:1]
	v_lshl_add_u64 v[26:27], v[26:27], 2, s[0:1]
	v_lshl_add_u64 v[28:29], v[28:29], 2, s[0:1]
	v_lshl_add_u64 v[30:31], v[30:31], 2, s[0:1]
	v_lshl_add_u64 v[32:33], v[32:33], 2, s[0:1]
	v_lshl_add_u64 v[34:35], v[34:35], 2, s[0:1]
	v_lshl_add_u64 v[36:37], v[36:37], 2, s[0:1]
	global_load_dword v66, v[22:23], off
	global_load_dword v67, v[24:25], off
	global_load_dword v68, v[26:27], off
	global_load_dword v69, v[28:29], off
	global_load_dword v70, v[30:31], off
	global_load_dword v71, v[32:33], off
	global_load_dword v72, v[34:35], off
	global_load_dword v73, v[36:37], off
	v_add_u32_e32 v22, s22, v88
	v_ashrrev_i32_e32 v23, 31, v22
	v_add_u32_e32 v24, s23, v88
	v_add_u32_e32 v26, s11, v88
	v_add_u32_e32 v28, s28, v88
	v_add_u32_e32 v30, s29, v88
	v_add_u32_e32 v32, s30, v88
	v_add_u32_e32 v34, s31, v88
	v_add_u32_e32 v36, s26, v88
	v_lshl_add_u64 v[22:23], v[22:23], 2, s[0:1]
	v_ashrrev_i32_e32 v25, 31, v24
	v_ashrrev_i32_e32 v27, 31, v26
	v_ashrrev_i32_e32 v29, 31, v28
	v_ashrrev_i32_e32 v31, 31, v30
	v_ashrrev_i32_e32 v33, 31, v32
	v_ashrrev_i32_e32 v35, 31, v34
	v_ashrrev_i32_e32 v37, 31, v36
	v_lshl_add_u64 v[24:25], v[24:25], 2, s[0:1]
	;; [unrolled: 32-line block ×3, first 2 shown]
	v_lshl_add_u64 v[26:27], v[26:27], 2, s[0:1]
	v_lshl_add_u64 v[28:29], v[28:29], 2, s[0:1]
	v_lshl_add_u64 v[30:31], v[30:31], 2, s[0:1]
	v_lshl_add_u64 v[32:33], v[32:33], 2, s[0:1]
	v_lshl_add_u64 v[34:35], v[34:35], 2, s[0:1]
	v_lshl_add_u64 v[36:37], v[36:37], 2, s[0:1]
	global_load_dword v82, v[22:23], off
	global_load_dword v83, v[24:25], off
	;; [unrolled: 1-line block ×8, first 2 shown]
	v_add_u32_e32 v22, s41, v88
	v_ashrrev_i32_e32 v23, 31, v22
	v_add_u32_e32 v24, s42, v88
	v_add_u32_e32 v26, s43, v88
	;; [unrolled: 1-line block ×5, first 2 shown]
	v_lshl_add_u64 v[22:23], v[22:23], 2, s[0:1]
	v_ashrrev_i32_e32 v25, 31, v24
	v_ashrrev_i32_e32 v27, 31, v26
	;; [unrolled: 1-line block ×5, first 2 shown]
	v_lshl_add_u64 v[24:25], v[24:25], 2, s[0:1]
	v_lshl_add_u64 v[26:27], v[26:27], 2, s[0:1]
	v_lshl_add_u64 v[28:29], v[28:29], 2, s[0:1]
	v_lshl_add_u64 v[30:31], v[30:31], 2, s[0:1]
	v_lshl_add_u64 v[32:33], v[32:33], 2, s[0:1]
	global_load_dword v95, v[22:23], off
	global_load_dword v96, v[24:25], off
	global_load_dword v97, v[26:27], off
	global_load_dword v98, v[28:29], off
	global_load_dword v99, v[30:31], off
	global_load_dword v100, v[32:33], off
	s_waitcnt vmcnt(55)
	ds_write_b32 v89, v55 offset:2112
	s_waitcnt vmcnt(54)
	ds_write_b32 v89, v56 offset:2376
	s_waitcnt vmcnt(53)
	ds_write_b32 v89, v57 offset:2640
	s_waitcnt vmcnt(52)
	ds_write_b32 v89, v58 offset:2904
	s_waitcnt vmcnt(51)
	ds_write_b32 v89, v59 offset:3168
	s_waitcnt vmcnt(50)
	ds_write_b32 v89, v60 offset:3432
	s_waitcnt vmcnt(49)
	ds_write_b32 v89, v61 offset:3696
	s_waitcnt vmcnt(48)
	ds_write_b32 v89, v62 offset:3960
	ds_read_b64 v[38:39], v90
	ds_read_b64 v[34:35], v90 offset:32
	ds_read_b64 v[32:33], v90 offset:64
	ds_read_b64 v[30:31], v90 offset:96
	ds_read_b64 v[28:29], v90 offset:128
	ds_read_b64 v[26:27], v90 offset:160
	ds_read_b64 v[24:25], v90 offset:192
	ds_read_b64 v[22:23], v90 offset:224
	s_waitcnt vmcnt(47)
	ds_write_b32 v89, v63
	s_waitcnt vmcnt(46)
	ds_write_b32 v89, v40 offset:264
	s_waitcnt vmcnt(45)
	ds_write_b32 v89, v18 offset:528
	s_waitcnt vmcnt(44)
	ds_write_b32 v89, v41 offset:792
	s_waitcnt vmcnt(43)
	ds_write_b32 v89, v42 offset:1056
	s_waitcnt vmcnt(42)
	ds_write_b32 v89, v43 offset:1320
	s_waitcnt vmcnt(41)
	ds_write_b32 v89, v44 offset:1584
	s_waitcnt vmcnt(40)
	ds_write_b32 v89, v45 offset:1848
	s_waitcnt vmcnt(39)
	ds_write_b32 v89, v46 offset:2112
	s_waitcnt vmcnt(38)
	ds_write_b32 v89, v47 offset:2376
	s_waitcnt vmcnt(37)
	ds_write_b32 v89, v48 offset:2640
	s_waitcnt vmcnt(36)
	ds_write_b32 v89, v49 offset:2904
	s_waitcnt vmcnt(35)
	ds_write_b32 v89, v50 offset:3168
	s_waitcnt vmcnt(34)
	ds_write_b32 v89, v51 offset:3432
	s_waitcnt vmcnt(33)
	ds_write_b32 v89, v52 offset:3696
	s_waitcnt vmcnt(32)
	ds_write_b32 v89, v53 offset:3960
	ds_read_b64 v[54:55], v90
	ds_read_b64 v[52:53], v90 offset:32
	ds_read_b64 v[48:49], v90 offset:64
	ds_read_b64 v[46:47], v90 offset:96
	ds_read_b64 v[44:45], v90 offset:128
	ds_read_b64 v[42:43], v90 offset:160
	ds_read_b64 v[40:41], v90 offset:192
	ds_read_b64 v[36:37], v90 offset:224
	s_waitcnt vmcnt(31)
	ds_write_b32 v89, v64
	s_waitcnt vmcnt(30)
	ds_write_b32 v89, v65 offset:264
	s_waitcnt vmcnt(29)
	ds_write_b32 v89, v66 offset:528
	s_waitcnt vmcnt(28)
	ds_write_b32 v89, v67 offset:792
	s_waitcnt vmcnt(27)
	ds_write_b32 v89, v68 offset:1056
	s_waitcnt vmcnt(26)
	ds_write_b32 v89, v69 offset:1320
	s_waitcnt vmcnt(25)
	ds_write_b32 v89, v70 offset:1584
	s_waitcnt vmcnt(24)
	ds_write_b32 v89, v71 offset:1848
	;; [unrolled: 40-line block ×3, first 2 shown]
	s_waitcnt vmcnt(7)
	ds_write_b32 v89, v93 offset:2112
	s_waitcnt vmcnt(6)
	ds_write_b32 v89, v94 offset:2376
	;; [unrolled: 2-line block ×8, first 2 shown]
	ds_read_b64 v[84:85], v90
	ds_read_b64 v[82:83], v90 offset:32
	ds_read_b64 v[78:79], v90 offset:64
	;; [unrolled: 1-line block ×7, first 2 shown]
	v_readlane_b32 vcc_lo, v118, 11
	v_readlane_b32 vcc_hi, v118, 12
	s_andn2_b64 vcc, exec, vcc
	v_mov_b32_e32 v91, 0
	v_mov_b32_e32 v18, 0
	s_cbranch_vccnz .LBB141_9
; %bb.7:                                ;   in Loop: Header=BB141_6 Depth=1
	s_load_dword s47, s[36:37], 0x0
	v_mov_b32_e32 v18, 0
	v_mov_b32_e32 v91, 0
	s_waitcnt lgkmcnt(0)
	s_mul_hi_u32 vcc_lo, s47, s16
	s_add_i32 vcc_lo, s47, vcc_lo
	s_lshr_b32 vcc_lo, vcc_lo, s17
	s_cmp_ge_i32 vcc_lo, s13
	s_cbranch_scc1 .LBB141_9
; %bb.8:                                ;   in Loop: Header=BB141_6 Depth=1
	s_mul_i32 vcc_hi, vcc_lo, s18
	s_sub_i32 s47, s47, vcc_hi
	s_mul_i32 vcc_lo, vcc_lo, s20
	s_mul_i32 s47, s47, s9
	v_add_u32_e32 v18, vcc_lo, v88
	v_lshl_add_u32 v92, v18, 1, s47
	v_ashrrev_i32_e32 v93, 31, v92
	v_lshl_add_u64 v[92:93], v[92:93], 2, s[6:7]
	global_load_dwordx2 v[92:93], v[92:93], off
	s_waitcnt vmcnt(0)
	v_cvt_pk_bf16_f32 v91, v92, s0
	v_cvt_pk_bf16_f32 v18, v93, s0
.LBB141_9:                              ;   in Loop: Header=BB141_6 Depth=1
	v_readlane_b32 vcc_lo, v118, 13
	v_readlane_b32 vcc_hi, v118, 14
	v_mov_b32_e32 v92, 0
	s_andn2_b64 vcc, exec, vcc
	v_mov_b32_e32 v94, 0
	v_mov_b32_e32 v93, 0
	s_cbranch_vccnz .LBB141_12
; %bb.10:                               ;   in Loop: Header=BB141_6 Depth=1
	s_load_dword s47, s[36:37], 0x4
	v_mov_b32_e32 v93, 0
	v_mov_b32_e32 v94, 0
	s_waitcnt lgkmcnt(0)
	s_mul_hi_u32 vcc_lo, s47, s16
	s_add_i32 vcc_lo, s47, vcc_lo
	s_lshr_b32 vcc_lo, vcc_lo, s17
	s_cmp_ge_i32 vcc_lo, s13
	s_cbranch_scc1 .LBB141_12
; %bb.11:                               ;   in Loop: Header=BB141_6 Depth=1
	s_mul_i32 vcc_hi, vcc_lo, s18
	s_sub_i32 s47, s47, vcc_hi
	s_mul_i32 vcc_lo, vcc_lo, s20
	s_mul_i32 s47, s47, s9
	v_add_u32_e32 v93, vcc_lo, v88
	v_lshl_add_u32 v94, v93, 1, s47
	v_ashrrev_i32_e32 v95, 31, v94
	v_lshl_add_u64 v[94:95], v[94:95], 2, s[6:7]
	global_load_dwordx2 v[94:95], v[94:95], off
	s_waitcnt vmcnt(0)
	v_cvt_pk_bf16_f32 v94, v94, s0
	v_cvt_pk_bf16_f32 v93, v95, s0
.LBB141_12:                             ;   in Loop: Header=BB141_6 Depth=1
	v_readlane_b32 vcc_lo, v118, 15
	v_readlane_b32 vcc_hi, v118, 16
	s_andn2_b64 vcc, exec, vcc
	v_mov_b32_e32 v95, 0
	s_cbranch_vccnz .LBB141_15
; %bb.13:                               ;   in Loop: Header=BB141_6 Depth=1
	s_load_dword s47, s[36:37], 0x8
	v_mov_b32_e32 v95, 0
	v_mov_b32_e32 v92, 0
	s_waitcnt lgkmcnt(0)
	s_mul_hi_u32 vcc_lo, s47, s16
	s_add_i32 vcc_lo, s47, vcc_lo
	s_lshr_b32 vcc_lo, vcc_lo, s17
	s_cmp_ge_i32 vcc_lo, s13
	s_cbranch_scc1 .LBB141_15
; %bb.14:                               ;   in Loop: Header=BB141_6 Depth=1
	s_mul_i32 vcc_hi, vcc_lo, s18
	s_sub_i32 s47, s47, vcc_hi
	s_mul_i32 vcc_lo, vcc_lo, s20
	s_mul_i32 s47, s47, s9
	v_add_u32_e32 v92, vcc_lo, v88
	v_lshl_add_u32 v96, v92, 1, s47
	v_ashrrev_i32_e32 v97, 31, v96
	v_lshl_add_u64 v[96:97], v[96:97], 2, s[6:7]
	global_load_dwordx2 v[96:97], v[96:97], off
	s_waitcnt vmcnt(0)
	v_cvt_pk_bf16_f32 v92, v96, s0
	v_cvt_pk_bf16_f32 v95, v97, s0
.LBB141_15:                             ;   in Loop: Header=BB141_6 Depth=1
	v_readlane_b32 vcc_lo, v118, 17
	v_readlane_b32 vcc_hi, v118, 18
	v_mov_b32_e32 v96, 0
	s_andn2_b64 vcc, exec, vcc
	v_mov_b32_e32 v98, 0
	v_mov_b32_e32 v97, 0
	s_cbranch_vccnz .LBB141_18
; %bb.16:                               ;   in Loop: Header=BB141_6 Depth=1
	s_load_dword s47, s[36:37], 0xc
	v_mov_b32_e32 v97, 0
	v_mov_b32_e32 v98, 0
	s_waitcnt lgkmcnt(0)
	s_mul_hi_u32 vcc_lo, s47, s16
	s_add_i32 vcc_lo, s47, vcc_lo
	s_lshr_b32 vcc_lo, vcc_lo, s17
	s_cmp_ge_i32 vcc_lo, s13
	s_cbranch_scc1 .LBB141_18
; %bb.17:                               ;   in Loop: Header=BB141_6 Depth=1
	s_mul_i32 vcc_hi, vcc_lo, s18
	s_sub_i32 s47, s47, vcc_hi
	s_mul_i32 vcc_lo, vcc_lo, s20
	s_mul_i32 s47, s47, s9
	v_add_u32_e32 v97, vcc_lo, v88
	v_lshl_add_u32 v98, v97, 1, s47
	v_ashrrev_i32_e32 v99, 31, v98
	v_lshl_add_u64 v[98:99], v[98:99], 2, s[6:7]
	global_load_dwordx2 v[98:99], v[98:99], off
	s_waitcnt vmcnt(0)
	v_cvt_pk_bf16_f32 v98, v98, s0
	v_cvt_pk_bf16_f32 v97, v99, s0
.LBB141_18:                             ;   in Loop: Header=BB141_6 Depth=1
	v_readlane_b32 vcc_lo, v118, 19
	v_readlane_b32 vcc_hi, v118, 20
	s_andn2_b64 vcc, exec, vcc
	v_mov_b32_e32 v99, 0
	s_cbranch_vccnz .LBB141_21
; %bb.19:                               ;   in Loop: Header=BB141_6 Depth=1
	s_load_dword s47, s[36:37], 0x10
	v_mov_b32_e32 v99, 0
	v_mov_b32_e32 v96, 0
	s_waitcnt lgkmcnt(0)
	s_mul_hi_u32 vcc_lo, s47, s16
	s_add_i32 vcc_lo, s47, vcc_lo
	s_lshr_b32 vcc_lo, vcc_lo, s17
	s_cmp_ge_i32 vcc_lo, s13
	s_cbranch_scc1 .LBB141_21
; %bb.20:                               ;   in Loop: Header=BB141_6 Depth=1
	s_mul_i32 vcc_hi, vcc_lo, s18
	s_sub_i32 s47, s47, vcc_hi
	s_mul_i32 vcc_lo, vcc_lo, s20
	s_mul_i32 s47, s47, s9
	v_add_u32_e32 v96, vcc_lo, v88
	v_lshl_add_u32 v100, v96, 1, s47
	v_ashrrev_i32_e32 v101, 31, v100
	v_lshl_add_u64 v[100:101], v[100:101], 2, s[6:7]
	global_load_dwordx2 v[100:101], v[100:101], off
	s_waitcnt vmcnt(0)
	v_cvt_pk_bf16_f32 v96, v100, s0
	v_cvt_pk_bf16_f32 v99, v101, s0
.LBB141_21:                             ;   in Loop: Header=BB141_6 Depth=1
	v_readlane_b32 vcc_lo, v118, 21
	v_readlane_b32 vcc_hi, v118, 22
	v_mov_b32_e32 v100, 0
	s_andn2_b64 vcc, exec, vcc
	v_mov_b32_e32 v102, 0
	v_mov_b32_e32 v101, 0
	s_cbranch_vccnz .LBB141_24
; %bb.22:                               ;   in Loop: Header=BB141_6 Depth=1
	s_load_dword s47, s[36:37], 0x14
	v_mov_b32_e32 v101, 0
	v_mov_b32_e32 v102, 0
	s_waitcnt lgkmcnt(0)
	s_mul_hi_u32 vcc_lo, s47, s16
	s_add_i32 vcc_lo, s47, vcc_lo
	s_lshr_b32 vcc_lo, vcc_lo, s17
	s_cmp_ge_i32 vcc_lo, s13
	s_cbranch_scc1 .LBB141_24
; %bb.23:                               ;   in Loop: Header=BB141_6 Depth=1
	s_mul_i32 vcc_hi, vcc_lo, s18
	s_sub_i32 s47, s47, vcc_hi
	s_mul_i32 vcc_lo, vcc_lo, s20
	s_mul_i32 s47, s47, s9
	v_add_u32_e32 v101, vcc_lo, v88
	v_lshl_add_u32 v102, v101, 1, s47
	v_ashrrev_i32_e32 v103, 31, v102
	v_lshl_add_u64 v[102:103], v[102:103], 2, s[6:7]
	global_load_dwordx2 v[102:103], v[102:103], off
	s_waitcnt vmcnt(0)
	v_cvt_pk_bf16_f32 v102, v102, s0
	v_cvt_pk_bf16_f32 v101, v103, s0
.LBB141_24:                             ;   in Loop: Header=BB141_6 Depth=1
	s_andn2_b64 vcc, exec, s[48:49]
	v_mov_b32_e32 v103, 0
	s_cbranch_vccnz .LBB141_27
; %bb.25:                               ;   in Loop: Header=BB141_6 Depth=1
	s_load_dword s47, s[36:37], 0x18
	v_mov_b32_e32 v103, 0
	v_mov_b32_e32 v100, 0
	s_waitcnt lgkmcnt(0)
	s_mul_hi_u32 vcc_lo, s47, s16
	s_add_i32 vcc_lo, s47, vcc_lo
	s_lshr_b32 vcc_lo, vcc_lo, s17
	s_cmp_ge_i32 vcc_lo, s13
	s_cbranch_scc1 .LBB141_27
; %bb.26:                               ;   in Loop: Header=BB141_6 Depth=1
	s_mul_i32 vcc_hi, vcc_lo, s18
	s_sub_i32 s47, s47, vcc_hi
	s_mul_i32 vcc_lo, vcc_lo, s20
	s_mul_i32 s47, s47, s9
	v_add_u32_e32 v100, vcc_lo, v88
	v_lshl_add_u32 v104, v100, 1, s47
	v_ashrrev_i32_e32 v105, 31, v104
	v_lshl_add_u64 v[104:105], v[104:105], 2, s[6:7]
	global_load_dwordx2 v[104:105], v[104:105], off
	s_waitcnt vmcnt(0)
	v_cvt_pk_bf16_f32 v100, v104, s0
	v_cvt_pk_bf16_f32 v103, v105, s0
.LBB141_27:                             ;   in Loop: Header=BB141_6 Depth=1
	v_mov_b32_e32 v104, 0
	s_andn2_b64 vcc, exec, s[50:51]
	v_mov_b32_e32 v106, 0
	v_mov_b32_e32 v105, 0
	s_cbranch_vccnz .LBB141_30
; %bb.28:                               ;   in Loop: Header=BB141_6 Depth=1
	s_load_dword s47, s[36:37], 0x1c
	v_mov_b32_e32 v105, 0
	v_mov_b32_e32 v106, 0
	s_waitcnt lgkmcnt(0)
	s_mul_hi_u32 vcc_lo, s47, s16
	s_add_i32 vcc_lo, s47, vcc_lo
	s_lshr_b32 vcc_lo, vcc_lo, s17
	s_cmp_ge_i32 vcc_lo, s13
	s_cbranch_scc1 .LBB141_30
; %bb.29:                               ;   in Loop: Header=BB141_6 Depth=1
	s_mul_i32 vcc_hi, vcc_lo, s18
	s_sub_i32 s47, s47, vcc_hi
	s_mul_i32 vcc_lo, vcc_lo, s20
	s_mul_i32 s47, s47, s9
	v_add_u32_e32 v105, vcc_lo, v88
	v_lshl_add_u32 v106, v105, 1, s47
	v_ashrrev_i32_e32 v107, 31, v106
	v_lshl_add_u64 v[106:107], v[106:107], 2, s[6:7]
	global_load_dwordx2 v[106:107], v[106:107], off
	s_waitcnt vmcnt(0)
	v_cvt_pk_bf16_f32 v106, v106, s0
	v_cvt_pk_bf16_f32 v105, v107, s0
.LBB141_30:                             ;   in Loop: Header=BB141_6 Depth=1
	s_andn2_b64 vcc, exec, s[52:53]
	v_mov_b32_e32 v107, 0
	s_cbranch_vccnz .LBB141_33
; %bb.31:                               ;   in Loop: Header=BB141_6 Depth=1
	s_load_dword s47, s[36:37], 0x20
	v_mov_b32_e32 v107, 0
	v_mov_b32_e32 v104, 0
	s_waitcnt lgkmcnt(0)
	s_mul_hi_u32 vcc_lo, s47, s16
	s_add_i32 vcc_lo, s47, vcc_lo
	s_lshr_b32 vcc_lo, vcc_lo, s17
	s_cmp_ge_i32 vcc_lo, s13
	s_cbranch_scc1 .LBB141_33
; %bb.32:                               ;   in Loop: Header=BB141_6 Depth=1
	s_mul_i32 vcc_hi, vcc_lo, s18
	s_sub_i32 s47, s47, vcc_hi
	s_mul_i32 vcc_lo, vcc_lo, s20
	s_mul_i32 s47, s47, s9
	v_add_u32_e32 v104, vcc_lo, v88
	v_lshl_add_u32 v108, v104, 1, s47
	v_ashrrev_i32_e32 v109, 31, v108
	v_lshl_add_u64 v[108:109], v[108:109], 2, s[6:7]
	global_load_dwordx2 v[108:109], v[108:109], off
	s_waitcnt vmcnt(0)
	v_cvt_pk_bf16_f32 v104, v108, s0
	v_cvt_pk_bf16_f32 v107, v109, s0
.LBB141_33:                             ;   in Loop: Header=BB141_6 Depth=1
	v_mov_b32_e32 v108, 0
	s_andn2_b64 vcc, exec, s[54:55]
	;; [unrolled: 56-line block ×3, first 2 shown]
	v_mov_b32_e32 v114, 0
	v_mov_b32_e32 v113, 0
	s_cbranch_vccnz .LBB141_42
; %bb.40:                               ;   in Loop: Header=BB141_6 Depth=1
	s_load_dword s47, s[36:37], 0x2c
	v_mov_b32_e32 v113, 0
	v_mov_b32_e32 v114, 0
	s_waitcnt lgkmcnt(0)
	s_mul_hi_u32 vcc_lo, s47, s16
	s_add_i32 vcc_lo, s47, vcc_lo
	s_lshr_b32 vcc_lo, vcc_lo, s17
	s_cmp_ge_i32 vcc_lo, s13
	s_cbranch_scc1 .LBB141_42
; %bb.41:                               ;   in Loop: Header=BB141_6 Depth=1
	s_mul_i32 vcc_hi, vcc_lo, s18
	s_sub_i32 s47, s47, vcc_hi
	s_mul_i32 vcc_lo, vcc_lo, s20
	s_mul_i32 s47, s47, s9
	v_add_u32_e32 v113, vcc_lo, v88
	v_lshl_add_u32 v114, v113, 1, s47
	v_ashrrev_i32_e32 v115, 31, v114
	v_lshl_add_u64 v[114:115], v[114:115], 2, s[6:7]
	global_load_dwordx2 v[114:115], v[114:115], off
	s_waitcnt vmcnt(0)
	v_cvt_pk_bf16_f32 v114, v114, s0
	v_cvt_pk_bf16_f32 v113, v115, s0
.LBB141_42:                             ;   in Loop: Header=BB141_6 Depth=1
	s_andn2_b64 vcc, exec, s[60:61]
	v_mov_b32_e32 v115, 0
	s_cbranch_vccnz .LBB141_5
; %bb.43:                               ;   in Loop: Header=BB141_6 Depth=1
	s_load_dword s47, s[36:37], 0x30
	v_mov_b32_e32 v115, 0
	v_mov_b32_e32 v112, 0
	s_waitcnt lgkmcnt(0)
	s_mul_hi_u32 vcc_lo, s47, s16
	s_add_i32 vcc_lo, s47, vcc_lo
	s_lshr_b32 vcc_lo, vcc_lo, s17
	s_cmp_ge_i32 vcc_lo, s13
	s_cbranch_scc1 .LBB141_5
; %bb.44:                               ;   in Loop: Header=BB141_6 Depth=1
	s_mul_i32 vcc_hi, vcc_lo, s18
	s_sub_i32 s47, s47, vcc_hi
	s_mul_i32 vcc_lo, vcc_lo, s20
	s_mul_i32 s47, s47, s9
	v_add_u32_e32 v112, vcc_lo, v88
	v_lshl_add_u32 v116, v112, 1, s47
	v_ashrrev_i32_e32 v117, 31, v116
	v_lshl_add_u64 v[116:117], v[116:117], 2, s[6:7]
	global_load_dwordx2 v[116:117], v[116:117], off
	s_waitcnt vmcnt(0)
	v_cvt_pk_bf16_f32 v112, v116, s0
	v_cvt_pk_bf16_f32 v115, v117, s0
	s_branch .LBB141_5
.LBB141_45:
	s_or_b64 exec, exec, s[4:5]
	v_readlane_b32 s24, v118, 6
	v_readlane_b32 s30, v118, 9
	;; [unrolled: 1-line block ×12, first 2 shown]
.LBB141_46:
	s_or_b64 exec, exec, s[36:37]
	s_lshl_b64 s[0:1], s[30:31], 2
	s_add_u32 s4, s22, s0
	v_lshl_add_u32 v18, v86, 2, 0
	v_mul_u32_u24_e32 v19, 0x708, v87
	v_and_b32_e32 v20, 0x3f0, v17
	s_addc_u32 s5, s23, s1
	v_add3_u32 v18, v18, v19, v20
	s_barrier
	ds_write2_b32 v18, v8, v9 offset1:1
	ds_write2_b32 v18, v10, v11 offset0:2 offset1:3
	ds_write2_b32 v18, v0, v1 offset0:16 offset1:17
	;; [unrolled: 1-line block ×7, first 2 shown]
	s_cmp_gt_i32 s14, 0
	v_add_u32_e32 v0, s28, v16
	s_cselect_b64 s[6:7], -1, 0
	v_cmp_gt_i32_e64 s[0:1], s26, v0
	v_cmp_gt_u32_e32 vcc, 13, v16
	s_and_b64 s[0:1], s[6:7], s[0:1]
	v_lshl_add_u32 v3, v17, 2, 0
	v_add_u32_e32 v2, s11, v17
	v_mul_u32_u24_e32 v4, 0x708, v16
	s_and_b64 s[2:3], vcc, s[0:1]
	s_waitcnt lgkmcnt(0)
	s_barrier
	s_and_saveexec_b64 s[0:1], s[2:3]
	s_cbranch_execz .LBB141_49
; %bb.47:
	v_ashrrev_i32_e32 v1, 31, v0
	v_lshl_add_u64 v[6:7], v[0:1], 2, s[4:5]
	global_load_dword v1, v[6:7], off
	s_waitcnt vmcnt(0)
	v_mul_hi_u32 v5, v1, s19
	v_add_u32_e32 v5, v1, v5
	v_lshrrev_b32_e32 v5, s24, v5
	v_cmp_gt_i32_e32 vcc, s13, v5
	s_and_b64 exec, exec, vcc
	s_cbranch_execz .LBB141_49
; %bb.48:
	v_add_u32_e32 v12, v3, v4
	ds_read2st64_b32 v[6:7], v12 offset1:1
	ds_read2st64_b32 v[8:9], v12 offset0:2 offset1:3
	ds_read2st64_b32 v[10:11], v12 offset0:4 offset1:5
	ds_read_b32 v12, v12 offset:1536
	v_mul_lo_u32 v13, v5, s25
	v_sub_u32_e32 v1, v1, v13
	v_mul_lo_u32 v1, v1, s10
	s_waitcnt lgkmcnt(3)
	v_add_f32_e32 v6, 0, v6
	v_add_f32_e32 v6, v6, v7
	s_waitcnt lgkmcnt(2)
	v_add_f32_e32 v6, v6, v8
	v_add_f32_e32 v6, v6, v9
	;; [unrolled: 3-line block ×3, first 2 shown]
	v_mul_lo_u32 v5, v5, s21
	v_readlane_b32 s2, v118, 0
	s_waitcnt lgkmcnt(0)
	v_add_f32_e32 v8, v6, v12
	v_add3_u32 v6, v2, v5, v1
	v_mov_b32_e32 v7, 0
	v_readlane_b32 s3, v118, 1
	s_nop 1
	v_lshl_add_u64 v[6:7], v[6:7], 2, s[2:3]
	global_store_dword v[6:7], v8, off
.LBB141_49:
	s_or_b64 exec, exec, s[0:1]
	v_cmp_gt_u32_e32 vcc, 6, v16
	s_and_saveexec_b64 s[0:1], vcc
	s_cbranch_execz .LBB141_53
; %bb.50:
	v_add_u32_e32 v0, 7, v0
	v_cmp_gt_i32_e32 vcc, s26, v0
	s_and_b64 s[0:1], s[6:7], vcc
	s_and_b64 exec, exec, s[0:1]
	s_cbranch_execz .LBB141_53
; %bb.51:
	s_ashr_i32 s29, s28, 31
	v_mov_b32_e32 v17, 0
	v_lshl_add_u64 v[0:1], v[16:17], 0, s[28:29]
	v_lshl_add_u64 v[0:1], v[0:1], 2, s[4:5]
	global_load_dword v0, v[0:1], off offset:28
	s_waitcnt vmcnt(0)
	v_mul_hi_u32 v1, v0, s19
	v_add_u32_e32 v1, v0, v1
	v_lshrrev_b32_e32 v1, s24, v1
	v_cmp_gt_i32_e32 vcc, s13, v1
	s_and_b64 exec, exec, vcc
	s_cbranch_execz .LBB141_53
; %bb.52:
	v_add_u32_e32 v3, v4, v3
	v_add_u32_e32 v8, 56, v3
	ds_read2st64_b32 v[4:5], v8 offset0:49 offset1:50
	ds_read2st64_b32 v[6:7], v8 offset0:51 offset1:52
	ds_read_b32 v3, v3 offset:14136
	ds_read2st64_b32 v[8:9], v8 offset0:53 offset1:54
	v_mul_lo_u32 v10, v1, s25
	v_sub_u32_e32 v0, v0, v10
	v_mul_lo_u32 v0, v0, s10
	s_waitcnt lgkmcnt(3)
	v_add_f32_e32 v4, 0, v4
	v_add_f32_e32 v4, v4, v5
	s_waitcnt lgkmcnt(2)
	v_add_f32_e32 v4, v4, v6
	v_add_f32_e32 v4, v4, v7
	s_waitcnt lgkmcnt(0)
	v_add_f32_e32 v4, v4, v8
	v_mul_lo_u32 v1, v1, s21
	v_readlane_b32 s0, v118, 0
	v_add_f32_e32 v4, v4, v9
	v_add3_u32 v16, v2, v1, v0
	v_readlane_b32 s1, v118, 1
	v_add_f32_e32 v3, v4, v3
	s_nop 0
	v_lshl_add_u64 v[0:1], v[16:17], 2, s[0:1]
	global_store_dword v[0:1], v3, off
.LBB141_53:
	s_endpgm
	.section	.rodata,"a",@progbits
	.p2align	6, 0x0
	.amdhsa_kernel _ZL13mul_mat_f_idsI15__hip_bfloat162Li64ELi13ELi7EEvPKT_PKfPKiS7_S7_Pfiiiiiiiiiiiiii15HIP_vector_typeIjLj3EESA_
		.amdhsa_group_segment_fixed_size 0
		.amdhsa_private_segment_fixed_size 0
		.amdhsa_kernarg_size 128
		.amdhsa_user_sgpr_count 2
		.amdhsa_user_sgpr_dispatch_ptr 0
		.amdhsa_user_sgpr_queue_ptr 0
		.amdhsa_user_sgpr_kernarg_segment_ptr 1
		.amdhsa_user_sgpr_dispatch_id 0
		.amdhsa_user_sgpr_kernarg_preload_length 0
		.amdhsa_user_sgpr_kernarg_preload_offset 0
		.amdhsa_user_sgpr_private_segment_size 0
		.amdhsa_uses_dynamic_stack 0
		.amdhsa_enable_private_segment 0
		.amdhsa_system_sgpr_workgroup_id_x 1
		.amdhsa_system_sgpr_workgroup_id_y 1
		.amdhsa_system_sgpr_workgroup_id_z 1
		.amdhsa_system_sgpr_workgroup_info 0
		.amdhsa_system_vgpr_workitem_id 1
		.amdhsa_next_free_vgpr 119
		.amdhsa_next_free_sgpr 100
		.amdhsa_accum_offset 120
		.amdhsa_reserve_vcc 1
		.amdhsa_float_round_mode_32 0
		.amdhsa_float_round_mode_16_64 0
		.amdhsa_float_denorm_mode_32 3
		.amdhsa_float_denorm_mode_16_64 3
		.amdhsa_dx10_clamp 1
		.amdhsa_ieee_mode 1
		.amdhsa_fp16_overflow 0
		.amdhsa_tg_split 0
		.amdhsa_exception_fp_ieee_invalid_op 0
		.amdhsa_exception_fp_denorm_src 0
		.amdhsa_exception_fp_ieee_div_zero 0
		.amdhsa_exception_fp_ieee_overflow 0
		.amdhsa_exception_fp_ieee_underflow 0
		.amdhsa_exception_fp_ieee_inexact 0
		.amdhsa_exception_int_div_zero 0
	.end_amdhsa_kernel
	.section	.text._ZL13mul_mat_f_idsI15__hip_bfloat162Li64ELi13ELi7EEvPKT_PKfPKiS7_S7_Pfiiiiiiiiiiiiii15HIP_vector_typeIjLj3EESA_,"axG",@progbits,_ZL13mul_mat_f_idsI15__hip_bfloat162Li64ELi13ELi7EEvPKT_PKfPKiS7_S7_Pfiiiiiiiiiiiiii15HIP_vector_typeIjLj3EESA_,comdat
.Lfunc_end141:
	.size	_ZL13mul_mat_f_idsI15__hip_bfloat162Li64ELi13ELi7EEvPKT_PKfPKiS7_S7_Pfiiiiiiiiiiiiii15HIP_vector_typeIjLj3EESA_, .Lfunc_end141-_ZL13mul_mat_f_idsI15__hip_bfloat162Li64ELi13ELi7EEvPKT_PKfPKiS7_S7_Pfiiiiiiiiiiiiii15HIP_vector_typeIjLj3EESA_
                                        ; -- End function
	.set _ZL13mul_mat_f_idsI15__hip_bfloat162Li64ELi13ELi7EEvPKT_PKfPKiS7_S7_Pfiiiiiiiiiiiiii15HIP_vector_typeIjLj3EESA_.num_vgpr, 119
	.set _ZL13mul_mat_f_idsI15__hip_bfloat162Li64ELi13ELi7EEvPKT_PKfPKiS7_S7_Pfiiiiiiiiiiiiii15HIP_vector_typeIjLj3EESA_.num_agpr, 0
	.set _ZL13mul_mat_f_idsI15__hip_bfloat162Li64ELi13ELi7EEvPKT_PKfPKiS7_S7_Pfiiiiiiiiiiiiii15HIP_vector_typeIjLj3EESA_.numbered_sgpr, 100
	.set _ZL13mul_mat_f_idsI15__hip_bfloat162Li64ELi13ELi7EEvPKT_PKfPKiS7_S7_Pfiiiiiiiiiiiiii15HIP_vector_typeIjLj3EESA_.num_named_barrier, 0
	.set _ZL13mul_mat_f_idsI15__hip_bfloat162Li64ELi13ELi7EEvPKT_PKfPKiS7_S7_Pfiiiiiiiiiiiiii15HIP_vector_typeIjLj3EESA_.private_seg_size, 0
	.set _ZL13mul_mat_f_idsI15__hip_bfloat162Li64ELi13ELi7EEvPKT_PKfPKiS7_S7_Pfiiiiiiiiiiiiii15HIP_vector_typeIjLj3EESA_.uses_vcc, 1
	.set _ZL13mul_mat_f_idsI15__hip_bfloat162Li64ELi13ELi7EEvPKT_PKfPKiS7_S7_Pfiiiiiiiiiiiiii15HIP_vector_typeIjLj3EESA_.uses_flat_scratch, 0
	.set _ZL13mul_mat_f_idsI15__hip_bfloat162Li64ELi13ELi7EEvPKT_PKfPKiS7_S7_Pfiiiiiiiiiiiiii15HIP_vector_typeIjLj3EESA_.has_dyn_sized_stack, 0
	.set _ZL13mul_mat_f_idsI15__hip_bfloat162Li64ELi13ELi7EEvPKT_PKfPKiS7_S7_Pfiiiiiiiiiiiiii15HIP_vector_typeIjLj3EESA_.has_recursion, 0
	.set _ZL13mul_mat_f_idsI15__hip_bfloat162Li64ELi13ELi7EEvPKT_PKfPKiS7_S7_Pfiiiiiiiiiiiiii15HIP_vector_typeIjLj3EESA_.has_indirect_call, 0
	.section	.AMDGPU.csdata,"",@progbits
; Kernel info:
; codeLenInByte = 6704
; TotalNumSgprs: 106
; NumVgprs: 119
; NumAgprs: 0
; TotalNumVgprs: 119
; ScratchSize: 0
; MemoryBound: 0
; FloatMode: 240
; IeeeMode: 1
; LDSByteSize: 0 bytes/workgroup (compile time only)
; SGPRBlocks: 13
; VGPRBlocks: 14
; NumSGPRsForWavesPerEU: 106
; NumVGPRsForWavesPerEU: 119
; AccumOffset: 120
; Occupancy: 4
; WaveLimiterHint : 1
; COMPUTE_PGM_RSRC2:SCRATCH_EN: 0
; COMPUTE_PGM_RSRC2:USER_SGPR: 2
; COMPUTE_PGM_RSRC2:TRAP_HANDLER: 0
; COMPUTE_PGM_RSRC2:TGID_X_EN: 1
; COMPUTE_PGM_RSRC2:TGID_Y_EN: 1
; COMPUTE_PGM_RSRC2:TGID_Z_EN: 1
; COMPUTE_PGM_RSRC2:TIDIG_COMP_CNT: 1
; COMPUTE_PGM_RSRC3_GFX90A:ACCUM_OFFSET: 29
; COMPUTE_PGM_RSRC3_GFX90A:TG_SPLIT: 0
	.section	.text._ZL9mul_mat_fI15__hip_bfloat162Li64ELi13ELi7ELb1EEvPKT_PKfPKiPfiiiiiiiiiiiiiiii,"axG",@progbits,_ZL9mul_mat_fI15__hip_bfloat162Li64ELi13ELi7ELb1EEvPKT_PKfPKiPfiiiiiiiiiiiiiiii,comdat
	.globl	_ZL9mul_mat_fI15__hip_bfloat162Li64ELi13ELi7ELb1EEvPKT_PKfPKiPfiiiiiiiiiiiiiiii ; -- Begin function _ZL9mul_mat_fI15__hip_bfloat162Li64ELi13ELi7ELb1EEvPKT_PKfPKiPfiiiiiiiiiiiiiiii
	.p2align	8
	.type	_ZL9mul_mat_fI15__hip_bfloat162Li64ELi13ELi7ELb1EEvPKT_PKfPKiPfiiiiiiiiiiiiiiii,@function
_ZL9mul_mat_fI15__hip_bfloat162Li64ELi13ELi7ELb1EEvPKT_PKfPKiPfiiiiiiiiiiiiiiii: ; @_ZL9mul_mat_fI15__hip_bfloat162Li64ELi13ELi7ELb1EEvPKT_PKfPKiPfiiiiiiiiiiiiiiii
; %bb.0:
	s_load_dwordx8 s[36:43], s[0:1], 0x20
	s_mov_b32 s22, s4
	s_load_dwordx2 s[8:9], s[0:1], 0x10
	v_and_b32_e32 v16, 0x3ff, v0
	v_bfe_u32 v17, v0, 10, 10
	s_waitcnt lgkmcnt(0)
	s_add_i32 s4, s37, 12
	s_mul_hi_i32 s4, s4, 0x4ec4ec4f
	s_lshr_b32 s5, s4, 31
	s_ashr_i32 s4, s4, 2
	s_add_i32 s4, s4, s5
	v_cvt_f32_u32_e32 v1, s4
	s_load_dwordx4 s[44:47], s[0:1], 0x44
	s_load_dword s5, s[0:1], 0x64
	s_add_u32 s12, s0, 0x60
	s_addc_u32 s13, s1, 0
	v_rcp_iflag_f32_e32 v1, v1
	s_sub_i32 s6, 0, s4
	v_mul_f32_e32 v1, 0x4f7ffffe, v1
	v_cvt_u32_f32_e32 v1, v1
	v_mul_lo_u32 v2, s6, v1
	v_mul_hi_u32 v2, v1, v2
	v_add_u32_e32 v1, v1, v2
	s_waitcnt lgkmcnt(0)
	v_mul_hi_u32 v1, s5, v1
	v_mul_lo_u32 v2, v1, s4
	v_sub_u32_e32 v2, s5, v2
	v_add_u32_e32 v3, 1, v1
	v_subrev_u32_e32 v4, s4, v2
	v_cmp_le_u32_e32 vcc, s4, v2
	s_nop 1
	v_cndmask_b32_e32 v1, v1, v3, vcc
	v_cndmask_b32_e32 v2, v2, v4, vcc
	v_add_u32_e32 v3, 1, v1
	v_cmp_le_u32_e32 vcc, s4, v2
	s_abs_i32 s4, s47
	s_sub_i32 s5, 0, s4
	v_cndmask_b32_e32 v1, v1, v3, vcc
	v_cvt_f32_u32_e32 v2, v1
	v_cvt_f32_u32_e32 v3, s4
	v_cmp_eq_u32_e32 vcc, 0, v16
	v_rcp_iflag_f32_e32 v2, v2
	v_rcp_iflag_f32_e32 v3, v3
	v_mul_f32_e32 v2, 0x4f7ffffe, v2
	v_cvt_u32_f32_e32 v2, v2
	v_mul_f32_e32 v3, 0x4f7ffffe, v3
	v_cvt_u32_f32_e32 v8, v3
	v_sub_u32_e32 v3, 0, v1
	v_mul_lo_u32 v3, v3, v2
	v_mul_hi_u32 v3, v2, v3
	v_add_u32_e32 v2, v2, v3
	v_mul_hi_u32 v2, s3, v2
	s_and_saveexec_b64 s[6:7], vcc
; %bb.1:
	v_mov_b32_e32 v3, 0x100
	v_lshl_add_u32 v3, v17, 2, v3
	v_mov_b32_e32 v4, -1
	ds_write_b32 v3, v4
; %bb.2:
	s_or_b64 exec, exec, s[6:7]
	v_mul_lo_u32 v3, v2, v1
	v_sub_u32_e32 v3, s3, v3
	v_add_u32_e32 v4, 1, v2
	v_sub_u32_e32 v5, v3, v1
	v_cmp_ge_u32_e64 s[6:7], v3, v1
	v_mul_lo_u32 v9, s5, v8
	s_nop 0
	v_cndmask_b32_e64 v2, v2, v4, s[6:7]
	v_cndmask_b32_e64 v3, v3, v5, s[6:7]
	v_add_u32_e32 v4, 1, v2
	v_cmp_ge_u32_e64 s[6:7], v3, v1
	s_nop 1
	v_cndmask_b32_e64 v2, v2, v4, s[6:7]
	v_mul_lo_u32 v94, v2, 13
	v_mul_lo_u32 v1, v2, v1
	v_mul_hi_i32 v3, v94, s43
	v_mul_lo_u32 v2, v94, s43
	v_sub_u32_e32 v18, s3, v1
	v_lshlrev_b64 v[2:3], 2, v[2:3]
	v_add_u32_e32 v1, v17, v94
	v_lshl_add_u64 v[2:3], s[8:9], 0, v[2:3]
	v_cmp_gt_i32_e64 s[6:7], s38, v16
	v_cmp_gt_i32_e64 s[24:25], s37, v1
	v_mov_b32_e32 v1, 0
	s_and_saveexec_b64 s[14:15], s[24:25]
	s_cbranch_execz .LBB142_10
; %bb.3:
	v_mov_b32_e32 v1, 0
	s_and_saveexec_b64 s[16:17], s[6:7]
	s_cbranch_execz .LBB142_9
; %bb.4:
	v_mul_lo_u32 v4, v17, s43
	v_ashrrev_i32_e32 v5, 31, v4
	v_mov_b32_e32 v1, 0x100
	v_lshl_add_u64 v[4:5], v[4:5], 2, v[2:3]
	v_lshl_add_u32 v10, v17, 2, v1
	v_mul_lo_u32 v6, v16, s42
	s_lshl_b32 s3, s42, 6
	v_mov_b32_e32 v1, 0
	s_mov_b64 s[18:19], 0
	v_mov_b32_e32 v11, v16
	s_branch .LBB142_6
.LBB142_5:                              ;   in Loop: Header=BB142_6 Depth=1
	s_or_b64 exec, exec, s[20:21]
	v_add_u32_e32 v11, 64, v11
	v_cmp_le_i32_e64 s[10:11], s38, v11
	s_xor_b64 s[8:9], s[8:9], -1
	s_or_b64 s[8:9], s[8:9], s[10:11]
	s_and_b64 s[8:9], exec, s[8:9]
	s_or_b64 s[18:19], s[8:9], s[18:19]
	v_add_u32_e32 v6, s3, v6
	s_andn2_b64 exec, exec, s[18:19]
	s_cbranch_execz .LBB142_8
.LBB142_6:                              ; =>This Inner Loop Header: Depth=1
	v_ashrrev_i32_e32 v7, 31, v6
	v_lshl_add_u64 v[12:13], v[6:7], 2, v[4:5]
	global_load_dword v7, v[12:13], off
	s_waitcnt vmcnt(0)
	v_cmp_ne_u32_e64 s[8:9], v7, v18
	v_cmp_eq_u32_e64 s[10:11], v7, v18
	s_and_saveexec_b64 s[20:21], s[10:11]
	s_cbranch_execz .LBB142_5
; %bb.7:                                ;   in Loop: Header=BB142_6 Depth=1
	v_mov_b32_e32 v1, 1
	ds_write_b32 v10, v11
	s_branch .LBB142_5
.LBB142_8:
	s_or_b64 exec, exec, s[18:19]
.LBB142_9:
	s_or_b64 exec, exec, s[16:17]
.LBB142_10:
	s_or_b64 exec, exec, s[14:15]
	v_mul_hi_u32 v4, v8, v9
	s_and_saveexec_b64 s[8:9], vcc
; %bb.11:
	v_mov_b32_e32 v5, 0x100
	v_lshl_add_u32 v5, v17, 2, v5
	v_mov_b32_e32 v6, -1
	ds_write_b32 v5, v6 offset:28
; %bb.12:
	s_or_b64 exec, exec, s[8:9]
	s_load_dwordx4 s[28:31], s[0:1], 0x54
	v_add_u32_e32 v95, 7, v17
	s_abs_i32 s3, s22
	v_add_u32_e32 v6, v8, v4
	v_add_u32_e32 v4, v95, v94
	v_cmp_gt_i32_e64 s[10:11], s37, v4
	s_mov_b64 s[8:9], exec
                                        ; implicit-def: $vgpr109 : SGPR spill to VGPR lane
	s_nop 0
	v_writelane_b32 v109, s10, 0
	s_nop 1
	v_writelane_b32 v109, s11, 1
	s_and_b64 s[10:11], s[8:9], s[10:11]
	s_mov_b64 exec, s[10:11]
	s_cbranch_execz .LBB142_20
; %bb.13:
	s_and_saveexec_b64 s[10:11], s[6:7]
	s_cbranch_execz .LBB142_19
; %bb.14:
	v_mul_lo_u32 v4, v95, s43
	v_ashrrev_i32_e32 v5, 31, v4
	v_lshl_add_u64 v[2:3], v[4:5], 2, v[2:3]
	v_mov_b32_e32 v4, 0x100
	v_lshl_add_u32 v7, v17, 2, v4
	v_mul_lo_u32 v4, v16, s42
	s_lshl_b32 s5, s42, 6
	s_mov_b64 s[14:15], 0
	v_mov_b32_e32 v8, v16
	s_branch .LBB142_16
.LBB142_15:                             ;   in Loop: Header=BB142_16 Depth=1
	s_or_b64 exec, exec, s[16:17]
	v_add_u32_e32 v8, 64, v8
	v_cmp_le_i32_e64 s[6:7], s38, v8
	s_xor_b64 s[16:17], vcc, -1
	s_or_b64 s[6:7], s[16:17], s[6:7]
	s_and_b64 s[6:7], exec, s[6:7]
	s_or_b64 s[14:15], s[6:7], s[14:15]
	v_add_u32_e32 v4, s5, v4
	s_andn2_b64 exec, exec, s[14:15]
	s_cbranch_execz .LBB142_18
.LBB142_16:                             ; =>This Inner Loop Header: Depth=1
	v_ashrrev_i32_e32 v5, 31, v4
	v_lshl_add_u64 v[10:11], v[4:5], 2, v[2:3]
	global_load_dword v5, v[10:11], off
	s_waitcnt vmcnt(0)
	v_cmp_ne_u32_e32 vcc, v5, v18
	v_cmp_eq_u32_e64 s[6:7], v5, v18
	s_and_saveexec_b64 s[16:17], s[6:7]
	s_cbranch_execz .LBB142_15
; %bb.17:                               ;   in Loop: Header=BB142_16 Depth=1
	v_mov_b32_e32 v1, 1
	ds_write_b32 v7, v8 offset:28
	s_branch .LBB142_15
.LBB142_18:
	s_or_b64 exec, exec, s[14:15]
.LBB142_19:
	s_or_b64 exec, exec, s[10:11]
.LBB142_20:
	s_or_b64 exec, exec, s[8:9]
	s_load_dwordx2 s[6:7], s[12:13], 0xc
	s_load_dwordx2 s[8:9], s[0:1], 0x8
	s_load_dwordx2 s[10:11], s[0:1], 0x18
	v_or_b32_dpp v1, v1, v1 row_shl:1 row_mask:0xf bank_mask:0xf bound_ctrl:1
	v_mul_hi_u32 v19, s3, v6
	s_waitcnt lgkmcnt(0)
	s_and_b32 s5, s7, 0xffff
	s_lshr_b32 s7, s6, 16
	v_writelane_b32 v109, s10, 2
	s_and_b32 s6, s6, 0xffff
	v_or_b32_dpp v1, v1, v1 row_shl:2 row_mask:0xf bank_mask:0xf bound_ctrl:1
	v_writelane_b32 v109, s11, 3
	s_mul_i32 s10, s7, s6
	v_or_b32_dpp v1, v1, v1 row_shl:4 row_mask:0xf bank_mask:0xf bound_ctrl:1
	s_bfe_i32 s10, s10, 0x180000
	s_mul_i32 s5, s10, s5
	v_or_b32_dpp v1, v1, v1 row_shl:8 row_mask:0xf bank_mask:0xf bound_ctrl:1
	s_add_i32 s10, s5, 63
	s_bitcmp1_b32 exec_hi, 0
	v_mov_b32_dpp v2, v1 wave_shl:1 row_mask:0xf bank_mask:0xf bound_ctrl:1
                                        ; kill: killed $sgpr12 killed $sgpr13
	s_nop 1
	v_or_b32_dpp v1, v2, v1 row_mirror row_mask:0xf bank_mask:0xf bound_ctrl:1
	s_nop 0
	v_readlane_b32 s5, v1, 32
	s_cselect_b32 s5, s5, 0
	v_readlane_b32 s11, v1, 0
	s_or_b32 s5, s5, s11
	s_andn2_b32 s10, s10, 63
	s_cmp_lg_u32 s10, 64
	v_mov_b32_e32 v1, s5
	s_cbranch_scc0 .LBB142_27
; %bb.21:
	v_bfe_u32 v0, v0, 20, 10
	v_mbcnt_lo_u32_b32 v1, -1, 0
	v_mad_u32_u24 v0, v0, s7, v17
	v_mbcnt_hi_u32_b32 v2, -1, v1
	v_mad_u64_u32 v[0:1], s[6:7], v0, s6, v[16:17]
	v_lshrrev_b32_e32 v1, 6, v0
	v_or_b32_e32 v1, v2, v1
	v_cmp_eq_u32_e32 vcc, 0, v1
	s_and_saveexec_b64 s[6:7], vcc
; %bb.22:
	v_mov_b32_e32 v1, 0
	v_mov_b32_e32 v3, s5
	ds_write_b32 v1, v3
; %bb.23:
	s_or_b64 exec, exec, s[6:7]
	v_cmp_eq_u32_e32 vcc, 0, v2
	v_cmp_lt_u32_e64 s[6:7], 63, v0
	s_and_b64 s[10:11], s[6:7], vcc
	s_waitcnt lgkmcnt(0)
	s_barrier
	s_and_saveexec_b64 s[6:7], s[10:11]
	s_cbranch_execz .LBB142_26
; %bb.24:
	v_mbcnt_lo_u32_b32 v0, exec_lo, 0
	v_mbcnt_hi_u32_b32 v0, exec_hi, v0
	v_cmp_eq_u32_e32 vcc, 0, v0
	s_and_b64 exec, exec, vcc
; %bb.25:
	v_mov_b32_e32 v0, 0
	v_mov_b32_e32 v1, s5
	ds_or_b32 v0, v1
.LBB142_26:
	s_or_b64 exec, exec, s[6:7]
	v_mov_b32_e32 v0, 0
	s_waitcnt lgkmcnt(0)
	s_barrier
	ds_read_b32 v1, v0
	s_waitcnt lgkmcnt(0)
	s_barrier
.LBB142_27:
	s_load_dwordx2 s[0:1], s[0:1], 0x0
	v_cmp_ne_u32_e32 vcc, 0, v1
	s_ashr_i32 s5, s22, 31
	s_ashr_i32 s10, s47, 31
	s_cbranch_vccz .LBB142_93
; %bb.28:
	v_lshlrev_b32_e32 v96, 6, v17
	v_add_u32_e32 v98, v96, v16
	v_cmp_le_i32_e32 vcc, s36, v98
	v_and_b32_e32 v97, 15, v16
	s_and_saveexec_b64 s[6:7], vcc
	s_xor_b64 s[6:7], exec, s[6:7]
; %bb.29:
	v_and_b32_e32 v97, 15, v16
                                        ; implicit-def: $vgpr98
                                        ; implicit-def: $vgpr19
                                        ; implicit-def: $vgpr18
; %bb.30:
	s_or_saveexec_b64 s[12:13], s[6:7]
	v_mov_b32_e32 v7, 0
	s_lshl_b32 s6, s2, 6
	v_mov_b32_e32 v6, v7
	v_mov_b32_e32 v5, v7
	;; [unrolled: 1-line block ×15, first 2 shown]
	v_writelane_b32 v109, s12, 4
	s_nop 1
	v_writelane_b32 v109, s13, 5
	s_xor_b64 exec, exec, s[12:13]
	s_cbranch_execz .LBB142_86
; %bb.31:
	v_mul_lo_u32 v0, v19, s4
	v_sub_u32_e32 v0, s3, v0
	v_add_u32_e32 v1, 1, v19
	v_subrev_u32_e32 v2, s4, v0
	v_cmp_le_u32_e32 vcc, s4, v0
	s_xor_b32 s2, s5, s10
	v_writelane_b32 v109, s24, 6
	v_cndmask_b32_e32 v1, v19, v1, vcc
	v_cndmask_b32_e32 v0, v0, v2, vcc
	v_add_u32_e32 v2, 1, v1
	v_cmp_le_u32_e32 vcc, s4, v0
	v_writelane_b32 v109, s25, 7
	v_writelane_b32 v109, s6, 8
	v_cndmask_b32_e32 v0, v1, v2, vcc
	v_xor_b32_e32 v0, s2, v0
	v_subrev_u32_e32 v0, s2, v0
	v_mul_hi_i32 v1, v0, s28
	v_mul_lo_u32 v0, v0, s28
	v_mul_lo_u32 v2, v18, s44
	v_ashrrev_i32_e32 v3, 31, v2
	s_mul_i32 s2, s39, s6
	v_lshlrev_b64 v[0:1], 2, v[0:1]
	s_movk_i32 s4, 0x1080
	v_mov_b32_e32 v99, 0x100
	v_writelane_b32 v109, s22, 9
	s_waitcnt lgkmcnt(0)
	v_lshl_add_u64 v[4:5], s[0:1], 0, v[0:1]
	v_lshlrev_b64 v[2:3], 2, v[2:3]
	s_ashr_i32 s3, s2, 31
	v_mad_u32_u24 v6, v17, s4, v99
	s_mul_hi_i32 s5, s29, s22
	v_writelane_b32 v109, s28, 10
	s_mul_i32 s4, s29, s22
	v_lshl_add_u64 v[4:5], v[4:5], 0, v[2:3]
	s_lshl_b64 s[2:3], s[2:3], 2
	s_lshl_b64 s[4:5], s[4:5], 2
	v_lshl_add_u64 v[18:19], v[4:5], 0, s[2:3]
	v_writelane_b32 v109, s29, 11
	v_mul_hi_i32 v5, s40, v94
	v_mul_lo_u32 v4, s40, v94
	s_add_u32 s4, s8, s4
	v_writelane_b32 v109, s30, 12
	v_lshlrev_b64 v[4:5], 3, v[4:5]
	s_addc_u32 s5, s9, s5
	v_writelane_b32 v109, s31, 13
	v_lshl_add_u64 v[20:21], s[4:5], 0, v[4:5]
	s_lshl_b32 s4, s40, 3
	v_writelane_b32 v109, s4, 14
	s_mul_i32 s4, s40, 6
	v_writelane_b32 v109, s4, 15
	s_lshl_b32 s4, s40, 4
	v_writelane_b32 v109, s4, 16
	s_mul_i32 s4, s40, 10
	v_writelane_b32 v109, s4, 17
	s_mul_i32 s4, s40, 12
	;; [unrolled: 2-line block ×3, first 2 shown]
	v_lshl_add_u64 v[0:1], v[0:1], 0, s[2:3]
	v_writelane_b32 v109, s4, 19
	s_mul_i32 s4, s40, 22
	v_lshrrev_b32_e32 v5, 1, v16
	v_lshl_add_u64 v[0:1], v[0:1], 0, v[2:3]
	v_writelane_b32 v109, s4, 20
	s_mul_i32 s4, s40, 20
	v_mul_u32_u24_e32 v4, 0x108, v97
	v_and_b32_e32 v5, 0x1f8, v5
	v_add_u32_e32 v26, 1, v94
	v_add_u32_e32 v27, 2, v94
	s_lshl_b32 s38, s40, 2
	v_add_u32_e32 v28, 3, v94
	v_add_u32_e32 v29, 4, v94
	;; [unrolled: 1-line block ×10, first 2 shown]
	s_ashr_i32 s7, s39, 31
	s_mov_b32 s6, s39
	v_lshl_add_u64 v[0:1], s[0:1], 0, v[0:1]
	v_lshlrev_b32_e32 v2, 1, v16
	v_lshlrev_b32_e32 v22, 2, v98
	v_mov_b32_e32 v23, 0
	v_writelane_b32 v109, s4, 21
	s_mul_i32 s4, s40, 18
	v_lshl_add_u32 v100, v16, 2, v6
	v_add3_u32 v101, v6, v4, v5
	s_add_i32 s54, s39, s39
	s_mul_i32 s55, s39, 3
	s_lshl_b32 s56, s39, 2
	s_mul_i32 s57, s39, 5
	s_mul_i32 s58, s39, 6
	;; [unrolled: 1-line block ×3, first 2 shown]
	s_lshl_b32 s60, s39, 3
	s_mul_i32 s61, s39, 9
	s_mul_i32 s62, s39, 10
	;; [unrolled: 1-line block ×7, first 2 shown]
	s_lshl_b32 s68, s39, 4
	s_mul_i32 s69, s39, 17
	s_mul_i32 s70, s39, 18
	;; [unrolled: 1-line block ×15, first 2 shown]
	s_lshl_b32 s84, s39, 5
	s_mul_i32 s85, s39, 33
	s_mul_i32 s86, s39, 34
	;; [unrolled: 1-line block ×17, first 2 shown]
	v_cmp_gt_i32_e64 s[0:1], s37, v94
	s_mul_i32 s53, s39, 50
	s_mul_i32 s34, s39, 51
	v_lshl_add_u32 v102, v17, 7, v2
	s_lshl_b64 s[2:3], s[6:7], 2
	v_lshl_add_u64 v[24:25], v[0:1], 0, v[22:23]
	v_mov_b32_e32 v12, 0
	v_mov_b32_e32 v13, v23
	;; [unrolled: 1-line block ×16, first 2 shown]
	s_mul_i32 s35, s39, 52
	s_mul_i32 s42, s39, 53
	;; [unrolled: 1-line block ×12, first 2 shown]
	v_writelane_b32 v109, s4, 22
	s_mul_i32 s4, s40, 14
	s_lshl_b32 s40, s40, 1
	v_cmp_gt_i32_e64 s[6:7], s37, v26
	v_cmp_gt_i32_e64 s[8:9], s37, v27
	;; [unrolled: 1-line block ×12, first 2 shown]
	s_mov_b32 s37, s38
	s_mov_b64 s[38:39], 0
	s_branch .LBB142_34
.LBB142_32:                             ;   in Loop: Header=BB142_34 Depth=1
	v_mul_lo_u32 v22, v22, s45
	v_readlane_b32 vcc_lo, v109, 19
	s_nop 1
	v_add_u32_e32 v22, vcc_lo, v22
	v_add_u32_e32 v90, v22, v102
	v_ashrrev_i32_e32 v91, 31, v90
	v_lshl_add_u64 v[90:91], v[90:91], 2, v[20:21]
	global_load_dwordx2 v[90:91], v[90:91], off
.LBB142_33:                             ;   in Loop: Header=BB142_34 Depth=1
	s_waitcnt vmcnt(0)
	v_cvt_pk_bf16_f32 v22, v90, v91
	v_add_u32_e32 v90, 0xc00, v100
	ds_write2_b32 v90, v22, v23 offset0:40 offset1:106
	ds_write2_b32 v90, v23, v23 offset0:172 offset1:238
	ds_read2_b64 v[90:93], v101 offset0:8 offset1:12
	v_add_u32_e32 v98, 0x1c0, v98
	s_mov_b64 vcc, 0x700
	v_lshl_add_u64 v[24:25], v[24:25], 0, vcc
	s_waitcnt lgkmcnt(0)
	v_mfma_f32_16x16x16_bf16 v[0:3], v[58:59], v[90:91], v[0:3]
	v_cmp_le_i32_e32 vcc, s36, v98
	v_add_u32_e32 v102, 0x380, v102
	s_or_b64 s[38:39], vcc, s[38:39]
	v_mfma_f32_16x16x16_bf16 v[4:7], v[42:43], v[90:91], v[4:7]
	v_mfma_f32_16x16x16_bf16 v[8:11], v[74:75], v[90:91], v[8:11]
	v_mfma_f32_16x16x16_bf16 v[12:15], v[88:89], v[90:91], v[12:15]
	v_mfma_f32_16x16x16_bf16 v[0:3], v[56:57], v[92:93], v[0:3]
	ds_read2_b64 v[56:59], v101 offset0:16 offset1:20
	v_mfma_f32_16x16x16_bf16 v[4:7], v[38:39], v[92:93], v[4:7]
	v_mfma_f32_16x16x16_bf16 v[8:11], v[72:73], v[92:93], v[8:11]
	v_mfma_f32_16x16x16_bf16 v[12:15], v[86:87], v[92:93], v[12:15]
	s_waitcnt lgkmcnt(0)
	v_mfma_f32_16x16x16_bf16 v[4:7], v[36:37], v[56:57], v[4:7]
	v_mfma_f32_16x16x16_bf16 v[0:3], v[54:55], v[56:57], v[0:3]
	v_mfma_f32_16x16x16_bf16 v[8:11], v[70:71], v[56:57], v[8:11]
	v_mfma_f32_16x16x16_bf16 v[12:15], v[82:83], v[56:57], v[12:15]
	v_mfma_f32_16x16x16_bf16 v[4:7], v[34:35], v[58:59], v[4:7]
	ds_read2_b64 v[34:37], v101 offset0:24 offset1:28
	v_mfma_f32_16x16x16_bf16 v[0:3], v[52:53], v[58:59], v[0:3]
	v_mfma_f32_16x16x16_bf16 v[8:11], v[68:69], v[58:59], v[8:11]
	v_mfma_f32_16x16x16_bf16 v[12:15], v[78:79], v[58:59], v[12:15]
	s_waitcnt lgkmcnt(0)
	v_mfma_f32_16x16x16_bf16 v[4:7], v[32:33], v[34:35], v[4:7]
	;; [unrolled: 10-line block ×3, first 2 shown]
	v_mfma_f32_16x16x16_bf16 v[0:3], v[46:47], v[30:31], v[0:3]
	v_mfma_f32_16x16x16_bf16 v[8:11], v[60:61], v[30:31], v[8:11]
	v_mfma_f32_16x16x16_bf16 v[12:15], v[76:77], v[30:31], v[12:15]
	v_mfma_f32_16x16x16_bf16 v[4:7], v[26:27], v[32:33], v[4:7]
	v_mfma_f32_16x16x16_bf16 v[0:3], v[40:41], v[32:33], v[0:3]
	v_mfma_f32_16x16x16_bf16 v[8:11], v[44:45], v[32:33], v[8:11]
	v_mfma_f32_16x16x16_bf16 v[12:15], v[62:63], v[32:33], v[12:15]
	s_andn2_b64 exec, exec, s[38:39]
	s_cbranch_execz .LBB142_85
.LBB142_34:                             ; =>This Inner Loop Header: Depth=1
	v_lshl_add_u64 v[26:27], v[24:25], 0, s[2:3]
	global_load_dword v22, v[24:25], off
	global_load_dword v52, v[26:27], off
	v_add_u32_e32 v26, s54, v98
	v_ashrrev_i32_e32 v27, 31, v26
	v_add_u32_e32 v28, s55, v98
	v_add_u32_e32 v30, s56, v98
	;; [unrolled: 1-line block ×5, first 2 shown]
	v_lshl_add_u64 v[26:27], v[26:27], 2, v[18:19]
	v_ashrrev_i32_e32 v29, 31, v28
	v_ashrrev_i32_e32 v31, 31, v30
	;; [unrolled: 1-line block ×5, first 2 shown]
	v_lshl_add_u64 v[28:29], v[28:29], 2, v[18:19]
	v_lshl_add_u64 v[30:31], v[30:31], 2, v[18:19]
	v_lshl_add_u64 v[32:33], v[32:33], 2, v[18:19]
	v_lshl_add_u64 v[34:35], v[34:35], 2, v[18:19]
	v_lshl_add_u64 v[36:37], v[36:37], 2, v[18:19]
	global_load_dword v53, v[26:27], off
	global_load_dword v54, v[28:29], off
	;; [unrolled: 1-line block ×6, first 2 shown]
	v_add_u32_e32 v26, s60, v98
	v_add_u32_e32 v44, s69, v98
	;; [unrolled: 1-line block ×10, first 2 shown]
	v_ashrrev_i32_e32 v27, 31, v26
	v_ashrrev_i32_e32 v45, 31, v44
	;; [unrolled: 1-line block ×10, first 2 shown]
	v_lshl_add_u64 v[26:27], v[26:27], 2, v[18:19]
	v_lshl_add_u64 v[44:45], v[44:45], 2, v[18:19]
	v_add_u32_e32 v46, s70, v98
	v_add_u32_e32 v48, s71, v98
	;; [unrolled: 1-line block ×3, first 2 shown]
	v_lshl_add_u64 v[28:29], v[28:29], 2, v[18:19]
	v_lshl_add_u64 v[30:31], v[30:31], 2, v[18:19]
	;; [unrolled: 1-line block ×8, first 2 shown]
	global_load_dword v59, v[26:27], off
	global_load_dword v60, v[28:29], off
	global_load_dword v61, v[30:31], off
	global_load_dword v62, v[32:33], off
	global_load_dword v63, v[34:35], off
	global_load_dword v64, v[36:37], off
	global_load_dword v65, v[38:39], off
	global_load_dword v66, v[40:41], off
	global_load_dword v67, v[42:43], off
	s_nop 0
	global_load_dword v44, v[44:45], off
	v_add_u32_e32 v26, s73, v98
	v_ashrrev_i32_e32 v47, 31, v46
	v_ashrrev_i32_e32 v49, 31, v48
	;; [unrolled: 1-line block ×4, first 2 shown]
	v_add_u32_e32 v28, s74, v98
	v_add_u32_e32 v30, s75, v98
	;; [unrolled: 1-line block ×4, first 2 shown]
	v_lshl_add_u64 v[46:47], v[46:47], 2, v[18:19]
	v_lshl_add_u64 v[48:49], v[48:49], 2, v[18:19]
	v_lshl_add_u64 v[50:51], v[50:51], 2, v[18:19]
	v_lshl_add_u64 v[26:27], v[26:27], 2, v[18:19]
	v_ashrrev_i32_e32 v29, 31, v28
	v_ashrrev_i32_e32 v31, 31, v30
	;; [unrolled: 1-line block ×4, first 2 shown]
	v_lshl_add_u64 v[28:29], v[28:29], 2, v[18:19]
	v_lshl_add_u64 v[30:31], v[30:31], 2, v[18:19]
	;; [unrolled: 1-line block ×4, first 2 shown]
	v_add_u32_e32 v36, s83, v98
	v_add_u32_e32 v38, s84, v98
	;; [unrolled: 1-line block ×3, first 2 shown]
	v_ashrrev_i32_e32 v37, 31, v36
	v_ashrrev_i32_e32 v39, 31, v38
	;; [unrolled: 1-line block ×3, first 2 shown]
	v_lshl_add_u64 v[36:37], v[36:37], 2, v[18:19]
	s_waitcnt vmcnt(17)
	ds_write_b32 v100, v22 offset:64
	s_waitcnt vmcnt(16)
	ds_write_b32 v100, v52 offset:328
	;; [unrolled: 2-line block ×8, first 2 shown]
	global_load_dword v22, v[46:47], off
	global_load_dword v45, v[48:49], off
	s_nop 0
	global_load_dword v46, v[50:51], off
	global_load_dword v47, v[26:27], off
	;; [unrolled: 1-line block ×4, first 2 shown]
	s_nop 0
	global_load_dword v50, v[32:33], off
	global_load_dword v51, v[34:35], off
	v_add_u32_e32 v26, s78, v98
	v_ashrrev_i32_e32 v27, 31, v26
	v_add_u32_e32 v28, s79, v98
	v_add_u32_e32 v30, s80, v98
	;; [unrolled: 1-line block ×4, first 2 shown]
	v_lshl_add_u64 v[26:27], v[26:27], 2, v[18:19]
	v_ashrrev_i32_e32 v29, 31, v28
	v_ashrrev_i32_e32 v31, 31, v30
	v_ashrrev_i32_e32 v33, 31, v32
	v_ashrrev_i32_e32 v35, 31, v34
	v_lshl_add_u64 v[28:29], v[28:29], 2, v[18:19]
	v_lshl_add_u64 v[30:31], v[30:31], 2, v[18:19]
	v_lshl_add_u64 v[32:33], v[32:33], 2, v[18:19]
	v_lshl_add_u64 v[34:35], v[34:35], 2, v[18:19]
	v_lshl_add_u64 v[38:39], v[38:39], 2, v[18:19]
	v_lshl_add_u64 v[40:41], v[40:41], 2, v[18:19]
	global_load_dword v52, v[26:27], off
	global_load_dword v53, v[28:29], off
	global_load_dword v54, v[30:31], off
	global_load_dword v55, v[32:33], off
	global_load_dword v56, v[34:35], off
	global_load_dword v57, v[36:37], off
	global_load_dword v68, v[38:39], off
	global_load_dword v69, v[40:41], off
	v_add_u32_e32 v26, s86, v98
	v_ashrrev_i32_e32 v27, 31, v26
	v_add_u32_e32 v28, s87, v98
	v_add_u32_e32 v30, s88, v98
	v_add_u32_e32 v32, s89, v98
	v_add_u32_e32 v34, s90, v98
	v_add_u32_e32 v36, s91, v98
	v_add_u32_e32 v38, s92, v98
	v_add_u32_e32 v40, s93, v98
	v_lshl_add_u64 v[26:27], v[26:27], 2, v[18:19]
	v_ashrrev_i32_e32 v29, 31, v28
	v_ashrrev_i32_e32 v31, 31, v30
	v_ashrrev_i32_e32 v33, 31, v32
	v_ashrrev_i32_e32 v35, 31, v34
	v_ashrrev_i32_e32 v37, 31, v36
	v_ashrrev_i32_e32 v39, 31, v38
	v_ashrrev_i32_e32 v41, 31, v40
	v_lshl_add_u64 v[28:29], v[28:29], 2, v[18:19]
	v_lshl_add_u64 v[30:31], v[30:31], 2, v[18:19]
	v_lshl_add_u64 v[32:33], v[32:33], 2, v[18:19]
	v_lshl_add_u64 v[34:35], v[34:35], 2, v[18:19]
	v_lshl_add_u64 v[36:37], v[36:37], 2, v[18:19]
	v_lshl_add_u64 v[38:39], v[38:39], 2, v[18:19]
	v_lshl_add_u64 v[40:41], v[40:41], 2, v[18:19]
	global_load_dword v70, v[26:27], off
	global_load_dword v71, v[28:29], off
	global_load_dword v72, v[30:31], off
	global_load_dword v73, v[32:33], off
	global_load_dword v74, v[34:35], off
	global_load_dword v75, v[36:37], off
	global_load_dword v76, v[38:39], off
	global_load_dword v77, v[40:41], off
	v_add_u32_e32 v26, s94, v98
	v_ashrrev_i32_e32 v27, 31, v26
	v_add_u32_e32 v28, s95, v98
	v_add_u32_e32 v30, s96, v98
	v_add_u32_e32 v32, s97, v98
	v_add_u32_e32 v34, s98, v98
	v_add_u32_e32 v36, s99, v98
	v_add_u32_e32 v38, s5, v98
	v_add_u32_e32 v40, s52, v98
	v_lshl_add_u64 v[26:27], v[26:27], 2, v[18:19]
	v_ashrrev_i32_e32 v29, 31, v28
	v_ashrrev_i32_e32 v31, 31, v30
	v_ashrrev_i32_e32 v33, 31, v32
	v_ashrrev_i32_e32 v35, 31, v34
	v_ashrrev_i32_e32 v37, 31, v36
	v_ashrrev_i32_e32 v39, 31, v38
	v_ashrrev_i32_e32 v41, 31, v40
	v_lshl_add_u64 v[28:29], v[28:29], 2, v[18:19]
	;; [unrolled: 32-line block ×3, first 2 shown]
	v_lshl_add_u64 v[30:31], v[30:31], 2, v[18:19]
	v_lshl_add_u64 v[32:33], v[32:33], 2, v[18:19]
	;; [unrolled: 1-line block ×6, first 2 shown]
	global_load_dword v86, v[26:27], off
	global_load_dword v87, v[28:29], off
	;; [unrolled: 1-line block ×8, first 2 shown]
	v_add_u32_e32 v26, s33, v98
	v_ashrrev_i32_e32 v27, 31, v26
	v_add_u32_e32 v28, s44, v98
	v_add_u32_e32 v30, s47, v98
	;; [unrolled: 1-line block ×5, first 2 shown]
	v_lshl_add_u64 v[26:27], v[26:27], 2, v[18:19]
	v_ashrrev_i32_e32 v29, 31, v28
	v_ashrrev_i32_e32 v31, 31, v30
	;; [unrolled: 1-line block ×5, first 2 shown]
	v_lshl_add_u64 v[28:29], v[28:29], 2, v[18:19]
	v_lshl_add_u64 v[30:31], v[30:31], 2, v[18:19]
	;; [unrolled: 1-line block ×5, first 2 shown]
	global_load_dword v103, v[26:27], off
	global_load_dword v104, v[28:29], off
	;; [unrolled: 1-line block ×6, first 2 shown]
	s_waitcnt vmcnt(55)
	ds_write_b32 v100, v59 offset:2176
	s_waitcnt vmcnt(54)
	ds_write_b32 v100, v60 offset:2440
	s_waitcnt vmcnt(53)
	ds_write_b32 v100, v61 offset:2704
	s_waitcnt vmcnt(52)
	ds_write_b32 v100, v62 offset:2968
	s_waitcnt vmcnt(51)
	ds_write_b32 v100, v63 offset:3232
	s_waitcnt vmcnt(50)
	ds_write_b32 v100, v64 offset:3496
	s_waitcnt vmcnt(49)
	ds_write_b32 v100, v65 offset:3760
	s_waitcnt vmcnt(48)
	ds_write_b32 v100, v66 offset:4024
	ds_read_b64 v[42:43], v101 offset:64
	ds_read_b64 v[38:39], v101 offset:96
	ds_read_b64 v[36:37], v101 offset:128
	ds_read_b64 v[34:35], v101 offset:160
	ds_read_b64 v[32:33], v101 offset:192
	ds_read_b64 v[30:31], v101 offset:224
	ds_read_b64 v[28:29], v101 offset:256
	ds_read_b64 v[26:27], v101 offset:288
	s_waitcnt vmcnt(47)
	ds_write_b32 v100, v67 offset:64
	s_waitcnt vmcnt(46)
	ds_write_b32 v100, v44 offset:328
	s_waitcnt vmcnt(45)
	ds_write_b32 v100, v22 offset:592
	s_waitcnt vmcnt(44)
	ds_write_b32 v100, v45 offset:856
	s_waitcnt vmcnt(43)
	ds_write_b32 v100, v46 offset:1120
	s_waitcnt vmcnt(42)
	ds_write_b32 v100, v47 offset:1384
	s_waitcnt vmcnt(41)
	ds_write_b32 v100, v48 offset:1648
	s_waitcnt vmcnt(40)
	ds_write_b32 v100, v49 offset:1912
	s_waitcnt vmcnt(39)
	ds_write_b32 v100, v50 offset:2176
	s_waitcnt vmcnt(38)
	ds_write_b32 v100, v51 offset:2440
	s_waitcnt vmcnt(37)
	ds_write_b32 v100, v52 offset:2704
	s_waitcnt vmcnt(36)
	ds_write_b32 v100, v53 offset:2968
	s_waitcnt vmcnt(35)
	ds_write_b32 v100, v54 offset:3232
	s_waitcnt vmcnt(34)
	ds_write_b32 v100, v55 offset:3496
	s_waitcnt vmcnt(33)
	ds_write_b32 v100, v56 offset:3760
	s_waitcnt vmcnt(32)
	ds_write_b32 v100, v57 offset:4024
	ds_read_b64 v[58:59], v101 offset:64
	ds_read_b64 v[56:57], v101 offset:96
	ds_read_b64 v[54:55], v101 offset:128
	ds_read_b64 v[52:53], v101 offset:160
	ds_read_b64 v[50:51], v101 offset:192
	ds_read_b64 v[48:49], v101 offset:224
	ds_read_b64 v[46:47], v101 offset:256
	ds_read_b64 v[40:41], v101 offset:288
	s_waitcnt vmcnt(31)
	ds_write_b32 v100, v68 offset:64
	s_waitcnt vmcnt(30)
	ds_write_b32 v100, v69 offset:328
	s_waitcnt vmcnt(29)
	ds_write_b32 v100, v70 offset:592
	s_waitcnt vmcnt(28)
	ds_write_b32 v100, v71 offset:856
	s_waitcnt vmcnt(27)
	ds_write_b32 v100, v72 offset:1120
	s_waitcnt vmcnt(26)
	ds_write_b32 v100, v73 offset:1384
	s_waitcnt vmcnt(25)
	ds_write_b32 v100, v74 offset:1648
	s_waitcnt vmcnt(24)
	ds_write_b32 v100, v75 offset:1912
	;; [unrolled: 40-line block ×3, first 2 shown]
	s_waitcnt vmcnt(7)
	ds_write_b32 v100, v92 offset:2176
	s_waitcnt vmcnt(6)
	ds_write_b32 v100, v93 offset:2440
	;; [unrolled: 2-line block ×8, first 2 shown]
	ds_read_b64 v[88:89], v101 offset:64
	ds_read_b64 v[86:87], v101 offset:96
	;; [unrolled: 1-line block ×8, first 2 shown]
	s_andn2_b64 vcc, exec, s[0:1]
	v_mov_b32_e32 v90, 0
	v_mov_b32_e32 v91, 0
	s_cbranch_vccnz .LBB142_38
; %bb.35:                               ;   in Loop: Header=BB142_34 Depth=1
	ds_read_b32 v22, v99
	s_waitcnt lgkmcnt(0)
	v_cmp_gt_i32_e32 vcc, 0, v22
	s_cbranch_vccnz .LBB142_37
; %bb.36:                               ;   in Loop: Header=BB142_34 Depth=1
	v_mul_lo_u32 v22, v22, s45
	v_add_u32_e32 v90, v102, v22
	v_ashrrev_i32_e32 v91, 31, v90
	v_lshl_add_u64 v[90:91], v[90:91], 2, v[20:21]
	global_load_dwordx2 v[90:91], v[90:91], off
	s_branch .LBB142_38
.LBB142_37:                             ;   in Loop: Header=BB142_34 Depth=1
	v_mov_b32_e32 v90, 0
	v_mov_b32_e32 v91, 0
.LBB142_38:                             ;   in Loop: Header=BB142_34 Depth=1
	s_waitcnt vmcnt(0)
	v_cvt_pk_bf16_f32 v22, v90, v91
	v_mov_b32_e32 v90, 0
	s_andn2_b64 vcc, exec, s[6:7]
	v_mov_b32_e32 v92, 0
	v_mov_b32_e32 v93, 0
	ds_write_b32 v100, v22 offset:64
	s_cbranch_vccnz .LBB142_42
; %bb.39:                               ;   in Loop: Header=BB142_34 Depth=1
	ds_read_b32 v22, v99 offset:4
	s_waitcnt lgkmcnt(0)
	v_cmp_gt_i32_e32 vcc, 0, v22
	s_cbranch_vccnz .LBB142_41
; %bb.40:                               ;   in Loop: Header=BB142_34 Depth=1
	v_mul_lo_u32 v22, v22, s45
	v_add_u32_e32 v22, s40, v22
	v_add_u32_e32 v92, v22, v102
	v_ashrrev_i32_e32 v93, 31, v92
	v_lshl_add_u64 v[92:93], v[92:93], 2, v[20:21]
	global_load_dwordx2 v[92:93], v[92:93], off
	s_branch .LBB142_42
.LBB142_41:                             ;   in Loop: Header=BB142_34 Depth=1
	v_mov_b32_e32 v92, 0
	v_mov_b32_e32 v93, 0
.LBB142_42:                             ;   in Loop: Header=BB142_34 Depth=1
	s_waitcnt vmcnt(0)
	v_cvt_pk_bf16_f32 v22, v92, v93
	s_andn2_b64 vcc, exec, s[8:9]
	v_mov_b32_e32 v91, 0
	ds_write_b32 v100, v22 offset:328
	s_cbranch_vccnz .LBB142_46
; %bb.43:                               ;   in Loop: Header=BB142_34 Depth=1
	ds_read_b32 v22, v99 offset:8
	s_waitcnt lgkmcnt(0)
	v_cmp_gt_i32_e32 vcc, 0, v22
	s_cbranch_vccnz .LBB142_45
; %bb.44:                               ;   in Loop: Header=BB142_34 Depth=1
	v_mul_lo_u32 v22, v22, s45
	v_add_u32_e32 v22, s37, v22
	v_add_u32_e32 v90, v22, v102
	v_ashrrev_i32_e32 v91, 31, v90
	v_lshl_add_u64 v[90:91], v[90:91], 2, v[20:21]
	global_load_dwordx2 v[90:91], v[90:91], off
	s_branch .LBB142_46
.LBB142_45:                             ;   in Loop: Header=BB142_34 Depth=1
	v_mov_b32_e32 v90, 0
	v_mov_b32_e32 v91, 0
.LBB142_46:                             ;   in Loop: Header=BB142_34 Depth=1
	s_waitcnt vmcnt(0)
	v_cvt_pk_bf16_f32 v22, v90, v91
	v_mov_b32_e32 v90, 0
	s_andn2_b64 vcc, exec, s[10:11]
	v_mov_b32_e32 v92, 0
	v_mov_b32_e32 v93, 0
	ds_write_b32 v100, v22 offset:592
	s_cbranch_vccnz .LBB142_50
; %bb.47:                               ;   in Loop: Header=BB142_34 Depth=1
	ds_read_b32 v22, v99 offset:12
	s_waitcnt lgkmcnt(0)
	v_cmp_gt_i32_e32 vcc, 0, v22
	s_cbranch_vccnz .LBB142_49
; %bb.48:                               ;   in Loop: Header=BB142_34 Depth=1
	v_mul_lo_u32 v22, v22, s45
	v_readlane_b32 vcc_lo, v109, 15
	s_nop 1
	v_add_u32_e32 v22, vcc_lo, v22
	v_add_u32_e32 v92, v22, v102
	v_ashrrev_i32_e32 v93, 31, v92
	v_lshl_add_u64 v[92:93], v[92:93], 2, v[20:21]
	global_load_dwordx2 v[92:93], v[92:93], off
	s_branch .LBB142_50
.LBB142_49:                             ;   in Loop: Header=BB142_34 Depth=1
	v_mov_b32_e32 v92, 0
	v_mov_b32_e32 v93, 0
.LBB142_50:                             ;   in Loop: Header=BB142_34 Depth=1
	s_waitcnt vmcnt(0)
	v_cvt_pk_bf16_f32 v22, v92, v93
	s_andn2_b64 vcc, exec, s[12:13]
	v_mov_b32_e32 v91, 0
	ds_write_b32 v100, v22 offset:856
	s_cbranch_vccnz .LBB142_54
; %bb.51:                               ;   in Loop: Header=BB142_34 Depth=1
	ds_read_b32 v22, v99 offset:16
	s_waitcnt lgkmcnt(0)
	v_cmp_gt_i32_e32 vcc, 0, v22
	s_cbranch_vccnz .LBB142_53
; %bb.52:                               ;   in Loop: Header=BB142_34 Depth=1
	v_mul_lo_u32 v22, v22, s45
	v_readlane_b32 vcc_lo, v109, 14
	s_nop 1
	v_add_u32_e32 v22, vcc_lo, v22
	v_add_u32_e32 v90, v22, v102
	v_ashrrev_i32_e32 v91, 31, v90
	v_lshl_add_u64 v[90:91], v[90:91], 2, v[20:21]
	global_load_dwordx2 v[90:91], v[90:91], off
	s_branch .LBB142_54
.LBB142_53:                             ;   in Loop: Header=BB142_34 Depth=1
	v_mov_b32_e32 v90, 0
	v_mov_b32_e32 v91, 0
.LBB142_54:                             ;   in Loop: Header=BB142_34 Depth=1
	s_waitcnt vmcnt(0)
	v_cvt_pk_bf16_f32 v22, v90, v91
	v_mov_b32_e32 v90, 0
	s_andn2_b64 vcc, exec, s[14:15]
	v_mov_b32_e32 v92, 0
	v_mov_b32_e32 v93, 0
	ds_write_b32 v100, v22 offset:1120
	s_cbranch_vccnz .LBB142_58
; %bb.55:                               ;   in Loop: Header=BB142_34 Depth=1
	ds_read_b32 v22, v99 offset:20
	s_waitcnt lgkmcnt(0)
	v_cmp_gt_i32_e32 vcc, 0, v22
	s_cbranch_vccnz .LBB142_57
; %bb.56:                               ;   in Loop: Header=BB142_34 Depth=1
	v_mul_lo_u32 v22, v22, s45
	v_readlane_b32 vcc_lo, v109, 17
	s_nop 1
	v_add_u32_e32 v22, vcc_lo, v22
	v_add_u32_e32 v92, v22, v102
	v_ashrrev_i32_e32 v93, 31, v92
	v_lshl_add_u64 v[92:93], v[92:93], 2, v[20:21]
	global_load_dwordx2 v[92:93], v[92:93], off
	s_branch .LBB142_58
.LBB142_57:                             ;   in Loop: Header=BB142_34 Depth=1
	v_mov_b32_e32 v92, 0
	v_mov_b32_e32 v93, 0
.LBB142_58:                             ;   in Loop: Header=BB142_34 Depth=1
	s_waitcnt vmcnt(0)
	v_cvt_pk_bf16_f32 v22, v92, v93
	s_andn2_b64 vcc, exec, s[16:17]
	v_mov_b32_e32 v91, 0
	ds_write_b32 v100, v22 offset:1384
	s_cbranch_vccnz .LBB142_62
; %bb.59:                               ;   in Loop: Header=BB142_34 Depth=1
	ds_read_b32 v22, v99 offset:24
	s_waitcnt lgkmcnt(0)
	v_cmp_gt_i32_e32 vcc, 0, v22
	s_cbranch_vccnz .LBB142_61
; %bb.60:                               ;   in Loop: Header=BB142_34 Depth=1
	v_mul_lo_u32 v22, v22, s45
	v_readlane_b32 vcc_lo, v109, 18
	s_nop 1
	v_add_u32_e32 v22, vcc_lo, v22
	v_add_u32_e32 v90, v22, v102
	v_ashrrev_i32_e32 v91, 31, v90
	v_lshl_add_u64 v[90:91], v[90:91], 2, v[20:21]
	global_load_dwordx2 v[90:91], v[90:91], off
	s_branch .LBB142_62
.LBB142_61:                             ;   in Loop: Header=BB142_34 Depth=1
	v_mov_b32_e32 v90, 0
	v_mov_b32_e32 v91, 0
.LBB142_62:                             ;   in Loop: Header=BB142_34 Depth=1
	s_waitcnt vmcnt(0)
	v_cvt_pk_bf16_f32 v22, v90, v91
	v_mov_b32_e32 v90, 0
	s_andn2_b64 vcc, exec, s[18:19]
	v_mov_b32_e32 v92, 0
	v_mov_b32_e32 v93, 0
	ds_write_b32 v100, v22 offset:1648
	s_cbranch_vccnz .LBB142_66
; %bb.63:                               ;   in Loop: Header=BB142_34 Depth=1
	ds_read_b32 v22, v99 offset:28
	s_waitcnt lgkmcnt(0)
	v_cmp_gt_i32_e32 vcc, 0, v22
	s_cbranch_vccnz .LBB142_65
; %bb.64:                               ;   in Loop: Header=BB142_34 Depth=1
	v_mul_lo_u32 v22, v22, s45
	v_add_u32_e32 v22, s4, v22
	v_add_u32_e32 v92, v22, v102
	v_ashrrev_i32_e32 v93, 31, v92
	v_lshl_add_u64 v[92:93], v[92:93], 2, v[20:21]
	global_load_dwordx2 v[92:93], v[92:93], off
	s_branch .LBB142_66
.LBB142_65:                             ;   in Loop: Header=BB142_34 Depth=1
	v_mov_b32_e32 v92, 0
	v_mov_b32_e32 v93, 0
.LBB142_66:                             ;   in Loop: Header=BB142_34 Depth=1
	s_waitcnt vmcnt(0)
	v_cvt_pk_bf16_f32 v22, v92, v93
	s_andn2_b64 vcc, exec, s[20:21]
	v_mov_b32_e32 v91, 0
	ds_write_b32 v100, v22 offset:1912
	s_cbranch_vccnz .LBB142_70
; %bb.67:                               ;   in Loop: Header=BB142_34 Depth=1
	ds_read_b32 v22, v99 offset:32
	s_waitcnt lgkmcnt(0)
	v_cmp_gt_i32_e32 vcc, 0, v22
	s_cbranch_vccnz .LBB142_69
; %bb.68:                               ;   in Loop: Header=BB142_34 Depth=1
	v_mul_lo_u32 v22, v22, s45
	v_readlane_b32 vcc_lo, v109, 16
	s_nop 1
	v_add_u32_e32 v22, vcc_lo, v22
	v_add_u32_e32 v90, v22, v102
	v_ashrrev_i32_e32 v91, 31, v90
	v_lshl_add_u64 v[90:91], v[90:91], 2, v[20:21]
	global_load_dwordx2 v[90:91], v[90:91], off
	s_branch .LBB142_70
.LBB142_69:                             ;   in Loop: Header=BB142_34 Depth=1
	v_mov_b32_e32 v90, 0
	v_mov_b32_e32 v91, 0
.LBB142_70:                             ;   in Loop: Header=BB142_34 Depth=1
	s_waitcnt vmcnt(0)
	v_cvt_pk_bf16_f32 v22, v90, v91
	v_mov_b32_e32 v90, 0
	s_andn2_b64 vcc, exec, s[22:23]
	v_mov_b32_e32 v92, 0
	v_mov_b32_e32 v93, 0
	ds_write_b32 v100, v22 offset:2176
	s_cbranch_vccnz .LBB142_74
; %bb.71:                               ;   in Loop: Header=BB142_34 Depth=1
	ds_read_b32 v22, v99 offset:36
	s_waitcnt lgkmcnt(0)
	v_cmp_gt_i32_e32 vcc, 0, v22
	s_cbranch_vccnz .LBB142_73
; %bb.72:                               ;   in Loop: Header=BB142_34 Depth=1
	v_mul_lo_u32 v22, v22, s45
	v_readlane_b32 vcc_lo, v109, 22
	s_nop 1
	v_add_u32_e32 v22, vcc_lo, v22
	v_add_u32_e32 v92, v22, v102
	v_ashrrev_i32_e32 v93, 31, v92
	v_lshl_add_u64 v[92:93], v[92:93], 2, v[20:21]
	global_load_dwordx2 v[92:93], v[92:93], off
	s_branch .LBB142_74
.LBB142_73:                             ;   in Loop: Header=BB142_34 Depth=1
	v_mov_b32_e32 v92, 0
	v_mov_b32_e32 v93, 0
.LBB142_74:                             ;   in Loop: Header=BB142_34 Depth=1
	s_waitcnt vmcnt(0)
	v_cvt_pk_bf16_f32 v22, v92, v93
	s_andn2_b64 vcc, exec, s[24:25]
	v_mov_b32_e32 v91, 0
	ds_write_b32 v100, v22 offset:2440
	s_cbranch_vccnz .LBB142_78
; %bb.75:                               ;   in Loop: Header=BB142_34 Depth=1
	ds_read_b32 v22, v99 offset:40
	s_waitcnt lgkmcnt(0)
	v_cmp_gt_i32_e32 vcc, 0, v22
	s_cbranch_vccnz .LBB142_77
; %bb.76:                               ;   in Loop: Header=BB142_34 Depth=1
	v_mul_lo_u32 v22, v22, s45
	v_readlane_b32 vcc_lo, v109, 21
	s_nop 1
	v_add_u32_e32 v22, vcc_lo, v22
	v_add_u32_e32 v90, v22, v102
	v_ashrrev_i32_e32 v91, 31, v90
	v_lshl_add_u64 v[90:91], v[90:91], 2, v[20:21]
	global_load_dwordx2 v[90:91], v[90:91], off
	s_branch .LBB142_78
.LBB142_77:                             ;   in Loop: Header=BB142_34 Depth=1
	v_mov_b32_e32 v90, 0
	v_mov_b32_e32 v91, 0
.LBB142_78:                             ;   in Loop: Header=BB142_34 Depth=1
	s_waitcnt vmcnt(0)
	v_cvt_pk_bf16_f32 v22, v90, v91
	v_mov_b32_e32 v90, 0
	s_andn2_b64 vcc, exec, s[26:27]
	v_mov_b32_e32 v92, 0
	v_mov_b32_e32 v93, 0
	ds_write_b32 v100, v22 offset:2704
	s_cbranch_vccnz .LBB142_82
; %bb.79:                               ;   in Loop: Header=BB142_34 Depth=1
	ds_read_b32 v22, v99 offset:44
	s_waitcnt lgkmcnt(0)
	v_cmp_gt_i32_e32 vcc, 0, v22
	s_cbranch_vccnz .LBB142_81
; %bb.80:                               ;   in Loop: Header=BB142_34 Depth=1
	v_mul_lo_u32 v22, v22, s45
	v_readlane_b32 vcc_lo, v109, 20
	s_nop 1
	v_add_u32_e32 v22, vcc_lo, v22
	v_add_u32_e32 v92, v22, v102
	v_ashrrev_i32_e32 v93, 31, v92
	v_lshl_add_u64 v[92:93], v[92:93], 2, v[20:21]
	global_load_dwordx2 v[92:93], v[92:93], off
	s_branch .LBB142_82
.LBB142_81:                             ;   in Loop: Header=BB142_34 Depth=1
	v_mov_b32_e32 v92, 0
	v_mov_b32_e32 v93, 0
.LBB142_82:                             ;   in Loop: Header=BB142_34 Depth=1
	s_waitcnt vmcnt(0)
	v_cvt_pk_bf16_f32 v22, v92, v93
	s_andn2_b64 vcc, exec, s[28:29]
	v_mov_b32_e32 v91, 0
	ds_write_b32 v100, v22 offset:2968
	s_cbranch_vccnz .LBB142_33
; %bb.83:                               ;   in Loop: Header=BB142_34 Depth=1
	ds_read_b32 v22, v99 offset:48
	s_waitcnt lgkmcnt(0)
	v_cmp_gt_i32_e32 vcc, 0, v22
	s_cbranch_vccz .LBB142_32
; %bb.84:                               ;   in Loop: Header=BB142_34 Depth=1
	v_mov_b32_e32 v90, 0
	v_mov_b32_e32 v91, 0
	s_branch .LBB142_33
.LBB142_85:
	s_or_b64 exec, exec, s[38:39]
	v_readlane_b32 s24, v109, 6
	v_readlane_b32 s28, v109, 10
	;; [unrolled: 1-line block ×8, first 2 shown]
.LBB142_86:
	s_waitcnt lgkmcnt(0)
	v_readlane_b32 s0, v109, 4
	v_readlane_b32 s1, v109, 5
	s_or_b64 exec, exec, s[0:1]
	v_mov_b32_e32 v19, 0x100
	v_lshl_add_u32 v18, v96, 2, v19
	v_mul_u32_u24_e32 v20, 0x708, v97
	v_and_b32_e32 v21, 0x3f0, v16
	v_add3_u32 v20, v18, v20, v21
	s_barrier
	s_movk_i32 s0, 0x708
	ds_write2_b32 v20, v4, v5 offset0:16 offset1:17
	ds_write2_b32 v20, v6, v7 offset0:18 offset1:19
	;; [unrolled: 1-line block ×8, first 2 shown]
	v_lshl_add_u32 v9, v16, 2, v19
	v_mad_u32_u24 v0, v17, s0, v9
	v_add_u32_e32 v1, 64, v0
	s_waitcnt lgkmcnt(0)
	s_barrier
	ds_read2_b32 v[6:7], v0 offset0:16 offset1:80
	ds_read2_b32 v[2:3], v0 offset0:144 offset1:208
	ds_read2st64_b32 v[4:5], v1 offset0:4 offset1:5
	ds_read_b32 v10, v0 offset:1600
	v_cmp_gt_u32_e32 vcc, 13, v17
	v_mov_b32_e32 v11, -1
	s_and_saveexec_b64 s[0:1], vcc
; %bb.87:
	s_movk_i32 s2, 0xff04
	v_mad_i32_i24 v0, v17, s2, v18
	ds_read_b32 v11, v0
; %bb.88:
	s_or_b64 exec, exec, s[0:1]
	s_mul_hi_i32 s1, s30, s22
	s_mul_i32 s0, s30, s22
	s_lshl_b64 s[0:1], s[0:1], 2
	v_readlane_b32 s2, v109, 2
	v_mul_hi_i32 v1, v94, s41
	v_mul_lo_u32 v0, v94, s41
	v_readlane_b32 s3, v109, 3
	s_add_u32 s0, s2, s0
	s_addc_u32 s1, s3, s1
	v_lshlrev_b64 v[0:1], 2, v[0:1]
	s_waitcnt lgkmcnt(0)
	v_cmp_lt_i32_e32 vcc, -1, v11
	v_add_u32_e32 v8, s6, v16
	v_lshl_add_u64 v[0:1], s[0:1], 0, v[0:1]
	s_and_b64 s[2:3], vcc, s[24:25]
	s_and_saveexec_b64 s[0:1], s[2:3]
	s_cbranch_execz .LBB142_90
; %bb.89:
	v_add_f32_e32 v6, 0, v6
	v_add_f32_e32 v6, v6, v7
	;; [unrolled: 1-line block ×7, first 2 shown]
	v_mul_lo_u32 v2, v11, s46
	v_mul_lo_u32 v3, v17, s41
	v_add3_u32 v2, v8, v3, v2
	v_mov_b32_e32 v3, 0
	v_lshl_add_u64 v[2:3], v[2:3], 2, v[0:1]
	global_store_dword v[2:3], v4, off
.LBB142_90:
	s_or_b64 exec, exec, s[0:1]
	v_cmp_gt_u32_e32 vcc, 6, v17
	s_and_saveexec_b64 s[0:1], vcc
	s_cbranch_execz .LBB142_93
; %bb.91:
	v_mov_b32_e32 v2, 0x100
	v_lshl_add_u32 v2, v17, 2, v2
	ds_read_b32 v2, v2 offset:28
	v_readlane_b32 s0, v109, 0
	v_readlane_b32 s1, v109, 1
	s_waitcnt lgkmcnt(0)
	v_cmp_lt_i32_e32 vcc, -1, v2
	s_and_b64 s[0:1], vcc, s[0:1]
	s_and_b64 exec, exec, s[0:1]
	s_cbranch_execz .LBB142_93
; %bb.92:
	v_mul_u32_u24_e32 v3, 0x708, v17
	v_add_u32_e32 v6, v3, v9
	v_add_u32_e32 v7, 0x78, v6
	ds_read2st64_b32 v[4:5], v7 offset0:49 offset1:50
	v_mul_lo_u32 v9, v2, s46
	ds_read2st64_b32 v[2:3], v7 offset0:51 offset1:52
	ds_read_b32 v10, v6 offset:14200
	ds_read2st64_b32 v[6:7], v7 offset0:53 offset1:54
	s_waitcnt lgkmcnt(3)
	v_add_f32_e32 v4, 0, v4
	v_add_f32_e32 v4, v4, v5
	s_waitcnt lgkmcnt(2)
	v_add_f32_e32 v2, v4, v2
	v_add_f32_e32 v2, v2, v3
	;; [unrolled: 3-line block ×3, first 2 shown]
	v_add_f32_e32 v4, v2, v10
	v_mul_lo_u32 v2, v95, s41
	v_add3_u32 v2, v8, v2, v9
	v_mov_b32_e32 v3, 0
	v_lshl_add_u64 v[0:1], v[2:3], 2, v[0:1]
	global_store_dword v[0:1], v4, off
.LBB142_93:
	s_endpgm
	.section	.rodata,"a",@progbits
	.p2align	6, 0x0
	.amdhsa_kernel _ZL9mul_mat_fI15__hip_bfloat162Li64ELi13ELi7ELb1EEvPKT_PKfPKiPfiiiiiiiiiiiiiiii
		.amdhsa_group_segment_fixed_size 256
		.amdhsa_private_segment_fixed_size 0
		.amdhsa_kernarg_size 352
		.amdhsa_user_sgpr_count 2
		.amdhsa_user_sgpr_dispatch_ptr 0
		.amdhsa_user_sgpr_queue_ptr 0
		.amdhsa_user_sgpr_kernarg_segment_ptr 1
		.amdhsa_user_sgpr_dispatch_id 0
		.amdhsa_user_sgpr_kernarg_preload_length 0
		.amdhsa_user_sgpr_kernarg_preload_offset 0
		.amdhsa_user_sgpr_private_segment_size 0
		.amdhsa_uses_dynamic_stack 0
		.amdhsa_enable_private_segment 0
		.amdhsa_system_sgpr_workgroup_id_x 1
		.amdhsa_system_sgpr_workgroup_id_y 1
		.amdhsa_system_sgpr_workgroup_id_z 1
		.amdhsa_system_sgpr_workgroup_info 0
		.amdhsa_system_vgpr_workitem_id 2
		.amdhsa_next_free_vgpr 110
		.amdhsa_next_free_sgpr 100
		.amdhsa_accum_offset 112
		.amdhsa_reserve_vcc 1
		.amdhsa_float_round_mode_32 0
		.amdhsa_float_round_mode_16_64 0
		.amdhsa_float_denorm_mode_32 3
		.amdhsa_float_denorm_mode_16_64 3
		.amdhsa_dx10_clamp 1
		.amdhsa_ieee_mode 1
		.amdhsa_fp16_overflow 0
		.amdhsa_tg_split 0
		.amdhsa_exception_fp_ieee_invalid_op 0
		.amdhsa_exception_fp_denorm_src 0
		.amdhsa_exception_fp_ieee_div_zero 0
		.amdhsa_exception_fp_ieee_overflow 0
		.amdhsa_exception_fp_ieee_underflow 0
		.amdhsa_exception_fp_ieee_inexact 0
		.amdhsa_exception_int_div_zero 0
	.end_amdhsa_kernel
	.section	.text._ZL9mul_mat_fI15__hip_bfloat162Li64ELi13ELi7ELb1EEvPKT_PKfPKiPfiiiiiiiiiiiiiiii,"axG",@progbits,_ZL9mul_mat_fI15__hip_bfloat162Li64ELi13ELi7ELb1EEvPKT_PKfPKiPfiiiiiiiiiiiiiiii,comdat
.Lfunc_end142:
	.size	_ZL9mul_mat_fI15__hip_bfloat162Li64ELi13ELi7ELb1EEvPKT_PKfPKiPfiiiiiiiiiiiiiiii, .Lfunc_end142-_ZL9mul_mat_fI15__hip_bfloat162Li64ELi13ELi7ELb1EEvPKT_PKfPKiPfiiiiiiiiiiiiiiii
                                        ; -- End function
	.set _ZL9mul_mat_fI15__hip_bfloat162Li64ELi13ELi7ELb1EEvPKT_PKfPKiPfiiiiiiiiiiiiiiii.num_vgpr, 110
	.set _ZL9mul_mat_fI15__hip_bfloat162Li64ELi13ELi7ELb1EEvPKT_PKfPKiPfiiiiiiiiiiiiiiii.num_agpr, 0
	.set _ZL9mul_mat_fI15__hip_bfloat162Li64ELi13ELi7ELb1EEvPKT_PKfPKiPfiiiiiiiiiiiiiiii.numbered_sgpr, 100
	.set _ZL9mul_mat_fI15__hip_bfloat162Li64ELi13ELi7ELb1EEvPKT_PKfPKiPfiiiiiiiiiiiiiiii.num_named_barrier, 0
	.set _ZL9mul_mat_fI15__hip_bfloat162Li64ELi13ELi7ELb1EEvPKT_PKfPKiPfiiiiiiiiiiiiiiii.private_seg_size, 0
	.set _ZL9mul_mat_fI15__hip_bfloat162Li64ELi13ELi7ELb1EEvPKT_PKfPKiPfiiiiiiiiiiiiiiii.uses_vcc, 1
	.set _ZL9mul_mat_fI15__hip_bfloat162Li64ELi13ELi7ELb1EEvPKT_PKfPKiPfiiiiiiiiiiiiiiii.uses_flat_scratch, 0
	.set _ZL9mul_mat_fI15__hip_bfloat162Li64ELi13ELi7ELb1EEvPKT_PKfPKiPfiiiiiiiiiiiiiiii.has_dyn_sized_stack, 0
	.set _ZL9mul_mat_fI15__hip_bfloat162Li64ELi13ELi7ELb1EEvPKT_PKfPKiPfiiiiiiiiiiiiiiii.has_recursion, 0
	.set _ZL9mul_mat_fI15__hip_bfloat162Li64ELi13ELi7ELb1EEvPKT_PKfPKiPfiiiiiiiiiiiiiiii.has_indirect_call, 0
	.section	.AMDGPU.csdata,"",@progbits
; Kernel info:
; codeLenInByte = 7524
; TotalNumSgprs: 106
; NumVgprs: 110
; NumAgprs: 0
; TotalNumVgprs: 110
; ScratchSize: 0
; MemoryBound: 0
; FloatMode: 240
; IeeeMode: 1
; LDSByteSize: 256 bytes/workgroup (compile time only)
; SGPRBlocks: 13
; VGPRBlocks: 13
; NumSGPRsForWavesPerEU: 106
; NumVGPRsForWavesPerEU: 110
; AccumOffset: 112
; Occupancy: 4
; WaveLimiterHint : 0
; COMPUTE_PGM_RSRC2:SCRATCH_EN: 0
; COMPUTE_PGM_RSRC2:USER_SGPR: 2
; COMPUTE_PGM_RSRC2:TRAP_HANDLER: 0
; COMPUTE_PGM_RSRC2:TGID_X_EN: 1
; COMPUTE_PGM_RSRC2:TGID_Y_EN: 1
; COMPUTE_PGM_RSRC2:TGID_Z_EN: 1
; COMPUTE_PGM_RSRC2:TIDIG_COMP_CNT: 2
; COMPUTE_PGM_RSRC3_GFX90A:ACCUM_OFFSET: 27
; COMPUTE_PGM_RSRC3_GFX90A:TG_SPLIT: 0
	.section	.text._ZL9mul_mat_fI15__hip_bfloat162Li64ELi13ELi7ELb0EEvPKT_PKfPKiPfiiiiiiiiiiiiiiii,"axG",@progbits,_ZL9mul_mat_fI15__hip_bfloat162Li64ELi13ELi7ELb0EEvPKT_PKfPKiPfiiiiiiiiiiiiiiii,comdat
	.globl	_ZL9mul_mat_fI15__hip_bfloat162Li64ELi13ELi7ELb0EEvPKT_PKfPKiPfiiiiiiiiiiiiiiii ; -- Begin function _ZL9mul_mat_fI15__hip_bfloat162Li64ELi13ELi7ELb0EEvPKT_PKfPKiPfiiiiiiiiiiiiiiii
	.p2align	8
	.type	_ZL9mul_mat_fI15__hip_bfloat162Li64ELi13ELi7ELb0EEvPKT_PKfPKiPfiiiiiiiiiiiiiiii,@function
_ZL9mul_mat_fI15__hip_bfloat162Li64ELi13ELi7ELb0EEvPKT_PKfPKiPfiiiiiiiiiiiiiiii: ; @_ZL9mul_mat_fI15__hip_bfloat162Li64ELi13ELi7ELb0EEvPKT_PKfPKiPfiiiiiiiiiiiiiiii
; %bb.0:
	s_load_dword s5, s[0:1], 0x20
	s_load_dwordx4 s[16:19], s[0:1], 0x2c
	v_bfe_u32 v34, v0, 10, 10
	v_lshlrev_b32_e32 v36, 6, v34
	v_and_b32_e32 v35, 0x3ff, v0
	v_add_u32_e32 v38, v36, v35
	s_waitcnt lgkmcnt(0)
	s_ashr_i32 s19, s4, 31
	v_cmp_le_i32_e32 vcc, s5, v38
	v_and_b32_e32 v37, 15, v35
	s_and_saveexec_b64 s[6:7], vcc
	s_xor_b64 s[6:7], exec, s[6:7]
; %bb.1:
	v_and_b32_e32 v37, 15, v35
                                        ; implicit-def: $vgpr38
; %bb.2:
	s_or_saveexec_b64 s[24:25], s[6:7]
	s_load_dwordx8 s[8:15], s[0:1], 0x40
	s_load_dwordx2 s[6:7], s[0:1], 0x18
	v_mov_b32_e32 v15, 0
	s_lshl_b32 s2, s2, 6
	v_mov_b32_e32 v14, v15
	v_mov_b32_e32 v13, v15
	;; [unrolled: 1-line block ×15, first 2 shown]
	s_xor_b64 exec, exec, s[24:25]
	s_cbranch_execz .LBB143_6
; %bb.3:
	s_waitcnt lgkmcnt(0)
	s_abs_i32 s26, s8
	v_cvt_f32_u32_e32 v0, s26
	s_abs_i32 s27, s12
	v_cvt_f32_u32_e32 v1, s27
	s_sub_i32 s20, 0, s26
	v_rcp_iflag_f32_e32 v0, v0
	s_abs_i32 s28, s3
	v_rcp_iflag_f32_e32 v1, v1
	s_sub_i32 s21, 0, s27
	v_mul_f32_e32 v0, 0x4f7ffffe, v0
	v_cvt_u32_f32_e32 v0, v0
	v_mul_f32_e32 v1, 0x4f7ffffe, v1
	v_cvt_u32_f32_e32 v1, v1
	s_abs_i32 s29, s4
	v_mul_lo_u32 v2, s20, v0
	v_mul_hi_u32 v2, v0, v2
	v_add_u32_e32 v0, v0, v2
	v_mul_hi_u32 v0, s28, v0
	v_mul_lo_u32 v3, s21, v1
	v_mul_lo_u32 v2, v0, s26
	v_mul_hi_u32 v3, v1, v3
	v_sub_u32_e32 v2, s28, v2
	v_add_u32_e32 v1, v1, v3
	v_add_u32_e32 v3, 1, v0
	v_subrev_u32_e32 v4, s26, v2
	v_cmp_le_u32_e32 vcc, s26, v2
	s_load_dwordx4 s[20:23], s[0:1], 0x0
	s_ashr_i32 s0, s3, 31
	v_cndmask_b32_e32 v0, v0, v3, vcc
	v_cndmask_b32_e32 v2, v2, v4, vcc
	s_ashr_i32 s1, s8, 31
	v_add_u32_e32 v3, 1, v0
	v_cmp_le_u32_e32 vcc, s26, v2
	s_xor_b32 s0, s0, s1
	v_mul_hi_u32 v1, s29, v1
	v_cndmask_b32_e32 v0, v0, v3, vcc
	v_xor_b32_e32 v0, s0, v0
	v_subrev_u32_e32 v2, s0, v0
	v_mul_lo_u32 v0, v1, s27
	v_sub_u32_e32 v0, s29, v0
	v_add_u32_e32 v3, 1, v1
	v_subrev_u32_e32 v4, s27, v0
	v_cmp_le_u32_e32 vcc, s27, v0
	s_ashr_i32 s8, s12, 31
	s_xor_b32 s0, s19, s8
	v_cndmask_b32_e32 v1, v1, v3, vcc
	v_cndmask_b32_e32 v0, v0, v4, vcc
	v_add_u32_e32 v3, 1, v1
	v_cmp_le_u32_e32 vcc, s27, v0
	v_mul_lo_u32 v2, v2, s9
	s_mul_hi_i32 s9, s14, s4
	v_cndmask_b32_e32 v0, v1, v3, vcc
	v_xor_b32_e32 v0, s0, v0
	s_mul_i32 s8, s14, s4
	v_subrev_u32_e32 v0, s0, v0
	s_lshl_b64 s[26:27], s[8:9], 2
	v_mul_hi_i32 v1, v0, s13
	v_mul_lo_u32 v0, v0, s13
	s_mul_i32 s0, s16, s2
	s_mul_i32 s28, s10, s3
	s_waitcnt lgkmcnt(0)
	s_add_u32 s8, s22, s26
	v_ashrrev_i32_e32 v3, 31, v2
	v_lshlrev_b64 v[0:1], 2, v[0:1]
	s_addc_u32 s9, s23, s27
	s_ashr_i32 s1, s0, 31
	s_ashr_i32 s29, s28, 31
	v_lshl_add_u64 v[4:5], s[20:21], 0, v[0:1]
	v_lshlrev_b64 v[2:3], 2, v[2:3]
	s_lshl_b64 s[12:13], s[0:1], 2
	s_lshl_b64 s[28:29], s[28:29], 2
	v_lshl_add_u64 v[4:5], v[4:5], 0, v[2:3]
	s_add_u32 s0, s8, s28
	s_movk_i32 s8, 0x1080
	v_lshrrev_b32_e32 v7, 1, v35
	v_lshl_add_u64 v[2:3], v[2:3], 0, s[12:13]
	v_lshl_add_u64 v[16:17], v[4:5], 0, s[12:13]
	v_mov_b32_e32 v19, 0
	v_mad_u32_u24 v5, v34, s8, 0
	v_lshlrev_b32_e32 v4, 2, v35
	v_mul_u32_u24_e32 v6, 0x108, v37
	v_and_b32_e32 v7, 0x1f8, v7
	v_lshlrev_b32_e32 v18, 8, v34
	v_lshl_add_u64 v[0:1], v[2:3], 0, v[0:1]
	s_addc_u32 s1, s9, s29
	v_add_u32_e32 v39, v5, v4
	v_add3_u32 v40, v5, v6, v7
	s_ashr_i32 s9, s16, 31
	s_mov_b32 s8, s16
	s_ashr_i32 s75, s17, 31
	s_mov_b32 s74, s17
	v_lshl_add_u64 v[0:1], v[0:1], 0, v[18:19]
	v_mov_b32_e32 v5, v19
	s_add_i32 s10, s16, s16
	s_add_i32 s14, s17, s17
	s_lshl_b32 s30, s17, 2
	s_lshl_b32 s35, s17, 3
	;; [unrolled: 1-line block ×6, first 2 shown]
	s_lshl_b64 s[8:9], s[8:9], 2
	s_lshl_b64 s[12:13], s[74:75], 3
	v_lshl_add_u64 v[0:1], v[0:1], 0, v[4:5]
	v_lshlrev_b32_e32 v18, 9, v34
	s_add_u32 s22, s22, s28
	v_lshl_add_u64 v[20:21], s[20:21], 0, v[0:1]
	v_lshl_add_u64 v[0:1], s[26:27], 0, v[18:19]
	v_lshlrev_b32_e32 v18, 3, v35
	s_addc_u32 s23, s23, s29
	v_lshl_add_u64 v[0:1], v[0:1], 0, v[18:19]
	s_mul_i32 s19, s17, 3
	s_mul_i32 s31, s17, 5
	;; [unrolled: 1-line block ×45, first 2 shown]
	v_lshl_add_u64 v[22:23], s[22:23], 0, v[0:1]
	s_mul_i32 s77, s16, 44
	s_mul_i32 s78, s16, 45
	v_mov_b32_e32 v4, 0
	v_mov_b32_e32 v6, v19
	;; [unrolled: 1-line block ×15, first 2 shown]
	s_mul_i32 s79, s16, 46
	s_mul_i32 s80, s16, 47
	;; [unrolled: 1-line block ×18, first 2 shown]
	s_mov_b64 s[16:17], 0
	s_mov_b64 s[20:21], 0x700
	;; [unrolled: 1-line block ×3, first 2 shown]
.LBB143_4:                              ; =>This Inner Loop Header: Depth=1
	v_add_u32_e32 v30, s10, v38
	v_add_u32_e32 v26, s58, v38
	v_lshl_add_u64 v[24:25], v[20:21], 0, s[8:9]
	v_add_u32_e32 v32, s40, v38
	v_ashrrev_i32_e32 v31, 31, v30
	v_ashrrev_i32_e32 v27, 31, v26
	v_add_u32_e32 v28, s59, v38
	global_load_dword v45, v[24:25], off
	v_lshl_add_u64 v[30:31], v[30:31], 2, v[16:17]
	v_add_u32_e32 v24, s60, v38
	v_ashrrev_i32_e32 v33, 31, v32
	v_lshl_add_u64 v[26:27], v[26:27], 2, v[16:17]
	v_add_u32_e32 v42, s41, v38
	global_load_dword v46, v[30:31], off
	v_ashrrev_i32_e32 v29, 31, v28
	global_load_dword v26, v[26:27], off
	v_lshl_add_u64 v[30:31], v[32:33], 2, v[16:17]
	v_add_u32_e32 v32, s61, v38
	v_ashrrev_i32_e32 v25, 31, v24
	v_add_u32_e32 v48, s42, v38
	v_ashrrev_i32_e32 v43, 31, v42
	v_lshl_add_u64 v[28:29], v[28:29], 2, v[16:17]
	v_lshl_add_u64 v[24:25], v[24:25], 2, v[16:17]
	v_ashrrev_i32_e32 v33, 31, v32
	global_load_dword v47, v[30:31], off
	v_ashrrev_i32_e32 v49, 31, v48
	global_load_dword v24, v[24:25], off
	v_add_u32_e32 v54, s43, v38
	global_load_dword v27, v[28:29], off
	v_lshl_add_u64 v[30:31], v[42:43], 2, v[16:17]
	v_lshl_add_u64 v[28:29], v[32:33], 2, v[16:17]
	global_load_dword v50, v[30:31], off
	global_load_dword v25, v[28:29], off
	v_lshl_add_u64 v[30:31], v[48:49], 2, v[16:17]
	global_load_dword v52, v[30:31], off
	v_add_u32_e32 v30, s62, v38
	v_add_u32_e32 v56, s44, v38
	v_ashrrev_i32_e32 v55, 31, v54
	v_add_u32_e32 v48, s63, v38
	v_ashrrev_i32_e32 v31, 31, v30
	v_add_u32_e32 v58, s45, v38
	v_lshl_add_u64 v[42:43], v[54:55], 2, v[16:17]
	v_ashrrev_i32_e32 v57, 31, v56
	v_add_u32_e32 v84, s64, v38
	v_lshl_add_u64 v[28:29], v[30:31], 2, v[16:17]
	v_ashrrev_i32_e32 v49, 31, v48
	v_add_u32_e32 v60, s46, v38
	global_load_dword v53, v[42:43], off
	v_ashrrev_i32_e32 v59, 31, v58
	v_add_u32_e32 v86, s65, v38
	global_load_dword v28, v[28:29], off
	v_lshl_add_u64 v[42:43], v[56:57], 2, v[16:17]
	v_lshl_add_u64 v[30:31], v[48:49], 2, v[16:17]
	v_ashrrev_i32_e32 v85, 31, v84
	v_add_u32_e32 v62, s47, v38
	global_load_dword v54, v[42:43], off
	global_load_dword v29, v[30:31], off
	v_lshl_add_u64 v[42:43], v[58:59], 2, v[16:17]
	v_ashrrev_i32_e32 v61, 31, v60
	v_add_u32_e32 v88, s66, v38
	v_lshl_add_u64 v[30:31], v[84:85], 2, v[16:17]
	v_ashrrev_i32_e32 v87, 31, v86
	v_add_u32_e32 v64, s48, v38
	global_load_dword v57, v[42:43], off
	v_ashrrev_i32_e32 v63, 31, v62
	global_load_dword v30, v[30:31], off
	v_lshl_add_u64 v[42:43], v[60:61], 2, v[16:17]
	v_lshl_add_u64 v[32:33], v[86:87], 2, v[16:17]
	v_ashrrev_i32_e32 v89, 31, v88
	v_add_u32_e32 v66, s49, v38
	global_load_dword v58, v[42:43], off
	global_load_dword v31, v[32:33], off
	v_lshl_add_u64 v[42:43], v[62:63], 2, v[16:17]
	v_ashrrev_i32_e32 v65, 31, v64
	v_lshl_add_u64 v[32:33], v[88:89], 2, v[16:17]
	v_add_u32_e32 v68, s50, v38
	global_load_dword v61, v[42:43], off
	v_ashrrev_i32_e32 v67, 31, v66
	global_load_dword v32, v[32:33], off
	v_lshl_add_u64 v[42:43], v[64:65], 2, v[16:17]
	v_add_u32_e32 v70, s51, v38
	global_load_dword v62, v[42:43], off
	v_lshl_add_u64 v[42:43], v[66:67], 2, v[16:17]
	v_ashrrev_i32_e32 v69, 31, v68
	v_add_u32_e32 v72, s52, v38
	global_load_dword v65, v[42:43], off
	v_lshl_add_u64 v[42:43], v[68:69], 2, v[16:17]
	v_ashrrev_i32_e32 v71, 31, v70
	global_load_dword v66, v[42:43], off
	v_lshl_add_u64 v[42:43], v[70:71], 2, v[16:17]
	v_ashrrev_i32_e32 v73, 31, v72
	global_load_dword v68, v[42:43], off
	v_lshl_add_u64 v[42:43], v[72:73], 2, v[16:17]
	v_add_u32_e32 v72, s67, v38
	v_add_u32_e32 v74, s53, v38
	v_ashrrev_i32_e32 v73, 31, v72
	v_ashrrev_i32_e32 v75, 31, v74
	v_lshl_add_u64 v[48:49], v[72:73], 2, v[16:17]
	global_load_dword v70, v[42:43], off
	global_load_dword v33, v[48:49], off
	v_lshl_add_u64 v[42:43], v[74:75], 2, v[16:17]
	v_add_u32_e32 v74, s68, v38
	v_add_u32_e32 v76, s54, v38
	;; [unrolled: 1-line block ×3, first 2 shown]
	v_ashrrev_i32_e32 v75, 31, v74
	v_add_u32_e32 v78, s55, v38
	v_ashrrev_i32_e32 v77, 31, v76
	v_lshl_add_u64 v[48:49], v[74:75], 2, v[16:17]
	v_ashrrev_i32_e32 v73, 31, v72
	global_load_dword v18, v[42:43], off
	v_ashrrev_i32_e32 v79, 31, v78
	global_load_dword v48, v[48:49], off
	v_lshl_add_u64 v[42:43], v[76:77], 2, v[16:17]
	v_lshl_add_u64 v[72:73], v[72:73], 2, v[16:17]
	global_load_dword v41, v[42:43], off
	global_load_dword v60, v[72:73], off
	v_lshl_add_u64 v[42:43], v[78:79], 2, v[16:17]
	v_add_u32_e32 v78, s69, v38
	v_ashrrev_i32_e32 v79, 31, v78
	v_add_u32_e32 v80, s56, v38
	v_lshl_add_u64 v[74:75], v[78:79], 2, v[16:17]
	v_add_u32_e32 v78, s73, v38
	v_add_u32_e32 v82, s57, v38
	v_ashrrev_i32_e32 v81, 31, v80
	v_ashrrev_i32_e32 v79, 31, v78
	v_lshl_add_u64 v[76:77], v[80:81], 2, v[16:17]
	v_ashrrev_i32_e32 v83, 31, v82
	v_lshl_add_u64 v[72:73], v[78:79], 2, v[16:17]
	global_load_dword v42, v[42:43], off
	v_add_u32_e32 v80, s71, v38
	global_load_dword v49, v[74:75], off
	global_load_dword v63, v[72:73], off
	;; [unrolled: 1-line block ×3, first 2 shown]
	v_lshl_add_u64 v[76:77], v[82:83], 2, v[16:17]
	global_load_dword v44, v[76:77], off
	v_add_u32_e32 v76, s70, v38
	v_ashrrev_i32_e32 v77, 31, v76
	v_lshl_add_u64 v[74:75], v[76:77], 2, v[16:17]
	v_add_u32_e32 v76, s74, v38
	v_ashrrev_i32_e32 v77, 31, v76
	v_ashrrev_i32_e32 v81, 31, v80
	v_lshl_add_u64 v[72:73], v[76:77], 2, v[16:17]
	global_load_dword v51, v[74:75], off
	global_load_dword v64, v[72:73], off
	v_lshl_add_u64 v[74:75], v[80:81], 2, v[16:17]
	v_add_u32_e32 v80, s75, v38
	v_add_u32_e32 v82, s72, v38
	v_ashrrev_i32_e32 v81, 31, v80
	v_add_u32_e32 v84, s28, v38
	v_ashrrev_i32_e32 v83, 31, v82
	v_lshl_add_u64 v[72:73], v[80:81], 2, v[16:17]
	global_load_dword v55, v[74:75], off
	global_load_dword v67, v[72:73], off
	v_lshl_add_u64 v[74:75], v[82:83], 2, v[16:17]
	v_ashrrev_i32_e32 v85, 31, v84
	global_load_dword v56, v[74:75], off
	v_lshl_add_u64 v[74:75], v[84:85], 2, v[16:17]
	global_load_dword v59, v[74:75], off
	v_add_u32_e32 v74, s76, v38
	v_add_u32_e32 v76, s26, v38
	v_ashrrev_i32_e32 v75, 31, v74
	v_lshl_add_u64 v[72:73], v[74:75], 2, v[16:17]
	v_ashrrev_i32_e32 v77, 31, v76
	v_add_u32_e32 v74, s27, v38
	global_load_dword v69, v[72:73], off
	v_lshl_add_u64 v[72:73], v[76:77], 2, v[16:17]
	v_ashrrev_i32_e32 v75, 31, v74
	global_load_dword v71, v[72:73], off
	v_lshl_add_u64 v[72:73], v[74:75], 2, v[16:17]
	v_add_u32_e32 v74, s77, v38
	v_ashrrev_i32_e32 v75, 31, v74
	v_lshl_add_u64 v[74:75], v[74:75], 2, v[16:17]
	global_load_dword v72, v[72:73], off
	v_add_u32_e32 v76, s79, v38
	global_load_dword v73, v[74:75], off
	v_add_u32_e32 v74, s78, v38
	v_ashrrev_i32_e32 v75, 31, v74
	v_ashrrev_i32_e32 v77, 31, v76
	v_lshl_add_u64 v[74:75], v[74:75], 2, v[16:17]
	v_lshl_add_u64 v[76:77], v[76:77], 2, v[16:17]
	global_load_dword v74, v[74:75], off
	v_add_u32_e32 v78, s81, v38
	global_load_dword v75, v[76:77], off
	v_add_u32_e32 v76, s80, v38
	v_ashrrev_i32_e32 v77, 31, v76
	v_ashrrev_i32_e32 v79, 31, v78
	v_lshl_add_u64 v[76:77], v[76:77], 2, v[16:17]
	;; [unrolled: 8-line block ×9, first 2 shown]
	v_lshl_add_u64 v[92:93], v[92:93], 2, v[16:17]
	global_load_dword v90, v[90:91], off
	v_add_u32_e32 v94, s31, v38
	global_load_dword v91, v[92:93], off
	v_add_u32_e32 v92, s96, v38
	v_ashrrev_i32_e32 v93, 31, v92
	v_lshl_add_u64 v[92:93], v[92:93], 2, v[16:17]
	global_load_dword v106, v[92:93], off
	s_nop 0
	global_load_dword v92, v[20:21], off
	s_waitcnt vmcnt(62)
	ds_write_b32 v39, v45 offset:264
	v_ashrrev_i32_e32 v95, 31, v94
	v_lshl_add_u64 v[94:95], v[94:95], 3, s[0:1]
	v_lshl_add_u64 v[20:21], v[20:21], 0, s[20:21]
	s_waitcnt vmcnt(0)
	ds_write_b32 v39, v92
	global_load_dwordx2 v[92:93], v[22:23], off
	s_waitcnt vmcnt(0)
	v_cvt_pk_bf16_f32 v107, v92, v93
	v_lshl_add_u64 v[92:93], v[22:23], 0, s[12:13]
	global_load_dwordx2 v[92:93], v[92:93], off
	ds_write_b32 v39, v46 offset:528
	ds_write_b32 v39, v47 offset:792
	;; [unrolled: 1-line block ×14, first 2 shown]
	v_add_u32_e32 v46, s14, v38
	v_add_u32_e32 v52, s19, v38
	v_ashrrev_i32_e32 v47, 31, v46
	v_ashrrev_i32_e32 v53, 31, v52
	v_lshl_add_u64 v[46:47], v[46:47], 3, s[0:1]
	v_lshl_add_u64 v[52:53], v[52:53], 3, s[0:1]
	;; [unrolled: 1-line block ×3, first 2 shown]
	s_waitcnt vmcnt(0)
	v_cvt_pk_bf16_f32 v108, v92, v93
	v_add_u32_e32 v92, s30, v38
	v_ashrrev_i32_e32 v93, 31, v92
	v_lshl_add_u64 v[92:93], v[92:93], 3, s[0:1]
	global_load_dwordx2 v[46:47], v[46:47], off
	s_nop 0
	global_load_dwordx2 v[52:53], v[52:53], off
	s_nop 0
	;; [unrolled: 2-line block ×3, first 2 shown]
	global_load_dwordx2 v[94:95], v[94:95], off
	s_waitcnt vmcnt(3)
	v_cvt_pk_bf16_f32 v109, v46, v47
	s_waitcnt vmcnt(2)
	v_cvt_pk_bf16_f32 v110, v52, v53
	;; [unrolled: 2-line block ×4, first 2 shown]
	v_add_u32_e32 v46, s33, v38
	v_add_u32_e32 v52, s34, v38
	;; [unrolled: 1-line block ×4, first 2 shown]
	v_ashrrev_i32_e32 v47, 31, v46
	v_ashrrev_i32_e32 v53, 31, v52
	;; [unrolled: 1-line block ×4, first 2 shown]
	v_lshl_add_u64 v[46:47], v[46:47], 3, s[0:1]
	v_lshl_add_u64 v[52:53], v[52:53], 3, s[0:1]
	;; [unrolled: 1-line block ×4, first 2 shown]
	global_load_dwordx2 v[46:47], v[46:47], off
	s_nop 0
	global_load_dwordx2 v[52:53], v[52:53], off
	s_nop 0
	;; [unrolled: 2-line block ×3, first 2 shown]
	global_load_dwordx2 v[94:95], v[94:95], off
	s_waitcnt vmcnt(3)
	v_cvt_pk_bf16_f32 v113, v46, v47
	s_waitcnt vmcnt(2)
	v_cvt_pk_bf16_f32 v114, v52, v53
	;; [unrolled: 2-line block ×3, first 2 shown]
	v_add_u32_e32 v46, s37, v38
	v_add_u32_e32 v52, s38, v38
	;; [unrolled: 1-line block ×3, first 2 shown]
	v_ashrrev_i32_e32 v47, 31, v46
	v_ashrrev_i32_e32 v53, 31, v52
	v_ashrrev_i32_e32 v93, 31, v92
	v_lshl_add_u64 v[46:47], v[46:47], 3, s[0:1]
	v_lshl_add_u64 v[52:53], v[52:53], 3, s[0:1]
	;; [unrolled: 1-line block ×3, first 2 shown]
	global_load_dwordx2 v[46:47], v[46:47], off
	s_nop 0
	global_load_dwordx2 v[52:53], v[52:53], off
	s_nop 0
	global_load_dwordx2 v[92:93], v[92:93], off
	s_waitcnt vmcnt(3)
	v_cvt_pk_bf16_f32 v116, v94, v95
	v_add_u32_e32 v38, 0x1c0, v38
	v_cmp_le_i32_e32 vcc, s5, v38
	s_or_b64 s[16:17], vcc, s[16:17]
	s_waitcnt vmcnt(2)
	v_cvt_pk_bf16_f32 v117, v46, v47
	s_waitcnt vmcnt(1)
	v_cvt_pk_bf16_f32 v118, v52, v53
	;; [unrolled: 2-line block ×3, first 2 shown]
	ds_read_b64 v[46:47], v40
	ds_read_b64 v[52:53], v40 offset:32
	ds_read_b64 v[92:93], v40 offset:64
	ds_read_b64 v[94:95], v40 offset:96
	ds_read_b64 v[96:97], v40 offset:128
	ds_read_b64 v[98:99], v40 offset:160
	ds_read_b64 v[100:101], v40 offset:192
	ds_read_b64 v[102:103], v40 offset:224
	ds_write_b32 v39, v18
	ds_write_b32 v39, v41 offset:264
	ds_write_b32 v39, v42 offset:528
	ds_write_b32 v39, v43 offset:792
	ds_write_b32 v39, v44 offset:1056
	ds_write_b32 v39, v26 offset:1320
	ds_write_b32 v39, v27 offset:1584
	ds_write_b32 v39, v24 offset:1848
	ds_write_b32 v39, v25 offset:2112
	ds_write_b32 v39, v28 offset:2376
	ds_write_b32 v39, v29 offset:2640
	ds_write_b32 v39, v30 offset:2904
	ds_write_b32 v39, v31 offset:3168
	ds_write_b32 v39, v32 offset:3432
	ds_write_b32 v39, v33 offset:3696
	ds_write_b32 v39, v48 offset:3960
	ds_read_b64 v[24:25], v40
	ds_read_b64 v[26:27], v40 offset:32
	ds_read_b64 v[28:29], v40 offset:64
	ds_read_b64 v[30:31], v40 offset:96
	ds_read_b64 v[32:33], v40 offset:128
	ds_read_b64 v[42:43], v40 offset:160
	ds_read_b64 v[44:45], v40 offset:192
	ds_read_b64 v[104:105], v40 offset:224
	ds_write_b32 v39, v49
	ds_write_b32 v39, v51 offset:264
	ds_write_b32 v39, v55 offset:528
	ds_write_b32 v39, v56 offset:792
	ds_write_b32 v39, v59 offset:1056
	ds_write_b32 v39, v60 offset:1320
	ds_write_b32 v39, v63 offset:1584
	ds_write_b32 v39, v64 offset:1848
	ds_write_b32 v39, v67 offset:2112
	ds_write_b32 v39, v69 offset:2376
	ds_write_b32 v39, v71 offset:2640
	ds_write_b32 v39, v72 offset:2904
	ds_write_b32 v39, v73 offset:3168
	ds_write_b32 v39, v74 offset:3432
	ds_write_b32 v39, v75 offset:3696
	ds_write_b32 v39, v76 offset:3960
	;; [unrolled: 24-line block ×4, first 2 shown]
	ds_read_b64 v[82:83], v40
	ds_read_b64 v[84:85], v40 offset:32
	ds_read_b64 v[86:87], v40 offset:64
	;; [unrolled: 1-line block ×3, first 2 shown]
	s_waitcnt lgkmcnt(3)
	v_mfma_f32_16x16x16_bf16 v[12:15], v[46:47], v[82:83], v[12:15]
	v_mfma_f32_16x16x16_bf16 v[8:11], v[24:25], v[82:83], v[8:11]
	ds_read_b64 v[24:25], v40 offset:128
	v_mfma_f32_16x16x16_bf16 v[0:3], v[48:49], v[82:83], v[0:3]
	v_mfma_f32_16x16x16_bf16 v[4:7], v[66:67], v[82:83], v[4:7]
	s_waitcnt lgkmcnt(3)
	v_mfma_f32_16x16x16_bf16 v[12:15], v[52:53], v[84:85], v[12:15]
	v_mfma_f32_16x16x16_bf16 v[8:11], v[26:27], v[84:85], v[8:11]
	v_mfma_f32_16x16x16_bf16 v[0:3], v[50:51], v[84:85], v[0:3]
	v_mfma_f32_16x16x16_bf16 v[4:7], v[68:69], v[84:85], v[4:7]
	s_waitcnt lgkmcnt(2)
	v_mfma_f32_16x16x16_bf16 v[12:15], v[92:93], v[86:87], v[12:15]
	v_mfma_f32_16x16x16_bf16 v[8:11], v[28:29], v[86:87], v[8:11]
	v_mfma_f32_16x16x16_bf16 v[0:3], v[54:55], v[86:87], v[0:3]
	v_mfma_f32_16x16x16_bf16 v[4:7], v[70:71], v[86:87], v[4:7]
	s_waitcnt lgkmcnt(1)
	v_mfma_f32_16x16x16_bf16 v[12:15], v[94:95], v[88:89], v[12:15]
	v_mfma_f32_16x16x16_bf16 v[8:11], v[30:31], v[88:89], v[8:11]
	ds_read_b64 v[26:27], v40 offset:160
	ds_read_b64 v[28:29], v40 offset:192
	;; [unrolled: 1-line block ×3, first 2 shown]
	v_mfma_f32_16x16x16_bf16 v[0:3], v[56:57], v[88:89], v[0:3]
	v_mfma_f32_16x16x16_bf16 v[4:7], v[72:73], v[88:89], v[4:7]
	s_waitcnt lgkmcnt(3)
	v_mfma_f32_16x16x16_bf16 v[12:15], v[96:97], v[24:25], v[12:15]
	v_mfma_f32_16x16x16_bf16 v[8:11], v[32:33], v[24:25], v[8:11]
	v_mfma_f32_16x16x16_bf16 v[0:3], v[58:59], v[24:25], v[0:3]
	v_mfma_f32_16x16x16_bf16 v[4:7], v[74:75], v[24:25], v[4:7]
	s_waitcnt lgkmcnt(2)
	v_mfma_f32_16x16x16_bf16 v[12:15], v[98:99], v[26:27], v[12:15]
	v_mfma_f32_16x16x16_bf16 v[8:11], v[42:43], v[26:27], v[8:11]
	;; [unrolled: 5-line block ×4, first 2 shown]
	v_mfma_f32_16x16x16_bf16 v[0:3], v[64:65], v[30:31], v[0:3]
	v_mfma_f32_16x16x16_bf16 v[4:7], v[80:81], v[30:31], v[4:7]
	s_andn2_b64 exec, exec, s[16:17]
	s_cbranch_execnz .LBB143_4
; %bb.5:
	s_or_b64 exec, exec, s[16:17]
.LBB143_6:
	s_or_b64 exec, exec, s[24:25]
	s_waitcnt lgkmcnt(0)
	s_mul_hi_i32 s1, s15, s4
	s_mul_i32 s0, s15, s4
	s_lshl_b64 s[0:1], s[0:1], 2
	s_mul_i32 s4, s11, s3
	s_add_u32 s3, s6, s0
	s_addc_u32 s6, s7, s1
	s_ashr_i32 s5, s4, 31
	v_lshl_add_u32 v16, v36, 2, 0
	v_mul_u32_u24_e32 v17, 0x708, v37
	v_and_b32_e32 v18, 0x3f0, v35
	s_lshl_b64 s[0:1], s[4:5], 2
	v_add3_u32 v16, v16, v17, v18
	s_add_u32 s0, s3, s0
	s_barrier
	s_movk_i32 s3, 0x708
	ds_write2_b32 v16, v12, v13 offset1:1
	ds_write2_b32 v16, v14, v15 offset0:2 offset1:3
	ds_write2_b32 v16, v8, v9 offset0:16 offset1:17
	;; [unrolled: 1-line block ×7, first 2 shown]
	v_lshl_add_u32 v2, v35, 2, 0
	v_mad_u32_u24 v3, v34, s3, v2
	s_waitcnt lgkmcnt(0)
	s_barrier
	ds_read2st64_b32 v[0:1], v3 offset1:1
	ds_read2st64_b32 v[4:5], v3 offset0:2 offset1:3
	ds_read2st64_b32 v[6:7], v3 offset0:4 offset1:5
	ds_read_b32 v3, v3 offset:1536
	s_addc_u32 s1, s6, s1
	v_cmp_gt_u32_e32 vcc, 6, v34
	s_waitcnt lgkmcnt(3)
	v_add_f32_e32 v0, 0, v0
	v_add_f32_e32 v0, v0, v1
	s_waitcnt lgkmcnt(2)
	v_add_f32_e32 v0, v0, v4
	v_add_f32_e32 v0, v0, v5
	;; [unrolled: 3-line block ×3, first 2 shown]
	s_waitcnt lgkmcnt(0)
	v_add_f32_e32 v3, v0, v3
	v_mul_lo_u32 v0, v34, s18
	v_add3_u32 v0, s2, v35, v0
	v_mov_b32_e32 v1, 0
	v_lshl_add_u64 v[4:5], v[0:1], 2, s[0:1]
	global_store_dword v[4:5], v3, off
	s_and_saveexec_b64 s[2:3], vcc
	s_cbranch_execz .LBB143_8
; %bb.7:
	v_mul_u32_u24_e32 v3, 0x708, v34
	v_add_u32_e32 v6, v3, v2
	v_add_u32_e32 v7, 56, v6
	ds_read2st64_b32 v[2:3], v7 offset0:49 offset1:50
	ds_read2st64_b32 v[4:5], v7 offset0:51 offset1:52
	ds_read_b32 v8, v6 offset:14136
	ds_read2st64_b32 v[6:7], v7 offset0:53 offset1:54
	s_waitcnt lgkmcnt(3)
	v_add_f32_e32 v2, 0, v2
	v_add_f32_e32 v2, v2, v3
	s_waitcnt lgkmcnt(2)
	v_add_f32_e32 v2, v2, v4
	v_add_f32_e32 v2, v2, v5
	;; [unrolled: 3-line block ×3, first 2 shown]
	v_add_f32_e32 v4, v2, v8
	v_mad_u64_u32 v[2:3], s[2:3], s18, 7, v[0:1]
	v_mov_b32_e32 v3, v1
	v_lshl_add_u64 v[0:1], v[2:3], 2, s[0:1]
	global_store_dword v[0:1], v4, off
.LBB143_8:
	s_endpgm
	.section	.rodata,"a",@progbits
	.p2align	6, 0x0
	.amdhsa_kernel _ZL9mul_mat_fI15__hip_bfloat162Li64ELi13ELi7ELb0EEvPKT_PKfPKiPfiiiiiiiiiiiiiiii
		.amdhsa_group_segment_fixed_size 0
		.amdhsa_private_segment_fixed_size 0
		.amdhsa_kernarg_size 96
		.amdhsa_user_sgpr_count 2
		.amdhsa_user_sgpr_dispatch_ptr 0
		.amdhsa_user_sgpr_queue_ptr 0
		.amdhsa_user_sgpr_kernarg_segment_ptr 1
		.amdhsa_user_sgpr_dispatch_id 0
		.amdhsa_user_sgpr_kernarg_preload_length 0
		.amdhsa_user_sgpr_kernarg_preload_offset 0
		.amdhsa_user_sgpr_private_segment_size 0
		.amdhsa_uses_dynamic_stack 0
		.amdhsa_enable_private_segment 0
		.amdhsa_system_sgpr_workgroup_id_x 1
		.amdhsa_system_sgpr_workgroup_id_y 1
		.amdhsa_system_sgpr_workgroup_id_z 1
		.amdhsa_system_sgpr_workgroup_info 0
		.amdhsa_system_vgpr_workitem_id 1
		.amdhsa_next_free_vgpr 120
		.amdhsa_next_free_sgpr 97
		.amdhsa_accum_offset 120
		.amdhsa_reserve_vcc 1
		.amdhsa_float_round_mode_32 0
		.amdhsa_float_round_mode_16_64 0
		.amdhsa_float_denorm_mode_32 3
		.amdhsa_float_denorm_mode_16_64 3
		.amdhsa_dx10_clamp 1
		.amdhsa_ieee_mode 1
		.amdhsa_fp16_overflow 0
		.amdhsa_tg_split 0
		.amdhsa_exception_fp_ieee_invalid_op 0
		.amdhsa_exception_fp_denorm_src 0
		.amdhsa_exception_fp_ieee_div_zero 0
		.amdhsa_exception_fp_ieee_overflow 0
		.amdhsa_exception_fp_ieee_underflow 0
		.amdhsa_exception_fp_ieee_inexact 0
		.amdhsa_exception_int_div_zero 0
	.end_amdhsa_kernel
	.section	.text._ZL9mul_mat_fI15__hip_bfloat162Li64ELi13ELi7ELb0EEvPKT_PKfPKiPfiiiiiiiiiiiiiiii,"axG",@progbits,_ZL9mul_mat_fI15__hip_bfloat162Li64ELi13ELi7ELb0EEvPKT_PKfPKiPfiiiiiiiiiiiiiiii,comdat
.Lfunc_end143:
	.size	_ZL9mul_mat_fI15__hip_bfloat162Li64ELi13ELi7ELb0EEvPKT_PKfPKiPfiiiiiiiiiiiiiiii, .Lfunc_end143-_ZL9mul_mat_fI15__hip_bfloat162Li64ELi13ELi7ELb0EEvPKT_PKfPKiPfiiiiiiiiiiiiiiii
                                        ; -- End function
	.set _ZL9mul_mat_fI15__hip_bfloat162Li64ELi13ELi7ELb0EEvPKT_PKfPKiPfiiiiiiiiiiiiiiii.num_vgpr, 120
	.set _ZL9mul_mat_fI15__hip_bfloat162Li64ELi13ELi7ELb0EEvPKT_PKfPKiPfiiiiiiiiiiiiiiii.num_agpr, 0
	.set _ZL9mul_mat_fI15__hip_bfloat162Li64ELi13ELi7ELb0EEvPKT_PKfPKiPfiiiiiiiiiiiiiiii.numbered_sgpr, 97
	.set _ZL9mul_mat_fI15__hip_bfloat162Li64ELi13ELi7ELb0EEvPKT_PKfPKiPfiiiiiiiiiiiiiiii.num_named_barrier, 0
	.set _ZL9mul_mat_fI15__hip_bfloat162Li64ELi13ELi7ELb0EEvPKT_PKfPKiPfiiiiiiiiiiiiiiii.private_seg_size, 0
	.set _ZL9mul_mat_fI15__hip_bfloat162Li64ELi13ELi7ELb0EEvPKT_PKfPKiPfiiiiiiiiiiiiiiii.uses_vcc, 1
	.set _ZL9mul_mat_fI15__hip_bfloat162Li64ELi13ELi7ELb0EEvPKT_PKfPKiPfiiiiiiiiiiiiiiii.uses_flat_scratch, 0
	.set _ZL9mul_mat_fI15__hip_bfloat162Li64ELi13ELi7ELb0EEvPKT_PKfPKiPfiiiiiiiiiiiiiiii.has_dyn_sized_stack, 0
	.set _ZL9mul_mat_fI15__hip_bfloat162Li64ELi13ELi7ELb0EEvPKT_PKfPKiPfiiiiiiiiiiiiiiii.has_recursion, 0
	.set _ZL9mul_mat_fI15__hip_bfloat162Li64ELi13ELi7ELb0EEvPKT_PKfPKiPfiiiiiiiiiiiiiiii.has_indirect_call, 0
	.section	.AMDGPU.csdata,"",@progbits
; Kernel info:
; codeLenInByte = 4792
; TotalNumSgprs: 103
; NumVgprs: 120
; NumAgprs: 0
; TotalNumVgprs: 120
; ScratchSize: 0
; MemoryBound: 0
; FloatMode: 240
; IeeeMode: 1
; LDSByteSize: 0 bytes/workgroup (compile time only)
; SGPRBlocks: 12
; VGPRBlocks: 14
; NumSGPRsForWavesPerEU: 103
; NumVGPRsForWavesPerEU: 120
; AccumOffset: 120
; Occupancy: 4
; WaveLimiterHint : 0
; COMPUTE_PGM_RSRC2:SCRATCH_EN: 0
; COMPUTE_PGM_RSRC2:USER_SGPR: 2
; COMPUTE_PGM_RSRC2:TRAP_HANDLER: 0
; COMPUTE_PGM_RSRC2:TGID_X_EN: 1
; COMPUTE_PGM_RSRC2:TGID_Y_EN: 1
; COMPUTE_PGM_RSRC2:TGID_Z_EN: 1
; COMPUTE_PGM_RSRC2:TIDIG_COMP_CNT: 1
; COMPUTE_PGM_RSRC3_GFX90A:ACCUM_OFFSET: 29
; COMPUTE_PGM_RSRC3_GFX90A:TG_SPLIT: 0
	.section	.text._ZL13mul_mat_f_idsI15__hip_bfloat162Li64ELi13ELi8EEvPKT_PKfPKiS7_S7_Pfiiiiiiiiiiiiii15HIP_vector_typeIjLj3EESA_,"axG",@progbits,_ZL13mul_mat_f_idsI15__hip_bfloat162Li64ELi13ELi8EEvPKT_PKfPKiS7_S7_Pfiiiiiiiiiiiiii15HIP_vector_typeIjLj3EESA_,comdat
	.globl	_ZL13mul_mat_f_idsI15__hip_bfloat162Li64ELi13ELi8EEvPKT_PKfPKiS7_S7_Pfiiiiiiiiiiiiii15HIP_vector_typeIjLj3EESA_ ; -- Begin function _ZL13mul_mat_f_idsI15__hip_bfloat162Li64ELi13ELi8EEvPKT_PKfPKiS7_S7_Pfiiiiiiiiiiiiii15HIP_vector_typeIjLj3EESA_
	.p2align	8
	.type	_ZL13mul_mat_f_idsI15__hip_bfloat162Li64ELi13ELi8EEvPKT_PKfPKiS7_S7_Pfiiiiiiiiiiiiii15HIP_vector_typeIjLj3EESA_,@function
_ZL13mul_mat_f_idsI15__hip_bfloat162Li64ELi13ELi8EEvPKT_PKfPKiS7_S7_Pfiiiiiiiiiiiiii15HIP_vector_typeIjLj3EESA_: ; @_ZL13mul_mat_f_idsI15__hip_bfloat162Li64ELi13ELi8EEvPKT_PKfPKiS7_S7_Pfiiiiiiiiiiiiii15HIP_vector_typeIjLj3EESA_
; %bb.0:
	s_load_dwordx2 s[6:7], s[0:1], 0x20
	s_mov_b32 s34, s3
	s_ashr_i32 s35, s3, 31
	s_lshl_b64 s[8:9], s[34:35], 2
	s_waitcnt lgkmcnt(0)
	s_add_u32 s6, s6, s8
	s_addc_u32 s7, s7, s9
	s_load_dwordx2 s[30:31], s[6:7], 0x0
	s_waitcnt lgkmcnt(0)
	s_sub_i32 s26, s31, s30
	s_add_i32 s3, s26, 12
	s_mul_hi_i32 s3, s3, 0x4ec4ec4f
	s_lshr_b32 s5, s3, 31
	s_ashr_i32 s3, s3, 2
	s_add_i32 s3, s3, s5
	s_cmp_ge_i32 s4, s3
	s_cbranch_scc1 .LBB144_53
; %bb.1:
	v_bfe_u32 v16, v0, 10, 10
	v_lshlrev_b32_e32 v86, 6, v16
	v_and_b32_e32 v17, 0x3ff, v0
	s_load_dwordx4 s[12:15], s[0:1], 0x30
	s_load_dwordx2 s[20:21], s[0:1], 0x40
	s_load_dwordx4 s[8:11], s[0:1], 0x4c
	s_load_dwordx4 s[16:19], s[0:1], 0x68
	s_load_dwordx2 s[24:25], s[0:1], 0x78
	v_add_u32_e32 v88, v86, v17
	s_ashr_i32 s31, s30, 31
	s_waitcnt lgkmcnt(0)
	v_cmp_le_i32_e32 vcc, s12, v88
	v_and_b32_e32 v87, 15, v17
	s_and_saveexec_b64 s[6:7], vcc
	s_xor_b64 s[6:7], exec, s[6:7]
; %bb.2:
	v_and_b32_e32 v87, 15, v17
                                        ; implicit-def: $vgpr88
; %bb.3:
	s_or_saveexec_b64 s[36:37], s[6:7]
	s_load_dwordx2 s[22:23], s[0:1], 0x18
	s_load_dwordx2 s[6:7], s[0:1], 0x28
                                        ; implicit-def: $vgpr118 : SGPR spill to VGPR lane
	v_mov_b32_e32 v15, 0
	s_lshl_b32 s11, s2, 6
	s_mul_i32 s28, s4, 13
	v_mov_b32_e32 v14, v15
	s_waitcnt lgkmcnt(0)
	v_writelane_b32 v118, s6, 0
	v_mov_b32_e32 v13, v15
	v_mov_b32_e32 v12, v15
	;; [unrolled: 1-line block ×14, first 2 shown]
	v_writelane_b32 v118, s7, 1
	s_xor_b64 exec, exec, s[36:37]
	s_cbranch_execz .LBB144_46
; %bb.4:
	s_load_dwordx4 s[4:7], s[0:1], 0x0
	s_load_dwordx2 s[2:3], s[0:1], 0x10
	v_writelane_b32 v118, s36, 2
	s_mul_i32 s0, s8, s34
	s_ashr_i32 s1, s0, 31
	v_writelane_b32 v118, s37, 3
	v_writelane_b32 v118, s22, 4
	s_lshl_b64 s[64:65], s[0:1], 2
	s_waitcnt lgkmcnt(0)
	s_add_u32 s0, s4, s64
	v_writelane_b32 v118, s23, 5
	s_mul_i32 s22, s15, s11
	v_writelane_b32 v118, s24, 6
	s_addc_u32 s1, s5, s65
	s_ashr_i32 s23, s22, 31
	v_writelane_b32 v118, s25, 7
	s_lshl_b64 s[66:67], s[22:23], 2
	v_writelane_b32 v118, s11, 8
	s_add_u32 s0, s0, s66
	s_addc_u32 s1, s1, s67
	v_writelane_b32 v118, s30, 9
	s_lshl_b64 s[22:23], s[30:31], 2
	s_add_u32 s8, s2, s22
	s_addc_u32 s11, s3, s23
	s_movk_i32 s2, 0x1080
	s_cmp_lt_i32 s28, s26
	v_writelane_b32 v118, s31, 10
	v_mad_u32_u24 v1, v16, s2, 0
	s_cselect_b64 s[2:3], -1, 0
	v_writelane_b32 v118, s2, 11
	s_ashr_i32 s29, s28, 31
	s_mov_b32 s22, s15
	v_writelane_b32 v118, s3, 12
	s_lshl_b64 s[2:3], s[28:29], 2
	s_add_u32 s36, s8, s2
	s_addc_u32 s37, s11, s3
	s_add_i32 s2, s28, 1
	s_cmp_lt_i32 s2, s26
	s_cselect_b64 s[2:3], -1, 0
	v_writelane_b32 v118, s2, 13
	v_lshrrev_b32_e32 v3, 1, v17
	v_mov_b32_e32 v19, 0
	v_writelane_b32 v118, s3, 14
	s_add_i32 s2, s28, 2
	s_cmp_lt_i32 s2, s26
	s_cselect_b64 s[2:3], -1, 0
	v_writelane_b32 v118, s2, 15
	v_lshlrev_b32_e32 v0, 2, v17
	v_mul_u32_u24_e32 v2, 0x108, v87
	v_writelane_b32 v118, s3, 16
	s_add_i32 s2, s28, 3
	s_cmp_lt_i32 s2, s26
	s_cselect_b64 s[2:3], -1, 0
	v_writelane_b32 v118, s2, 17
	v_and_b32_e32 v3, 0x1f8, v3
	v_lshlrev_b32_e32 v18, 8, v16
	v_writelane_b32 v118, s3, 18
	s_add_i32 s2, s28, 4
	s_cmp_lt_i32 s2, s26
	s_cselect_b64 s[2:3], -1, 0
	v_writelane_b32 v118, s2, 19
	v_add_u32_e32 v89, v1, v0
	v_add3_u32 v90, v1, v2, v3
	v_writelane_b32 v118, s3, 20
	s_add_i32 s2, s28, 5
	s_cmp_lt_i32 s2, s26
	s_cselect_b64 s[2:3], -1, 0
	v_writelane_b32 v118, s2, 21
	v_mov_b32_e32 v1, v19
	s_mul_i32 s8, s15, 3
	v_writelane_b32 v118, s3, 22
	s_add_i32 s2, s28, 6
	s_cmp_lt_i32 s2, s26
	s_cselect_b64 s[48:49], -1, 0
	s_add_i32 s2, s28, 7
	s_cmp_lt_i32 s2, s26
	s_cselect_b64 s[50:51], -1, 0
	;; [unrolled: 3-line block ×5, first 2 shown]
	s_add_i32 s2, s28, 11
	s_cmp_lt_i32 s2, s26
	s_mov_b32 s2, s28
	v_writelane_b32 v118, s2, 23
	s_cselect_b64 s[58:59], -1, 0
	s_mul_i32 s69, s15, 5
	v_writelane_b32 v118, s3, 24
	s_add_i32 s2, s28, 12
	s_cmp_lt_i32 s2, s26
	s_cselect_b64 s[60:61], -1, 0
	s_ashr_i32 s23, s15, 31
	s_add_i32 s3, s15, s15
	s_lshl_b32 s68, s15, 2
	s_lshl_b32 s72, s15, 3
	;; [unrolled: 1-line block ×4, first 2 shown]
	s_lshl_b64 s[62:63], s[22:23], 2
	s_add_u32 s22, s64, s66
	s_addc_u32 s23, s65, s67
	v_lshl_add_u64 v[2:3], s[22:23], 0, v[18:19]
	v_lshl_add_u64 v[0:1], v[2:3], 0, v[0:1]
	v_writelane_b32 v118, s26, 25
	s_mul_i32 s70, s15, 6
	s_mul_i32 s71, s15, 7
	;; [unrolled: 1-line block ×21, first 2 shown]
	v_lshl_add_u64 v[20:21], s[4:5], 0, v[0:1]
	v_mov_b32_e32 v8, 0
	v_mov_b32_e32 v9, v19
	v_mov_b32_e32 v10, v19
	v_mov_b32_e32 v11, v19
	v_mov_b32_e32 v0, 0
	v_mov_b32_e32 v1, v19
	v_mov_b32_e32 v2, v19
	v_mov_b32_e32 v3, v19
	v_mov_b32_e32 v4, 0
	v_mov_b32_e32 v5, v19
	v_mov_b32_e32 v6, v19
	v_mov_b32_e32 v7, v19
	v_mov_b32_e32 v12, 0
	v_mov_b32_e32 v13, v19
	v_mov_b32_e32 v14, v19
	v_mov_b32_e32 v15, v19
	s_mul_i32 s90, s15, 29
	s_mul_i32 s91, s15, 30
	;; [unrolled: 1-line block ×34, first 2 shown]
	s_mov_b32 s46, 0x5040100
	s_mov_b64 s[4:5], 0
	s_branch .LBB144_6
.LBB144_5:                              ;   in Loop: Header=BB144_6 Depth=1
	v_perm_b32 v18, v18, v91, s46
	v_perm_b32 v91, v93, v94, s46
	ds_write2_b32 v89, v18, v91 offset1:66
	v_perm_b32 v18, v95, v92, s46
	v_perm_b32 v91, v97, v98, s46
	ds_write2_b32 v89, v18, v91 offset0:132 offset1:198
	v_perm_b32 v18, v99, v96, s46
	v_perm_b32 v91, v101, v102, s46
	v_add_u32_e32 v92, 0x400, v89
	ds_write2_b32 v92, v18, v91 offset0:8 offset1:74
	v_perm_b32 v18, v103, v100, s46
	v_perm_b32 v91, v105, v106, s46
	ds_write2_b32 v92, v18, v91 offset0:140 offset1:206
	v_perm_b32 v18, v107, v104, s46
	v_perm_b32 v91, v109, v110, s46
	v_add_u32_e32 v92, 0x800, v89
	ds_write2_b32 v92, v18, v91 offset0:16 offset1:82
	v_perm_b32 v18, v111, v108, s46
	v_perm_b32 v91, v113, v114, s46
	ds_write2_b32 v92, v18, v91 offset0:148 offset1:214
	v_perm_b32 v18, v115, v112, s46
	v_add_u32_e32 v91, 0xc00, v89
	ds_write2_b32 v91, v18, v19 offset0:24 offset1:90
	ds_write2_b32 v91, v19, v19 offset0:156 offset1:222
	ds_read2_b64 v[92:95], v90 offset1:4
	s_waitcnt lgkmcnt(0)
	v_mfma_f32_16x16x16_bf16 v[0:3], v[54:55], v[92:93], v[0:3]
	v_add_u32_e32 v88, 0x200, v88
	s_mov_b64 vcc, 0x800
	v_lshl_add_u64 v[20:21], v[20:21], 0, vcc
	v_mfma_f32_16x16x16_bf16 v[8:11], v[38:39], v[92:93], v[8:11]
	v_cmp_le_i32_e32 vcc, s12, v88
	s_or_b64 s[4:5], vcc, s[4:5]
	v_mfma_f32_16x16x16_bf16 v[4:7], v[70:71], v[92:93], v[4:7]
	v_mfma_f32_16x16x16_bf16 v[12:15], v[84:85], v[92:93], v[12:15]
	v_mfma_f32_16x16x16_bf16 v[0:3], v[52:53], v[94:95], v[0:3]
	ds_read2_b64 v[52:55], v90 offset0:8 offset1:12
	v_mfma_f32_16x16x16_bf16 v[8:11], v[34:35], v[94:95], v[8:11]
	v_mfma_f32_16x16x16_bf16 v[4:7], v[68:69], v[94:95], v[4:7]
	v_mfma_f32_16x16x16_bf16 v[12:15], v[82:83], v[94:95], v[12:15]
	s_waitcnt lgkmcnt(0)
	v_mfma_f32_16x16x16_bf16 v[8:11], v[32:33], v[52:53], v[8:11]
	v_mfma_f32_16x16x16_bf16 v[0:3], v[48:49], v[52:53], v[0:3]
	v_mfma_f32_16x16x16_bf16 v[4:7], v[66:67], v[52:53], v[4:7]
	v_mfma_f32_16x16x16_bf16 v[12:15], v[78:79], v[52:53], v[12:15]
	v_mfma_f32_16x16x16_bf16 v[8:11], v[30:31], v[54:55], v[8:11]
	ds_read2_b64 v[30:33], v90 offset0:16 offset1:20
	v_mfma_f32_16x16x16_bf16 v[0:3], v[46:47], v[54:55], v[0:3]
	v_mfma_f32_16x16x16_bf16 v[4:7], v[64:65], v[54:55], v[4:7]
	v_mfma_f32_16x16x16_bf16 v[12:15], v[74:75], v[54:55], v[12:15]
	s_waitcnt lgkmcnt(0)
	v_mfma_f32_16x16x16_bf16 v[8:11], v[28:29], v[30:31], v[8:11]
	v_mfma_f32_16x16x16_bf16 v[0:3], v[44:45], v[30:31], v[0:3]
	v_mfma_f32_16x16x16_bf16 v[4:7], v[62:63], v[30:31], v[4:7]
	v_mfma_f32_16x16x16_bf16 v[12:15], v[80:81], v[30:31], v[12:15]
	v_mfma_f32_16x16x16_bf16 v[8:11], v[26:27], v[32:33], v[8:11]
	ds_read2_b64 v[26:29], v90 offset0:24 offset1:28
	v_mfma_f32_16x16x16_bf16 v[0:3], v[42:43], v[32:33], v[0:3]
	v_mfma_f32_16x16x16_bf16 v[4:7], v[58:59], v[32:33], v[4:7]
	v_mfma_f32_16x16x16_bf16 v[12:15], v[76:77], v[32:33], v[12:15]
	s_waitcnt lgkmcnt(0)
	v_mfma_f32_16x16x16_bf16 v[8:11], v[24:25], v[26:27], v[8:11]
	v_mfma_f32_16x16x16_bf16 v[0:3], v[40:41], v[26:27], v[0:3]
	v_mfma_f32_16x16x16_bf16 v[4:7], v[56:57], v[26:27], v[4:7]
	v_mfma_f32_16x16x16_bf16 v[12:15], v[72:73], v[26:27], v[12:15]
	;; [unrolled: 1-line block ×6, first 2 shown]
	s_andn2_b64 exec, exec, s[4:5]
	s_cbranch_execz .LBB144_45
.LBB144_6:                              ; =>This Inner Loop Header: Depth=1
	v_lshl_add_u64 v[22:23], v[20:21], 0, s[62:63]
	global_load_dword v18, v[20:21], off
	global_load_dword v48, v[22:23], off
	v_add_u32_e32 v22, s3, v88
	v_ashrrev_i32_e32 v23, 31, v22
	v_add_u32_e32 v24, s8, v88
	v_add_u32_e32 v26, s68, v88
	;; [unrolled: 1-line block ×5, first 2 shown]
	v_lshl_add_u64 v[22:23], v[22:23], 2, s[0:1]
	v_ashrrev_i32_e32 v25, 31, v24
	v_ashrrev_i32_e32 v27, 31, v26
	;; [unrolled: 1-line block ×5, first 2 shown]
	v_lshl_add_u64 v[24:25], v[24:25], 2, s[0:1]
	v_lshl_add_u64 v[26:27], v[26:27], 2, s[0:1]
	;; [unrolled: 1-line block ×5, first 2 shown]
	global_load_dword v49, v[22:23], off
	global_load_dword v50, v[24:25], off
	;; [unrolled: 1-line block ×6, first 2 shown]
	v_add_u32_e32 v22, s72, v88
	v_add_u32_e32 v40, s81, v88
	;; [unrolled: 1-line block ×10, first 2 shown]
	v_ashrrev_i32_e32 v23, 31, v22
	v_ashrrev_i32_e32 v41, 31, v40
	;; [unrolled: 1-line block ×10, first 2 shown]
	v_lshl_add_u64 v[22:23], v[22:23], 2, s[0:1]
	v_lshl_add_u64 v[40:41], v[40:41], 2, s[0:1]
	v_add_u32_e32 v42, s82, v88
	v_add_u32_e32 v44, s83, v88
	;; [unrolled: 1-line block ×3, first 2 shown]
	v_lshl_add_u64 v[24:25], v[24:25], 2, s[0:1]
	v_lshl_add_u64 v[26:27], v[26:27], 2, s[0:1]
	v_lshl_add_u64 v[28:29], v[28:29], 2, s[0:1]
	v_lshl_add_u64 v[30:31], v[30:31], 2, s[0:1]
	v_lshl_add_u64 v[32:33], v[32:33], 2, s[0:1]
	v_lshl_add_u64 v[34:35], v[34:35], 2, s[0:1]
	v_lshl_add_u64 v[36:37], v[36:37], 2, s[0:1]
	v_lshl_add_u64 v[38:39], v[38:39], 2, s[0:1]
	global_load_dword v55, v[22:23], off
	global_load_dword v56, v[24:25], off
	;; [unrolled: 1-line block ×9, first 2 shown]
	s_nop 0
	global_load_dword v40, v[40:41], off
	v_add_u32_e32 v22, s64, v88
	v_ashrrev_i32_e32 v43, 31, v42
	v_ashrrev_i32_e32 v45, 31, v44
	;; [unrolled: 1-line block ×4, first 2 shown]
	v_add_u32_e32 v24, s65, v88
	v_add_u32_e32 v26, s66, v88
	;; [unrolled: 1-line block ×4, first 2 shown]
	v_lshl_add_u64 v[42:43], v[42:43], 2, s[0:1]
	v_lshl_add_u64 v[44:45], v[44:45], 2, s[0:1]
	;; [unrolled: 1-line block ×4, first 2 shown]
	v_ashrrev_i32_e32 v25, 31, v24
	v_ashrrev_i32_e32 v27, 31, v26
	;; [unrolled: 1-line block ×4, first 2 shown]
	v_lshl_add_u64 v[24:25], v[24:25], 2, s[0:1]
	v_lshl_add_u64 v[26:27], v[26:27], 2, s[0:1]
	;; [unrolled: 1-line block ×4, first 2 shown]
	v_add_u32_e32 v32, s92, v88
	v_add_u32_e32 v34, s85, v88
	;; [unrolled: 1-line block ×3, first 2 shown]
	v_ashrrev_i32_e32 v33, 31, v32
	v_ashrrev_i32_e32 v35, 31, v34
	;; [unrolled: 1-line block ×3, first 2 shown]
	v_lshl_add_u64 v[32:33], v[32:33], 2, s[0:1]
	s_waitcnt vmcnt(17)
	ds_write_b32 v89, v18
	s_waitcnt vmcnt(16)
	ds_write_b32 v89, v48 offset:264
	s_waitcnt vmcnt(15)
	ds_write_b32 v89, v49 offset:528
	;; [unrolled: 2-line block ×7, first 2 shown]
	global_load_dword v18, v[42:43], off
	global_load_dword v41, v[44:45], off
	s_nop 0
	global_load_dword v42, v[46:47], off
	global_load_dword v43, v[22:23], off
	;; [unrolled: 1-line block ×4, first 2 shown]
	s_nop 0
	global_load_dword v46, v[28:29], off
	global_load_dword v47, v[30:31], off
	v_add_u32_e32 v22, s87, v88
	v_ashrrev_i32_e32 v23, 31, v22
	v_add_u32_e32 v24, s88, v88
	v_add_u32_e32 v26, s89, v88
	;; [unrolled: 1-line block ×4, first 2 shown]
	v_lshl_add_u64 v[22:23], v[22:23], 2, s[0:1]
	v_ashrrev_i32_e32 v25, 31, v24
	v_ashrrev_i32_e32 v27, 31, v26
	;; [unrolled: 1-line block ×4, first 2 shown]
	v_lshl_add_u64 v[24:25], v[24:25], 2, s[0:1]
	v_lshl_add_u64 v[26:27], v[26:27], 2, s[0:1]
	v_lshl_add_u64 v[28:29], v[28:29], 2, s[0:1]
	v_lshl_add_u64 v[30:31], v[30:31], 2, s[0:1]
	v_lshl_add_u64 v[34:35], v[34:35], 2, s[0:1]
	v_lshl_add_u64 v[36:37], v[36:37], 2, s[0:1]
	global_load_dword v48, v[22:23], off
	global_load_dword v49, v[24:25], off
	global_load_dword v50, v[26:27], off
	global_load_dword v51, v[28:29], off
	global_load_dword v52, v[30:31], off
	global_load_dword v53, v[32:33], off
	global_load_dword v64, v[34:35], off
	global_load_dword v65, v[36:37], off
	v_add_u32_e32 v22, s94, v88
	v_ashrrev_i32_e32 v23, 31, v22
	v_add_u32_e32 v24, s95, v88
	v_add_u32_e32 v26, s96, v88
	v_add_u32_e32 v28, s97, v88
	v_add_u32_e32 v30, s98, v88
	v_add_u32_e32 v32, s99, v88
	v_add_u32_e32 v34, s24, v88
	v_add_u32_e32 v36, s25, v88
	v_lshl_add_u64 v[22:23], v[22:23], 2, s[0:1]
	v_ashrrev_i32_e32 v25, 31, v24
	v_ashrrev_i32_e32 v27, 31, v26
	v_ashrrev_i32_e32 v29, 31, v28
	v_ashrrev_i32_e32 v31, 31, v30
	v_ashrrev_i32_e32 v33, 31, v32
	v_ashrrev_i32_e32 v35, 31, v34
	v_ashrrev_i32_e32 v37, 31, v36
	v_lshl_add_u64 v[24:25], v[24:25], 2, s[0:1]
	v_lshl_add_u64 v[26:27], v[26:27], 2, s[0:1]
	v_lshl_add_u64 v[28:29], v[28:29], 2, s[0:1]
	v_lshl_add_u64 v[30:31], v[30:31], 2, s[0:1]
	v_lshl_add_u64 v[32:33], v[32:33], 2, s[0:1]
	v_lshl_add_u64 v[34:35], v[34:35], 2, s[0:1]
	v_lshl_add_u64 v[36:37], v[36:37], 2, s[0:1]
	global_load_dword v66, v[22:23], off
	global_load_dword v67, v[24:25], off
	global_load_dword v68, v[26:27], off
	global_load_dword v69, v[28:29], off
	global_load_dword v70, v[30:31], off
	global_load_dword v71, v[32:33], off
	global_load_dword v72, v[34:35], off
	global_load_dword v73, v[36:37], off
	v_add_u32_e32 v22, s22, v88
	v_ashrrev_i32_e32 v23, 31, v22
	v_add_u32_e32 v24, s23, v88
	v_add_u32_e32 v26, s11, v88
	v_add_u32_e32 v28, s28, v88
	v_add_u32_e32 v30, s29, v88
	v_add_u32_e32 v32, s30, v88
	v_add_u32_e32 v34, s31, v88
	v_add_u32_e32 v36, s26, v88
	v_lshl_add_u64 v[22:23], v[22:23], 2, s[0:1]
	v_ashrrev_i32_e32 v25, 31, v24
	v_ashrrev_i32_e32 v27, 31, v26
	v_ashrrev_i32_e32 v29, 31, v28
	v_ashrrev_i32_e32 v31, 31, v30
	v_ashrrev_i32_e32 v33, 31, v32
	v_ashrrev_i32_e32 v35, 31, v34
	v_ashrrev_i32_e32 v37, 31, v36
	v_lshl_add_u64 v[24:25], v[24:25], 2, s[0:1]
	;; [unrolled: 32-line block ×3, first 2 shown]
	v_lshl_add_u64 v[26:27], v[26:27], 2, s[0:1]
	v_lshl_add_u64 v[28:29], v[28:29], 2, s[0:1]
	;; [unrolled: 1-line block ×6, first 2 shown]
	global_load_dword v82, v[22:23], off
	global_load_dword v83, v[24:25], off
	;; [unrolled: 1-line block ×8, first 2 shown]
	v_add_u32_e32 v22, s41, v88
	v_ashrrev_i32_e32 v23, 31, v22
	v_add_u32_e32 v24, s42, v88
	v_add_u32_e32 v26, s43, v88
	;; [unrolled: 1-line block ×5, first 2 shown]
	v_lshl_add_u64 v[22:23], v[22:23], 2, s[0:1]
	v_ashrrev_i32_e32 v25, 31, v24
	v_ashrrev_i32_e32 v27, 31, v26
	v_ashrrev_i32_e32 v29, 31, v28
	v_ashrrev_i32_e32 v31, 31, v30
	v_ashrrev_i32_e32 v33, 31, v32
	v_lshl_add_u64 v[24:25], v[24:25], 2, s[0:1]
	v_lshl_add_u64 v[26:27], v[26:27], 2, s[0:1]
	;; [unrolled: 1-line block ×5, first 2 shown]
	global_load_dword v95, v[22:23], off
	global_load_dword v96, v[24:25], off
	;; [unrolled: 1-line block ×6, first 2 shown]
	s_waitcnt vmcnt(55)
	ds_write_b32 v89, v55 offset:2112
	s_waitcnt vmcnt(54)
	ds_write_b32 v89, v56 offset:2376
	s_waitcnt vmcnt(53)
	ds_write_b32 v89, v57 offset:2640
	s_waitcnt vmcnt(52)
	ds_write_b32 v89, v58 offset:2904
	s_waitcnt vmcnt(51)
	ds_write_b32 v89, v59 offset:3168
	s_waitcnt vmcnt(50)
	ds_write_b32 v89, v60 offset:3432
	s_waitcnt vmcnt(49)
	ds_write_b32 v89, v61 offset:3696
	s_waitcnt vmcnt(48)
	ds_write_b32 v89, v62 offset:3960
	ds_read_b64 v[38:39], v90
	ds_read_b64 v[34:35], v90 offset:32
	ds_read_b64 v[32:33], v90 offset:64
	ds_read_b64 v[30:31], v90 offset:96
	ds_read_b64 v[28:29], v90 offset:128
	ds_read_b64 v[26:27], v90 offset:160
	ds_read_b64 v[24:25], v90 offset:192
	ds_read_b64 v[22:23], v90 offset:224
	s_waitcnt vmcnt(47)
	ds_write_b32 v89, v63
	s_waitcnt vmcnt(46)
	ds_write_b32 v89, v40 offset:264
	s_waitcnt vmcnt(45)
	ds_write_b32 v89, v18 offset:528
	s_waitcnt vmcnt(44)
	ds_write_b32 v89, v41 offset:792
	s_waitcnt vmcnt(43)
	ds_write_b32 v89, v42 offset:1056
	s_waitcnt vmcnt(42)
	ds_write_b32 v89, v43 offset:1320
	s_waitcnt vmcnt(41)
	ds_write_b32 v89, v44 offset:1584
	s_waitcnt vmcnt(40)
	ds_write_b32 v89, v45 offset:1848
	s_waitcnt vmcnt(39)
	ds_write_b32 v89, v46 offset:2112
	s_waitcnt vmcnt(38)
	ds_write_b32 v89, v47 offset:2376
	s_waitcnt vmcnt(37)
	ds_write_b32 v89, v48 offset:2640
	s_waitcnt vmcnt(36)
	ds_write_b32 v89, v49 offset:2904
	s_waitcnt vmcnt(35)
	ds_write_b32 v89, v50 offset:3168
	s_waitcnt vmcnt(34)
	ds_write_b32 v89, v51 offset:3432
	s_waitcnt vmcnt(33)
	ds_write_b32 v89, v52 offset:3696
	s_waitcnt vmcnt(32)
	ds_write_b32 v89, v53 offset:3960
	ds_read_b64 v[54:55], v90
	ds_read_b64 v[52:53], v90 offset:32
	ds_read_b64 v[48:49], v90 offset:64
	ds_read_b64 v[46:47], v90 offset:96
	ds_read_b64 v[44:45], v90 offset:128
	ds_read_b64 v[42:43], v90 offset:160
	ds_read_b64 v[40:41], v90 offset:192
	ds_read_b64 v[36:37], v90 offset:224
	s_waitcnt vmcnt(31)
	ds_write_b32 v89, v64
	s_waitcnt vmcnt(30)
	ds_write_b32 v89, v65 offset:264
	s_waitcnt vmcnt(29)
	ds_write_b32 v89, v66 offset:528
	s_waitcnt vmcnt(28)
	ds_write_b32 v89, v67 offset:792
	s_waitcnt vmcnt(27)
	ds_write_b32 v89, v68 offset:1056
	s_waitcnt vmcnt(26)
	ds_write_b32 v89, v69 offset:1320
	s_waitcnt vmcnt(25)
	ds_write_b32 v89, v70 offset:1584
	s_waitcnt vmcnt(24)
	ds_write_b32 v89, v71 offset:1848
	;; [unrolled: 40-line block ×3, first 2 shown]
	s_waitcnt vmcnt(7)
	ds_write_b32 v89, v93 offset:2112
	s_waitcnt vmcnt(6)
	ds_write_b32 v89, v94 offset:2376
	;; [unrolled: 2-line block ×8, first 2 shown]
	ds_read_b64 v[84:85], v90
	ds_read_b64 v[82:83], v90 offset:32
	ds_read_b64 v[78:79], v90 offset:64
	;; [unrolled: 1-line block ×7, first 2 shown]
	v_readlane_b32 vcc_lo, v118, 11
	v_readlane_b32 vcc_hi, v118, 12
	s_andn2_b64 vcc, exec, vcc
	v_mov_b32_e32 v91, 0
	v_mov_b32_e32 v18, 0
	s_cbranch_vccnz .LBB144_9
; %bb.7:                                ;   in Loop: Header=BB144_6 Depth=1
	s_load_dword s47, s[36:37], 0x0
	v_mov_b32_e32 v18, 0
	v_mov_b32_e32 v91, 0
	s_waitcnt lgkmcnt(0)
	s_mul_hi_u32 vcc_lo, s47, s16
	s_add_i32 vcc_lo, s47, vcc_lo
	s_lshr_b32 vcc_lo, vcc_lo, s17
	s_cmp_ge_i32 vcc_lo, s13
	s_cbranch_scc1 .LBB144_9
; %bb.8:                                ;   in Loop: Header=BB144_6 Depth=1
	s_mul_i32 vcc_hi, vcc_lo, s18
	s_sub_i32 s47, s47, vcc_hi
	s_mul_i32 vcc_lo, vcc_lo, s20
	s_mul_i32 s47, s47, s9
	v_add_u32_e32 v18, vcc_lo, v88
	v_lshl_add_u32 v92, v18, 1, s47
	v_ashrrev_i32_e32 v93, 31, v92
	v_lshl_add_u64 v[92:93], v[92:93], 2, s[6:7]
	global_load_dwordx2 v[92:93], v[92:93], off
	s_waitcnt vmcnt(0)
	v_cvt_pk_bf16_f32 v91, v92, s0
	v_cvt_pk_bf16_f32 v18, v93, s0
.LBB144_9:                              ;   in Loop: Header=BB144_6 Depth=1
	v_readlane_b32 vcc_lo, v118, 13
	v_readlane_b32 vcc_hi, v118, 14
	v_mov_b32_e32 v92, 0
	s_andn2_b64 vcc, exec, vcc
	v_mov_b32_e32 v94, 0
	v_mov_b32_e32 v93, 0
	s_cbranch_vccnz .LBB144_12
; %bb.10:                               ;   in Loop: Header=BB144_6 Depth=1
	s_load_dword s47, s[36:37], 0x4
	v_mov_b32_e32 v93, 0
	v_mov_b32_e32 v94, 0
	s_waitcnt lgkmcnt(0)
	s_mul_hi_u32 vcc_lo, s47, s16
	s_add_i32 vcc_lo, s47, vcc_lo
	s_lshr_b32 vcc_lo, vcc_lo, s17
	s_cmp_ge_i32 vcc_lo, s13
	s_cbranch_scc1 .LBB144_12
; %bb.11:                               ;   in Loop: Header=BB144_6 Depth=1
	s_mul_i32 vcc_hi, vcc_lo, s18
	s_sub_i32 s47, s47, vcc_hi
	s_mul_i32 vcc_lo, vcc_lo, s20
	s_mul_i32 s47, s47, s9
	v_add_u32_e32 v93, vcc_lo, v88
	v_lshl_add_u32 v94, v93, 1, s47
	v_ashrrev_i32_e32 v95, 31, v94
	v_lshl_add_u64 v[94:95], v[94:95], 2, s[6:7]
	global_load_dwordx2 v[94:95], v[94:95], off
	s_waitcnt vmcnt(0)
	v_cvt_pk_bf16_f32 v94, v94, s0
	v_cvt_pk_bf16_f32 v93, v95, s0
.LBB144_12:                             ;   in Loop: Header=BB144_6 Depth=1
	v_readlane_b32 vcc_lo, v118, 15
	v_readlane_b32 vcc_hi, v118, 16
	s_andn2_b64 vcc, exec, vcc
	v_mov_b32_e32 v95, 0
	s_cbranch_vccnz .LBB144_15
; %bb.13:                               ;   in Loop: Header=BB144_6 Depth=1
	s_load_dword s47, s[36:37], 0x8
	v_mov_b32_e32 v95, 0
	v_mov_b32_e32 v92, 0
	s_waitcnt lgkmcnt(0)
	s_mul_hi_u32 vcc_lo, s47, s16
	s_add_i32 vcc_lo, s47, vcc_lo
	s_lshr_b32 vcc_lo, vcc_lo, s17
	s_cmp_ge_i32 vcc_lo, s13
	s_cbranch_scc1 .LBB144_15
; %bb.14:                               ;   in Loop: Header=BB144_6 Depth=1
	s_mul_i32 vcc_hi, vcc_lo, s18
	s_sub_i32 s47, s47, vcc_hi
	s_mul_i32 vcc_lo, vcc_lo, s20
	s_mul_i32 s47, s47, s9
	v_add_u32_e32 v92, vcc_lo, v88
	v_lshl_add_u32 v96, v92, 1, s47
	v_ashrrev_i32_e32 v97, 31, v96
	v_lshl_add_u64 v[96:97], v[96:97], 2, s[6:7]
	global_load_dwordx2 v[96:97], v[96:97], off
	s_waitcnt vmcnt(0)
	v_cvt_pk_bf16_f32 v92, v96, s0
	v_cvt_pk_bf16_f32 v95, v97, s0
.LBB144_15:                             ;   in Loop: Header=BB144_6 Depth=1
	v_readlane_b32 vcc_lo, v118, 17
	v_readlane_b32 vcc_hi, v118, 18
	v_mov_b32_e32 v96, 0
	s_andn2_b64 vcc, exec, vcc
	v_mov_b32_e32 v98, 0
	v_mov_b32_e32 v97, 0
	s_cbranch_vccnz .LBB144_18
; %bb.16:                               ;   in Loop: Header=BB144_6 Depth=1
	s_load_dword s47, s[36:37], 0xc
	v_mov_b32_e32 v97, 0
	v_mov_b32_e32 v98, 0
	s_waitcnt lgkmcnt(0)
	s_mul_hi_u32 vcc_lo, s47, s16
	s_add_i32 vcc_lo, s47, vcc_lo
	s_lshr_b32 vcc_lo, vcc_lo, s17
	s_cmp_ge_i32 vcc_lo, s13
	s_cbranch_scc1 .LBB144_18
; %bb.17:                               ;   in Loop: Header=BB144_6 Depth=1
	s_mul_i32 vcc_hi, vcc_lo, s18
	s_sub_i32 s47, s47, vcc_hi
	s_mul_i32 vcc_lo, vcc_lo, s20
	s_mul_i32 s47, s47, s9
	v_add_u32_e32 v97, vcc_lo, v88
	v_lshl_add_u32 v98, v97, 1, s47
	v_ashrrev_i32_e32 v99, 31, v98
	v_lshl_add_u64 v[98:99], v[98:99], 2, s[6:7]
	global_load_dwordx2 v[98:99], v[98:99], off
	s_waitcnt vmcnt(0)
	v_cvt_pk_bf16_f32 v98, v98, s0
	v_cvt_pk_bf16_f32 v97, v99, s0
.LBB144_18:                             ;   in Loop: Header=BB144_6 Depth=1
	v_readlane_b32 vcc_lo, v118, 19
	v_readlane_b32 vcc_hi, v118, 20
	s_andn2_b64 vcc, exec, vcc
	v_mov_b32_e32 v99, 0
	s_cbranch_vccnz .LBB144_21
; %bb.19:                               ;   in Loop: Header=BB144_6 Depth=1
	s_load_dword s47, s[36:37], 0x10
	v_mov_b32_e32 v99, 0
	v_mov_b32_e32 v96, 0
	s_waitcnt lgkmcnt(0)
	s_mul_hi_u32 vcc_lo, s47, s16
	s_add_i32 vcc_lo, s47, vcc_lo
	s_lshr_b32 vcc_lo, vcc_lo, s17
	s_cmp_ge_i32 vcc_lo, s13
	s_cbranch_scc1 .LBB144_21
; %bb.20:                               ;   in Loop: Header=BB144_6 Depth=1
	s_mul_i32 vcc_hi, vcc_lo, s18
	s_sub_i32 s47, s47, vcc_hi
	s_mul_i32 vcc_lo, vcc_lo, s20
	s_mul_i32 s47, s47, s9
	v_add_u32_e32 v96, vcc_lo, v88
	v_lshl_add_u32 v100, v96, 1, s47
	v_ashrrev_i32_e32 v101, 31, v100
	v_lshl_add_u64 v[100:101], v[100:101], 2, s[6:7]
	global_load_dwordx2 v[100:101], v[100:101], off
	s_waitcnt vmcnt(0)
	v_cvt_pk_bf16_f32 v96, v100, s0
	v_cvt_pk_bf16_f32 v99, v101, s0
.LBB144_21:                             ;   in Loop: Header=BB144_6 Depth=1
	v_readlane_b32 vcc_lo, v118, 21
	v_readlane_b32 vcc_hi, v118, 22
	v_mov_b32_e32 v100, 0
	s_andn2_b64 vcc, exec, vcc
	v_mov_b32_e32 v102, 0
	v_mov_b32_e32 v101, 0
	s_cbranch_vccnz .LBB144_24
; %bb.22:                               ;   in Loop: Header=BB144_6 Depth=1
	s_load_dword s47, s[36:37], 0x14
	v_mov_b32_e32 v101, 0
	v_mov_b32_e32 v102, 0
	s_waitcnt lgkmcnt(0)
	s_mul_hi_u32 vcc_lo, s47, s16
	s_add_i32 vcc_lo, s47, vcc_lo
	s_lshr_b32 vcc_lo, vcc_lo, s17
	s_cmp_ge_i32 vcc_lo, s13
	s_cbranch_scc1 .LBB144_24
; %bb.23:                               ;   in Loop: Header=BB144_6 Depth=1
	s_mul_i32 vcc_hi, vcc_lo, s18
	s_sub_i32 s47, s47, vcc_hi
	s_mul_i32 vcc_lo, vcc_lo, s20
	s_mul_i32 s47, s47, s9
	v_add_u32_e32 v101, vcc_lo, v88
	v_lshl_add_u32 v102, v101, 1, s47
	v_ashrrev_i32_e32 v103, 31, v102
	v_lshl_add_u64 v[102:103], v[102:103], 2, s[6:7]
	global_load_dwordx2 v[102:103], v[102:103], off
	s_waitcnt vmcnt(0)
	v_cvt_pk_bf16_f32 v102, v102, s0
	v_cvt_pk_bf16_f32 v101, v103, s0
.LBB144_24:                             ;   in Loop: Header=BB144_6 Depth=1
	s_andn2_b64 vcc, exec, s[48:49]
	v_mov_b32_e32 v103, 0
	s_cbranch_vccnz .LBB144_27
; %bb.25:                               ;   in Loop: Header=BB144_6 Depth=1
	s_load_dword s47, s[36:37], 0x18
	v_mov_b32_e32 v103, 0
	v_mov_b32_e32 v100, 0
	s_waitcnt lgkmcnt(0)
	s_mul_hi_u32 vcc_lo, s47, s16
	s_add_i32 vcc_lo, s47, vcc_lo
	s_lshr_b32 vcc_lo, vcc_lo, s17
	s_cmp_ge_i32 vcc_lo, s13
	s_cbranch_scc1 .LBB144_27
; %bb.26:                               ;   in Loop: Header=BB144_6 Depth=1
	s_mul_i32 vcc_hi, vcc_lo, s18
	s_sub_i32 s47, s47, vcc_hi
	s_mul_i32 vcc_lo, vcc_lo, s20
	s_mul_i32 s47, s47, s9
	v_add_u32_e32 v100, vcc_lo, v88
	v_lshl_add_u32 v104, v100, 1, s47
	v_ashrrev_i32_e32 v105, 31, v104
	v_lshl_add_u64 v[104:105], v[104:105], 2, s[6:7]
	global_load_dwordx2 v[104:105], v[104:105], off
	s_waitcnt vmcnt(0)
	v_cvt_pk_bf16_f32 v100, v104, s0
	v_cvt_pk_bf16_f32 v103, v105, s0
.LBB144_27:                             ;   in Loop: Header=BB144_6 Depth=1
	v_mov_b32_e32 v104, 0
	s_andn2_b64 vcc, exec, s[50:51]
	v_mov_b32_e32 v106, 0
	v_mov_b32_e32 v105, 0
	s_cbranch_vccnz .LBB144_30
; %bb.28:                               ;   in Loop: Header=BB144_6 Depth=1
	s_load_dword s47, s[36:37], 0x1c
	v_mov_b32_e32 v105, 0
	v_mov_b32_e32 v106, 0
	s_waitcnt lgkmcnt(0)
	s_mul_hi_u32 vcc_lo, s47, s16
	s_add_i32 vcc_lo, s47, vcc_lo
	s_lshr_b32 vcc_lo, vcc_lo, s17
	s_cmp_ge_i32 vcc_lo, s13
	s_cbranch_scc1 .LBB144_30
; %bb.29:                               ;   in Loop: Header=BB144_6 Depth=1
	s_mul_i32 vcc_hi, vcc_lo, s18
	s_sub_i32 s47, s47, vcc_hi
	s_mul_i32 vcc_lo, vcc_lo, s20
	s_mul_i32 s47, s47, s9
	v_add_u32_e32 v105, vcc_lo, v88
	v_lshl_add_u32 v106, v105, 1, s47
	v_ashrrev_i32_e32 v107, 31, v106
	v_lshl_add_u64 v[106:107], v[106:107], 2, s[6:7]
	global_load_dwordx2 v[106:107], v[106:107], off
	s_waitcnt vmcnt(0)
	v_cvt_pk_bf16_f32 v106, v106, s0
	v_cvt_pk_bf16_f32 v105, v107, s0
.LBB144_30:                             ;   in Loop: Header=BB144_6 Depth=1
	s_andn2_b64 vcc, exec, s[52:53]
	v_mov_b32_e32 v107, 0
	s_cbranch_vccnz .LBB144_33
; %bb.31:                               ;   in Loop: Header=BB144_6 Depth=1
	s_load_dword s47, s[36:37], 0x20
	v_mov_b32_e32 v107, 0
	v_mov_b32_e32 v104, 0
	s_waitcnt lgkmcnt(0)
	s_mul_hi_u32 vcc_lo, s47, s16
	s_add_i32 vcc_lo, s47, vcc_lo
	s_lshr_b32 vcc_lo, vcc_lo, s17
	s_cmp_ge_i32 vcc_lo, s13
	s_cbranch_scc1 .LBB144_33
; %bb.32:                               ;   in Loop: Header=BB144_6 Depth=1
	s_mul_i32 vcc_hi, vcc_lo, s18
	s_sub_i32 s47, s47, vcc_hi
	s_mul_i32 vcc_lo, vcc_lo, s20
	s_mul_i32 s47, s47, s9
	v_add_u32_e32 v104, vcc_lo, v88
	v_lshl_add_u32 v108, v104, 1, s47
	v_ashrrev_i32_e32 v109, 31, v108
	v_lshl_add_u64 v[108:109], v[108:109], 2, s[6:7]
	global_load_dwordx2 v[108:109], v[108:109], off
	s_waitcnt vmcnt(0)
	v_cvt_pk_bf16_f32 v104, v108, s0
	v_cvt_pk_bf16_f32 v107, v109, s0
.LBB144_33:                             ;   in Loop: Header=BB144_6 Depth=1
	v_mov_b32_e32 v108, 0
	s_andn2_b64 vcc, exec, s[54:55]
	;; [unrolled: 56-line block ×3, first 2 shown]
	v_mov_b32_e32 v114, 0
	v_mov_b32_e32 v113, 0
	s_cbranch_vccnz .LBB144_42
; %bb.40:                               ;   in Loop: Header=BB144_6 Depth=1
	s_load_dword s47, s[36:37], 0x2c
	v_mov_b32_e32 v113, 0
	v_mov_b32_e32 v114, 0
	s_waitcnt lgkmcnt(0)
	s_mul_hi_u32 vcc_lo, s47, s16
	s_add_i32 vcc_lo, s47, vcc_lo
	s_lshr_b32 vcc_lo, vcc_lo, s17
	s_cmp_ge_i32 vcc_lo, s13
	s_cbranch_scc1 .LBB144_42
; %bb.41:                               ;   in Loop: Header=BB144_6 Depth=1
	s_mul_i32 vcc_hi, vcc_lo, s18
	s_sub_i32 s47, s47, vcc_hi
	s_mul_i32 vcc_lo, vcc_lo, s20
	s_mul_i32 s47, s47, s9
	v_add_u32_e32 v113, vcc_lo, v88
	v_lshl_add_u32 v114, v113, 1, s47
	v_ashrrev_i32_e32 v115, 31, v114
	v_lshl_add_u64 v[114:115], v[114:115], 2, s[6:7]
	global_load_dwordx2 v[114:115], v[114:115], off
	s_waitcnt vmcnt(0)
	v_cvt_pk_bf16_f32 v114, v114, s0
	v_cvt_pk_bf16_f32 v113, v115, s0
.LBB144_42:                             ;   in Loop: Header=BB144_6 Depth=1
	s_andn2_b64 vcc, exec, s[60:61]
	v_mov_b32_e32 v115, 0
	s_cbranch_vccnz .LBB144_5
; %bb.43:                               ;   in Loop: Header=BB144_6 Depth=1
	s_load_dword s47, s[36:37], 0x30
	v_mov_b32_e32 v115, 0
	v_mov_b32_e32 v112, 0
	s_waitcnt lgkmcnt(0)
	s_mul_hi_u32 vcc_lo, s47, s16
	s_add_i32 vcc_lo, s47, vcc_lo
	s_lshr_b32 vcc_lo, vcc_lo, s17
	s_cmp_ge_i32 vcc_lo, s13
	s_cbranch_scc1 .LBB144_5
; %bb.44:                               ;   in Loop: Header=BB144_6 Depth=1
	s_mul_i32 vcc_hi, vcc_lo, s18
	s_sub_i32 s47, s47, vcc_hi
	s_mul_i32 vcc_lo, vcc_lo, s20
	s_mul_i32 s47, s47, s9
	v_add_u32_e32 v112, vcc_lo, v88
	v_lshl_add_u32 v116, v112, 1, s47
	v_ashrrev_i32_e32 v117, 31, v116
	v_lshl_add_u64 v[116:117], v[116:117], 2, s[6:7]
	global_load_dwordx2 v[116:117], v[116:117], off
	s_waitcnt vmcnt(0)
	v_cvt_pk_bf16_f32 v112, v116, s0
	v_cvt_pk_bf16_f32 v115, v117, s0
	s_branch .LBB144_5
.LBB144_45:
	s_or_b64 exec, exec, s[4:5]
	v_readlane_b32 s24, v118, 6
	v_readlane_b32 s30, v118, 9
	v_readlane_b32 s22, v118, 4
	v_readlane_b32 s36, v118, 2
	v_readlane_b32 s25, v118, 7
	v_readlane_b32 s26, v118, 25
	v_readlane_b32 s28, v118, 23
	v_readlane_b32 s31, v118, 10
	v_readlane_b32 s11, v118, 8
	v_readlane_b32 s23, v118, 5
	v_readlane_b32 s37, v118, 3
	v_readlane_b32 s29, v118, 24
.LBB144_46:
	s_or_b64 exec, exec, s[36:37]
	s_lshl_b64 s[0:1], s[30:31], 2
	s_add_u32 s4, s22, s0
	v_lshl_add_u32 v18, v86, 2, 0
	v_mul_u32_u24_e32 v19, 0x808, v87
	v_and_b32_e32 v20, 0x3f0, v17
	s_addc_u32 s5, s23, s1
	v_add3_u32 v18, v18, v19, v20
	s_barrier
	ds_write2_b32 v18, v8, v9 offset1:1
	ds_write2_b32 v18, v10, v11 offset0:2 offset1:3
	ds_write2_b32 v18, v0, v1 offset0:16 offset1:17
	;; [unrolled: 1-line block ×7, first 2 shown]
	s_cmp_gt_i32 s14, 0
	v_add_u32_e32 v0, s28, v16
	s_cselect_b64 s[6:7], -1, 0
	v_cmp_gt_i32_e64 s[0:1], s26, v0
	v_cmp_gt_u32_e32 vcc, 13, v16
	s_and_b64 s[0:1], s[6:7], s[0:1]
	v_lshl_add_u32 v3, v17, 2, 0
	v_add_u32_e32 v2, s11, v17
	s_and_b64 s[2:3], vcc, s[0:1]
	s_waitcnt lgkmcnt(0)
	s_barrier
	s_and_saveexec_b64 s[0:1], s[2:3]
	s_cbranch_execz .LBB144_49
; %bb.47:
	v_ashrrev_i32_e32 v1, 31, v0
	v_lshl_add_u64 v[0:1], v[0:1], 2, s[4:5]
	global_load_dword v0, v[0:1], off
	s_waitcnt vmcnt(0)
	v_mul_hi_u32 v1, v0, s19
	v_add_u32_e32 v1, v0, v1
	v_lshrrev_b32_e32 v1, s24, v1
	v_cmp_gt_i32_e32 vcc, s13, v1
	s_and_b64 exec, exec, vcc
	s_cbranch_execz .LBB144_49
; %bb.48:
	s_movk_i32 s2, 0x808
	v_mad_u32_u24 v10, v16, s2, v3
	ds_read2st64_b32 v[4:5], v10 offset1:1
	ds_read2st64_b32 v[6:7], v10 offset0:2 offset1:3
	ds_read2st64_b32 v[8:9], v10 offset0:4 offset1:5
	;; [unrolled: 1-line block ×3, first 2 shown]
	v_mul_lo_u32 v12, v1, s25
	v_sub_u32_e32 v0, v0, v12
	v_mul_lo_u32 v0, v0, s10
	s_waitcnt lgkmcnt(3)
	v_add_f32_e32 v4, 0, v4
	v_add_f32_e32 v4, v4, v5
	s_waitcnt lgkmcnt(2)
	v_add_f32_e32 v4, v4, v6
	v_add_f32_e32 v4, v4, v7
	;; [unrolled: 3-line block ×3, first 2 shown]
	v_mul_lo_u32 v1, v1, s21
	v_readlane_b32 s2, v118, 0
	s_waitcnt lgkmcnt(0)
	v_add_f32_e32 v4, v4, v10
	v_add3_u32 v0, v2, v1, v0
	v_mov_b32_e32 v1, 0
	v_readlane_b32 s3, v118, 1
	v_add_f32_e32 v4, v4, v11
	s_nop 0
	v_lshl_add_u64 v[0:1], v[0:1], 2, s[2:3]
	global_store_dword v[0:1], v4, off
.LBB144_49:
	s_or_b64 exec, exec, s[0:1]
	v_cmp_gt_u32_e32 vcc, 5, v16
	s_and_saveexec_b64 s[0:1], vcc
	s_cbranch_execz .LBB144_53
; %bb.50:
	v_or_b32_e32 v4, 8, v16
	v_add_u32_e32 v0, s28, v4
	v_cmp_gt_i32_e32 vcc, s26, v0
	s_and_b64 s[0:1], s[6:7], vcc
	s_and_b64 exec, exec, s[0:1]
	s_cbranch_execz .LBB144_53
; %bb.51:
	s_ashr_i32 s29, s28, 31
	v_mov_b32_e32 v17, 0
	v_lshl_add_u64 v[0:1], v[16:17], 0, s[28:29]
	v_lshl_add_u64 v[0:1], v[0:1], 2, s[4:5]
	global_load_dword v0, v[0:1], off offset:32
	s_waitcnt vmcnt(0)
	v_mul_hi_u32 v1, v0, s19
	v_add_u32_e32 v1, v0, v1
	v_lshrrev_b32_e32 v1, s24, v1
	v_cmp_gt_i32_e32 vcc, s13, v1
	s_and_b64 exec, exec, vcc
	s_cbranch_execz .LBB144_53
; %bb.52:
	s_movk_i32 s0, 0x808
	v_mad_u32_u24 v3, v4, s0, v3
	ds_read2st64_b32 v[4:5], v3 offset1:1
	ds_read2st64_b32 v[6:7], v3 offset0:2 offset1:3
	ds_read2st64_b32 v[8:9], v3 offset0:4 offset1:5
	;; [unrolled: 1-line block ×3, first 2 shown]
	v_mul_lo_u32 v12, v1, s25
	v_sub_u32_e32 v0, v0, v12
	v_mul_lo_u32 v0, v0, s10
	s_waitcnt lgkmcnt(3)
	v_add_f32_e32 v3, 0, v4
	v_add_f32_e32 v3, v3, v5
	s_waitcnt lgkmcnt(2)
	v_add_f32_e32 v3, v3, v6
	v_add_f32_e32 v3, v3, v7
	;; [unrolled: 3-line block ×3, first 2 shown]
	v_mul_lo_u32 v1, v1, s21
	v_readlane_b32 s0, v118, 0
	s_waitcnt lgkmcnt(0)
	v_add_f32_e32 v3, v3, v10
	v_add3_u32 v16, v2, v1, v0
	v_readlane_b32 s1, v118, 1
	v_add_f32_e32 v3, v3, v11
	s_nop 0
	v_lshl_add_u64 v[0:1], v[16:17], 2, s[0:1]
	global_store_dword v[0:1], v3, off
.LBB144_53:
	s_endpgm
	.section	.rodata,"a",@progbits
	.p2align	6, 0x0
	.amdhsa_kernel _ZL13mul_mat_f_idsI15__hip_bfloat162Li64ELi13ELi8EEvPKT_PKfPKiS7_S7_Pfiiiiiiiiiiiiii15HIP_vector_typeIjLj3EESA_
		.amdhsa_group_segment_fixed_size 0
		.amdhsa_private_segment_fixed_size 0
		.amdhsa_kernarg_size 128
		.amdhsa_user_sgpr_count 2
		.amdhsa_user_sgpr_dispatch_ptr 0
		.amdhsa_user_sgpr_queue_ptr 0
		.amdhsa_user_sgpr_kernarg_segment_ptr 1
		.amdhsa_user_sgpr_dispatch_id 0
		.amdhsa_user_sgpr_kernarg_preload_length 0
		.amdhsa_user_sgpr_kernarg_preload_offset 0
		.amdhsa_user_sgpr_private_segment_size 0
		.amdhsa_uses_dynamic_stack 0
		.amdhsa_enable_private_segment 0
		.amdhsa_system_sgpr_workgroup_id_x 1
		.amdhsa_system_sgpr_workgroup_id_y 1
		.amdhsa_system_sgpr_workgroup_id_z 1
		.amdhsa_system_sgpr_workgroup_info 0
		.amdhsa_system_vgpr_workitem_id 1
		.amdhsa_next_free_vgpr 119
		.amdhsa_next_free_sgpr 100
		.amdhsa_accum_offset 120
		.amdhsa_reserve_vcc 1
		.amdhsa_float_round_mode_32 0
		.amdhsa_float_round_mode_16_64 0
		.amdhsa_float_denorm_mode_32 3
		.amdhsa_float_denorm_mode_16_64 3
		.amdhsa_dx10_clamp 1
		.amdhsa_ieee_mode 1
		.amdhsa_fp16_overflow 0
		.amdhsa_tg_split 0
		.amdhsa_exception_fp_ieee_invalid_op 0
		.amdhsa_exception_fp_denorm_src 0
		.amdhsa_exception_fp_ieee_div_zero 0
		.amdhsa_exception_fp_ieee_overflow 0
		.amdhsa_exception_fp_ieee_underflow 0
		.amdhsa_exception_fp_ieee_inexact 0
		.amdhsa_exception_int_div_zero 0
	.end_amdhsa_kernel
	.section	.text._ZL13mul_mat_f_idsI15__hip_bfloat162Li64ELi13ELi8EEvPKT_PKfPKiS7_S7_Pfiiiiiiiiiiiiii15HIP_vector_typeIjLj3EESA_,"axG",@progbits,_ZL13mul_mat_f_idsI15__hip_bfloat162Li64ELi13ELi8EEvPKT_PKfPKiS7_S7_Pfiiiiiiiiiiiiii15HIP_vector_typeIjLj3EESA_,comdat
.Lfunc_end144:
	.size	_ZL13mul_mat_f_idsI15__hip_bfloat162Li64ELi13ELi8EEvPKT_PKfPKiS7_S7_Pfiiiiiiiiiiiiii15HIP_vector_typeIjLj3EESA_, .Lfunc_end144-_ZL13mul_mat_f_idsI15__hip_bfloat162Li64ELi13ELi8EEvPKT_PKfPKiS7_S7_Pfiiiiiiiiiiiiii15HIP_vector_typeIjLj3EESA_
                                        ; -- End function
	.set _ZL13mul_mat_f_idsI15__hip_bfloat162Li64ELi13ELi8EEvPKT_PKfPKiS7_S7_Pfiiiiiiiiiiiiii15HIP_vector_typeIjLj3EESA_.num_vgpr, 119
	.set _ZL13mul_mat_f_idsI15__hip_bfloat162Li64ELi13ELi8EEvPKT_PKfPKiS7_S7_Pfiiiiiiiiiiiiii15HIP_vector_typeIjLj3EESA_.num_agpr, 0
	.set _ZL13mul_mat_f_idsI15__hip_bfloat162Li64ELi13ELi8EEvPKT_PKfPKiS7_S7_Pfiiiiiiiiiiiiii15HIP_vector_typeIjLj3EESA_.numbered_sgpr, 100
	.set _ZL13mul_mat_f_idsI15__hip_bfloat162Li64ELi13ELi8EEvPKT_PKfPKiS7_S7_Pfiiiiiiiiiiiiii15HIP_vector_typeIjLj3EESA_.num_named_barrier, 0
	.set _ZL13mul_mat_f_idsI15__hip_bfloat162Li64ELi13ELi8EEvPKT_PKfPKiS7_S7_Pfiiiiiiiiiiiiii15HIP_vector_typeIjLj3EESA_.private_seg_size, 0
	.set _ZL13mul_mat_f_idsI15__hip_bfloat162Li64ELi13ELi8EEvPKT_PKfPKiS7_S7_Pfiiiiiiiiiiiiii15HIP_vector_typeIjLj3EESA_.uses_vcc, 1
	.set _ZL13mul_mat_f_idsI15__hip_bfloat162Li64ELi13ELi8EEvPKT_PKfPKiS7_S7_Pfiiiiiiiiiiiiii15HIP_vector_typeIjLj3EESA_.uses_flat_scratch, 0
	.set _ZL13mul_mat_f_idsI15__hip_bfloat162Li64ELi13ELi8EEvPKT_PKfPKiS7_S7_Pfiiiiiiiiiiiiii15HIP_vector_typeIjLj3EESA_.has_dyn_sized_stack, 0
	.set _ZL13mul_mat_f_idsI15__hip_bfloat162Li64ELi13ELi8EEvPKT_PKfPKiS7_S7_Pfiiiiiiiiiiiiii15HIP_vector_typeIjLj3EESA_.has_recursion, 0
	.set _ZL13mul_mat_f_idsI15__hip_bfloat162Li64ELi13ELi8EEvPKT_PKfPKiS7_S7_Pfiiiiiiiiiiiiii15HIP_vector_typeIjLj3EESA_.has_indirect_call, 0
	.section	.AMDGPU.csdata,"",@progbits
; Kernel info:
; codeLenInByte = 6724
; TotalNumSgprs: 106
; NumVgprs: 119
; NumAgprs: 0
; TotalNumVgprs: 119
; ScratchSize: 0
; MemoryBound: 0
; FloatMode: 240
; IeeeMode: 1
; LDSByteSize: 0 bytes/workgroup (compile time only)
; SGPRBlocks: 13
; VGPRBlocks: 14
; NumSGPRsForWavesPerEU: 106
; NumVGPRsForWavesPerEU: 119
; AccumOffset: 120
; Occupancy: 4
; WaveLimiterHint : 1
; COMPUTE_PGM_RSRC2:SCRATCH_EN: 0
; COMPUTE_PGM_RSRC2:USER_SGPR: 2
; COMPUTE_PGM_RSRC2:TRAP_HANDLER: 0
; COMPUTE_PGM_RSRC2:TGID_X_EN: 1
; COMPUTE_PGM_RSRC2:TGID_Y_EN: 1
; COMPUTE_PGM_RSRC2:TGID_Z_EN: 1
; COMPUTE_PGM_RSRC2:TIDIG_COMP_CNT: 1
; COMPUTE_PGM_RSRC3_GFX90A:ACCUM_OFFSET: 29
; COMPUTE_PGM_RSRC3_GFX90A:TG_SPLIT: 0
	.section	.text._ZL9mul_mat_fI15__hip_bfloat162Li64ELi13ELi8ELb1EEvPKT_PKfPKiPfiiiiiiiiiiiiiiii,"axG",@progbits,_ZL9mul_mat_fI15__hip_bfloat162Li64ELi13ELi8ELb1EEvPKT_PKfPKiPfiiiiiiiiiiiiiiii,comdat
	.globl	_ZL9mul_mat_fI15__hip_bfloat162Li64ELi13ELi8ELb1EEvPKT_PKfPKiPfiiiiiiiiiiiiiiii ; -- Begin function _ZL9mul_mat_fI15__hip_bfloat162Li64ELi13ELi8ELb1EEvPKT_PKfPKiPfiiiiiiiiiiiiiiii
	.p2align	8
	.type	_ZL9mul_mat_fI15__hip_bfloat162Li64ELi13ELi8ELb1EEvPKT_PKfPKiPfiiiiiiiiiiiiiiii,@function
_ZL9mul_mat_fI15__hip_bfloat162Li64ELi13ELi8ELb1EEvPKT_PKfPKiPfiiiiiiiiiiiiiiii: ; @_ZL9mul_mat_fI15__hip_bfloat162Li64ELi13ELi8ELb1EEvPKT_PKfPKiPfiiiiiiiiiiiiiiii
; %bb.0:
	s_load_dwordx8 s[36:43], s[0:1], 0x20
	s_mov_b32 s22, s4
	s_load_dwordx2 s[8:9], s[0:1], 0x10
	v_and_b32_e32 v16, 0x3ff, v0
	v_bfe_u32 v17, v0, 10, 10
	s_waitcnt lgkmcnt(0)
	s_add_i32 s4, s37, 12
	s_mul_hi_i32 s4, s4, 0x4ec4ec4f
	s_lshr_b32 s5, s4, 31
	s_ashr_i32 s4, s4, 2
	s_add_i32 s4, s4, s5
	v_cvt_f32_u32_e32 v1, s4
	s_load_dwordx4 s[44:47], s[0:1], 0x44
	s_load_dword s5, s[0:1], 0x64
	s_add_u32 s12, s0, 0x60
	s_addc_u32 s13, s1, 0
	v_rcp_iflag_f32_e32 v1, v1
	s_sub_i32 s6, 0, s4
	v_mul_f32_e32 v1, 0x4f7ffffe, v1
	v_cvt_u32_f32_e32 v1, v1
	v_mul_lo_u32 v2, s6, v1
	v_mul_hi_u32 v2, v1, v2
	v_add_u32_e32 v1, v1, v2
	s_waitcnt lgkmcnt(0)
	v_mul_hi_u32 v1, s5, v1
	v_mul_lo_u32 v2, v1, s4
	v_sub_u32_e32 v2, s5, v2
	v_add_u32_e32 v3, 1, v1
	v_subrev_u32_e32 v4, s4, v2
	v_cmp_le_u32_e32 vcc, s4, v2
	s_nop 1
	v_cndmask_b32_e32 v1, v1, v3, vcc
	v_cndmask_b32_e32 v2, v2, v4, vcc
	v_add_u32_e32 v3, 1, v1
	v_cmp_le_u32_e32 vcc, s4, v2
	s_abs_i32 s4, s47
	s_sub_i32 s5, 0, s4
	v_cndmask_b32_e32 v1, v1, v3, vcc
	v_cvt_f32_u32_e32 v2, v1
	v_cvt_f32_u32_e32 v3, s4
	v_cmp_eq_u32_e32 vcc, 0, v16
	v_rcp_iflag_f32_e32 v2, v2
	v_rcp_iflag_f32_e32 v3, v3
	v_mul_f32_e32 v2, 0x4f7ffffe, v2
	v_cvt_u32_f32_e32 v2, v2
	v_mul_f32_e32 v3, 0x4f7ffffe, v3
	v_cvt_u32_f32_e32 v8, v3
	v_sub_u32_e32 v3, 0, v1
	v_mul_lo_u32 v3, v3, v2
	v_mul_hi_u32 v3, v2, v3
	v_add_u32_e32 v2, v2, v3
	v_mul_hi_u32 v2, s3, v2
	s_and_saveexec_b64 s[6:7], vcc
; %bb.1:
	v_mov_b32_e32 v3, 0x100
	v_lshl_add_u32 v3, v17, 2, v3
	v_mov_b32_e32 v4, -1
	ds_write_b32 v3, v4
; %bb.2:
	s_or_b64 exec, exec, s[6:7]
	v_mul_lo_u32 v3, v2, v1
	v_sub_u32_e32 v3, s3, v3
	v_add_u32_e32 v4, 1, v2
	v_sub_u32_e32 v5, v3, v1
	v_cmp_ge_u32_e64 s[6:7], v3, v1
	v_mul_lo_u32 v9, s5, v8
	s_nop 0
	v_cndmask_b32_e64 v2, v2, v4, s[6:7]
	v_cndmask_b32_e64 v3, v3, v5, s[6:7]
	v_add_u32_e32 v4, 1, v2
	v_cmp_ge_u32_e64 s[6:7], v3, v1
	s_nop 1
	v_cndmask_b32_e64 v2, v2, v4, s[6:7]
	v_mul_lo_u32 v94, v2, 13
	v_mul_lo_u32 v1, v2, v1
	v_mul_hi_i32 v3, v94, s43
	v_mul_lo_u32 v2, v94, s43
	v_sub_u32_e32 v18, s3, v1
	v_lshlrev_b64 v[2:3], 2, v[2:3]
	v_add_u32_e32 v1, v17, v94
	v_lshl_add_u64 v[2:3], s[8:9], 0, v[2:3]
	v_cmp_gt_i32_e64 s[6:7], s38, v16
	v_cmp_gt_i32_e64 s[24:25], s37, v1
	v_mov_b32_e32 v1, 0
	s_and_saveexec_b64 s[14:15], s[24:25]
	s_cbranch_execz .LBB145_10
; %bb.3:
	v_mov_b32_e32 v1, 0
	s_and_saveexec_b64 s[16:17], s[6:7]
	s_cbranch_execz .LBB145_9
; %bb.4:
	v_mul_lo_u32 v4, v17, s43
	v_ashrrev_i32_e32 v5, 31, v4
	v_mov_b32_e32 v1, 0x100
	v_lshl_add_u64 v[4:5], v[4:5], 2, v[2:3]
	v_lshl_add_u32 v10, v17, 2, v1
	v_mul_lo_u32 v6, v16, s42
	s_lshl_b32 s3, s42, 6
	v_mov_b32_e32 v1, 0
	s_mov_b64 s[18:19], 0
	v_mov_b32_e32 v11, v16
	s_branch .LBB145_6
.LBB145_5:                              ;   in Loop: Header=BB145_6 Depth=1
	s_or_b64 exec, exec, s[20:21]
	v_add_u32_e32 v11, 64, v11
	v_cmp_le_i32_e64 s[10:11], s38, v11
	s_xor_b64 s[8:9], s[8:9], -1
	s_or_b64 s[8:9], s[8:9], s[10:11]
	s_and_b64 s[8:9], exec, s[8:9]
	s_or_b64 s[18:19], s[8:9], s[18:19]
	v_add_u32_e32 v6, s3, v6
	s_andn2_b64 exec, exec, s[18:19]
	s_cbranch_execz .LBB145_8
.LBB145_6:                              ; =>This Inner Loop Header: Depth=1
	v_ashrrev_i32_e32 v7, 31, v6
	v_lshl_add_u64 v[12:13], v[6:7], 2, v[4:5]
	global_load_dword v7, v[12:13], off
	s_waitcnt vmcnt(0)
	v_cmp_ne_u32_e64 s[8:9], v7, v18
	v_cmp_eq_u32_e64 s[10:11], v7, v18
	s_and_saveexec_b64 s[20:21], s[10:11]
	s_cbranch_execz .LBB145_5
; %bb.7:                                ;   in Loop: Header=BB145_6 Depth=1
	v_mov_b32_e32 v1, 1
	ds_write_b32 v10, v11
	s_branch .LBB145_5
.LBB145_8:
	s_or_b64 exec, exec, s[18:19]
.LBB145_9:
	s_or_b64 exec, exec, s[16:17]
.LBB145_10:
	s_or_b64 exec, exec, s[14:15]
	v_mul_hi_u32 v4, v8, v9
	s_and_saveexec_b64 s[8:9], vcc
; %bb.11:
	v_mov_b32_e32 v5, 0x100
	v_lshl_add_u32 v5, v17, 2, v5
	v_mov_b32_e32 v6, -1
	ds_write_b32 v5, v6 offset:32
; %bb.12:
	s_or_b64 exec, exec, s[8:9]
	s_load_dwordx4 s[28:31], s[0:1], 0x54
	v_add_u32_e32 v95, 8, v17
	s_abs_i32 s3, s22
	v_add_u32_e32 v6, v8, v4
	v_add_u32_e32 v4, v95, v94
	v_cmp_gt_i32_e64 s[10:11], s37, v4
	s_mov_b64 s[8:9], exec
                                        ; implicit-def: $vgpr109 : SGPR spill to VGPR lane
	s_nop 0
	v_writelane_b32 v109, s10, 0
	s_nop 1
	v_writelane_b32 v109, s11, 1
	s_and_b64 s[10:11], s[8:9], s[10:11]
	s_mov_b64 exec, s[10:11]
	s_cbranch_execz .LBB145_20
; %bb.13:
	s_and_saveexec_b64 s[10:11], s[6:7]
	s_cbranch_execz .LBB145_19
; %bb.14:
	v_mul_lo_u32 v4, v95, s43
	v_ashrrev_i32_e32 v5, 31, v4
	v_lshl_add_u64 v[2:3], v[4:5], 2, v[2:3]
	v_mov_b32_e32 v4, 0x100
	v_lshl_add_u32 v7, v17, 2, v4
	v_mul_lo_u32 v4, v16, s42
	s_lshl_b32 s5, s42, 6
	s_mov_b64 s[14:15], 0
	v_mov_b32_e32 v8, v16
	s_branch .LBB145_16
.LBB145_15:                             ;   in Loop: Header=BB145_16 Depth=1
	s_or_b64 exec, exec, s[16:17]
	v_add_u32_e32 v8, 64, v8
	v_cmp_le_i32_e64 s[6:7], s38, v8
	s_xor_b64 s[16:17], vcc, -1
	s_or_b64 s[6:7], s[16:17], s[6:7]
	s_and_b64 s[6:7], exec, s[6:7]
	s_or_b64 s[14:15], s[6:7], s[14:15]
	v_add_u32_e32 v4, s5, v4
	s_andn2_b64 exec, exec, s[14:15]
	s_cbranch_execz .LBB145_18
.LBB145_16:                             ; =>This Inner Loop Header: Depth=1
	v_ashrrev_i32_e32 v5, 31, v4
	v_lshl_add_u64 v[10:11], v[4:5], 2, v[2:3]
	global_load_dword v5, v[10:11], off
	s_waitcnt vmcnt(0)
	v_cmp_ne_u32_e32 vcc, v5, v18
	v_cmp_eq_u32_e64 s[6:7], v5, v18
	s_and_saveexec_b64 s[16:17], s[6:7]
	s_cbranch_execz .LBB145_15
; %bb.17:                               ;   in Loop: Header=BB145_16 Depth=1
	v_mov_b32_e32 v1, 1
	ds_write_b32 v7, v8 offset:32
	s_branch .LBB145_15
.LBB145_18:
	s_or_b64 exec, exec, s[14:15]
.LBB145_19:
	s_or_b64 exec, exec, s[10:11]
.LBB145_20:
	s_or_b64 exec, exec, s[8:9]
	s_load_dwordx2 s[6:7], s[12:13], 0xc
	s_load_dwordx2 s[8:9], s[0:1], 0x8
	;; [unrolled: 1-line block ×3, first 2 shown]
	v_or_b32_dpp v1, v1, v1 row_shl:1 row_mask:0xf bank_mask:0xf bound_ctrl:1
	v_mul_hi_u32 v19, s3, v6
	s_waitcnt lgkmcnt(0)
	s_and_b32 s5, s7, 0xffff
	s_lshr_b32 s7, s6, 16
	v_writelane_b32 v109, s10, 2
	s_and_b32 s6, s6, 0xffff
	v_or_b32_dpp v1, v1, v1 row_shl:2 row_mask:0xf bank_mask:0xf bound_ctrl:1
	v_writelane_b32 v109, s11, 3
	s_mul_i32 s10, s7, s6
	v_or_b32_dpp v1, v1, v1 row_shl:4 row_mask:0xf bank_mask:0xf bound_ctrl:1
	s_bfe_i32 s10, s10, 0x180000
	s_mul_i32 s5, s10, s5
	v_or_b32_dpp v1, v1, v1 row_shl:8 row_mask:0xf bank_mask:0xf bound_ctrl:1
	s_add_i32 s10, s5, 63
	s_bitcmp1_b32 exec_hi, 0
	v_mov_b32_dpp v2, v1 wave_shl:1 row_mask:0xf bank_mask:0xf bound_ctrl:1
                                        ; kill: killed $sgpr12 killed $sgpr13
	s_nop 1
	v_or_b32_dpp v1, v2, v1 row_mirror row_mask:0xf bank_mask:0xf bound_ctrl:1
	s_nop 0
	v_readlane_b32 s5, v1, 32
	s_cselect_b32 s5, s5, 0
	v_readlane_b32 s11, v1, 0
	s_or_b32 s5, s5, s11
	s_andn2_b32 s10, s10, 63
	s_cmp_lg_u32 s10, 64
	v_mov_b32_e32 v1, s5
	s_cbranch_scc0 .LBB145_27
; %bb.21:
	v_bfe_u32 v0, v0, 20, 10
	v_mbcnt_lo_u32_b32 v1, -1, 0
	v_mad_u32_u24 v0, v0, s7, v17
	v_mbcnt_hi_u32_b32 v2, -1, v1
	v_mad_u64_u32 v[0:1], s[6:7], v0, s6, v[16:17]
	v_lshrrev_b32_e32 v1, 6, v0
	v_or_b32_e32 v1, v2, v1
	v_cmp_eq_u32_e32 vcc, 0, v1
	s_and_saveexec_b64 s[6:7], vcc
; %bb.22:
	v_mov_b32_e32 v1, 0
	v_mov_b32_e32 v3, s5
	ds_write_b32 v1, v3
; %bb.23:
	s_or_b64 exec, exec, s[6:7]
	v_cmp_eq_u32_e32 vcc, 0, v2
	v_cmp_lt_u32_e64 s[6:7], 63, v0
	s_and_b64 s[10:11], s[6:7], vcc
	s_waitcnt lgkmcnt(0)
	s_barrier
	s_and_saveexec_b64 s[6:7], s[10:11]
	s_cbranch_execz .LBB145_26
; %bb.24:
	v_mbcnt_lo_u32_b32 v0, exec_lo, 0
	v_mbcnt_hi_u32_b32 v0, exec_hi, v0
	v_cmp_eq_u32_e32 vcc, 0, v0
	s_and_b64 exec, exec, vcc
; %bb.25:
	v_mov_b32_e32 v0, 0
	v_mov_b32_e32 v1, s5
	ds_or_b32 v0, v1
.LBB145_26:
	s_or_b64 exec, exec, s[6:7]
	v_mov_b32_e32 v0, 0
	s_waitcnt lgkmcnt(0)
	s_barrier
	ds_read_b32 v1, v0
	s_waitcnt lgkmcnt(0)
	s_barrier
.LBB145_27:
	s_load_dwordx2 s[0:1], s[0:1], 0x0
	v_cmp_ne_u32_e32 vcc, 0, v1
	s_ashr_i32 s5, s22, 31
	s_ashr_i32 s10, s47, 31
	s_cbranch_vccz .LBB145_93
; %bb.28:
	v_lshlrev_b32_e32 v96, 6, v17
	v_add_u32_e32 v98, v96, v16
	v_cmp_le_i32_e32 vcc, s36, v98
	v_and_b32_e32 v97, 15, v16
	s_and_saveexec_b64 s[6:7], vcc
	s_xor_b64 s[6:7], exec, s[6:7]
; %bb.29:
	v_and_b32_e32 v97, 15, v16
                                        ; implicit-def: $vgpr98
                                        ; implicit-def: $vgpr19
                                        ; implicit-def: $vgpr18
; %bb.30:
	s_or_saveexec_b64 s[12:13], s[6:7]
	v_mov_b32_e32 v7, 0
	s_lshl_b32 s6, s2, 6
	v_mov_b32_e32 v6, v7
	v_mov_b32_e32 v5, v7
	;; [unrolled: 1-line block ×15, first 2 shown]
	v_writelane_b32 v109, s12, 4
	s_nop 1
	v_writelane_b32 v109, s13, 5
	s_xor_b64 exec, exec, s[12:13]
	s_cbranch_execz .LBB145_86
; %bb.31:
	v_mul_lo_u32 v0, v19, s4
	v_sub_u32_e32 v0, s3, v0
	v_add_u32_e32 v1, 1, v19
	v_subrev_u32_e32 v2, s4, v0
	v_cmp_le_u32_e32 vcc, s4, v0
	s_xor_b32 s2, s5, s10
	v_writelane_b32 v109, s24, 6
	v_cndmask_b32_e32 v1, v19, v1, vcc
	v_cndmask_b32_e32 v0, v0, v2, vcc
	v_add_u32_e32 v2, 1, v1
	v_cmp_le_u32_e32 vcc, s4, v0
	v_writelane_b32 v109, s25, 7
	v_writelane_b32 v109, s6, 8
	v_cndmask_b32_e32 v0, v1, v2, vcc
	v_xor_b32_e32 v0, s2, v0
	v_subrev_u32_e32 v0, s2, v0
	v_mul_hi_i32 v1, v0, s28
	v_mul_lo_u32 v0, v0, s28
	v_mul_lo_u32 v2, v18, s44
	v_ashrrev_i32_e32 v3, 31, v2
	s_mul_i32 s2, s39, s6
	v_lshlrev_b64 v[0:1], 2, v[0:1]
	s_movk_i32 s4, 0x1080
	v_mov_b32_e32 v99, 0x100
	v_writelane_b32 v109, s22, 9
	s_waitcnt lgkmcnt(0)
	v_lshl_add_u64 v[4:5], s[0:1], 0, v[0:1]
	v_lshlrev_b64 v[2:3], 2, v[2:3]
	s_ashr_i32 s3, s2, 31
	v_mad_u32_u24 v6, v17, s4, v99
	s_mul_hi_i32 s5, s29, s22
	v_writelane_b32 v109, s28, 10
	s_mul_i32 s4, s29, s22
	v_lshl_add_u64 v[4:5], v[4:5], 0, v[2:3]
	s_lshl_b64 s[2:3], s[2:3], 2
	s_lshl_b64 s[4:5], s[4:5], 2
	v_lshl_add_u64 v[18:19], v[4:5], 0, s[2:3]
	v_writelane_b32 v109, s29, 11
	v_mul_hi_i32 v5, s40, v94
	v_mul_lo_u32 v4, s40, v94
	s_add_u32 s4, s8, s4
	v_writelane_b32 v109, s30, 12
	v_lshlrev_b64 v[4:5], 3, v[4:5]
	s_addc_u32 s5, s9, s5
	v_writelane_b32 v109, s31, 13
	v_lshl_add_u64 v[20:21], s[4:5], 0, v[4:5]
	s_lshl_b32 s4, s40, 3
	v_writelane_b32 v109, s4, 14
	s_mul_i32 s4, s40, 6
	v_writelane_b32 v109, s4, 15
	s_lshl_b32 s4, s40, 4
	v_writelane_b32 v109, s4, 16
	s_mul_i32 s4, s40, 10
	v_writelane_b32 v109, s4, 17
	s_mul_i32 s4, s40, 12
	;; [unrolled: 2-line block ×3, first 2 shown]
	v_lshl_add_u64 v[0:1], v[0:1], 0, s[2:3]
	v_writelane_b32 v109, s4, 19
	s_mul_i32 s4, s40, 22
	v_lshrrev_b32_e32 v5, 1, v16
	v_lshl_add_u64 v[0:1], v[0:1], 0, v[2:3]
	v_writelane_b32 v109, s4, 20
	s_mul_i32 s4, s40, 20
	v_mul_u32_u24_e32 v4, 0x108, v97
	v_and_b32_e32 v5, 0x1f8, v5
	v_add_u32_e32 v26, 1, v94
	v_add_u32_e32 v27, 2, v94
	s_lshl_b32 s38, s40, 2
	v_add_u32_e32 v28, 3, v94
	v_add_u32_e32 v29, 4, v94
	;; [unrolled: 1-line block ×10, first 2 shown]
	s_ashr_i32 s7, s39, 31
	s_mov_b32 s6, s39
	v_lshl_add_u64 v[0:1], s[0:1], 0, v[0:1]
	v_lshlrev_b32_e32 v2, 1, v16
	v_lshlrev_b32_e32 v22, 2, v98
	v_mov_b32_e32 v23, 0
	v_writelane_b32 v109, s4, 21
	s_mul_i32 s4, s40, 18
	v_lshl_add_u32 v100, v16, 2, v6
	v_add3_u32 v101, v6, v4, v5
	s_add_i32 s54, s39, s39
	s_mul_i32 s55, s39, 3
	s_lshl_b32 s56, s39, 2
	s_mul_i32 s57, s39, 5
	s_mul_i32 s58, s39, 6
	;; [unrolled: 1-line block ×3, first 2 shown]
	s_lshl_b32 s60, s39, 3
	s_mul_i32 s61, s39, 9
	s_mul_i32 s62, s39, 10
	;; [unrolled: 1-line block ×7, first 2 shown]
	s_lshl_b32 s68, s39, 4
	s_mul_i32 s69, s39, 17
	s_mul_i32 s70, s39, 18
	;; [unrolled: 1-line block ×15, first 2 shown]
	s_lshl_b32 s84, s39, 5
	s_mul_i32 s85, s39, 33
	s_mul_i32 s86, s39, 34
	;; [unrolled: 1-line block ×17, first 2 shown]
	v_cmp_gt_i32_e64 s[0:1], s37, v94
	s_mul_i32 s53, s39, 50
	s_mul_i32 s34, s39, 51
	v_lshl_add_u32 v102, v17, 7, v2
	s_lshl_b64 s[2:3], s[6:7], 2
	v_lshl_add_u64 v[24:25], v[0:1], 0, v[22:23]
	v_mov_b32_e32 v12, 0
	v_mov_b32_e32 v13, v23
	;; [unrolled: 1-line block ×16, first 2 shown]
	s_mul_i32 s35, s39, 52
	s_mul_i32 s42, s39, 53
	;; [unrolled: 1-line block ×12, first 2 shown]
	v_writelane_b32 v109, s4, 22
	s_mul_i32 s4, s40, 14
	s_lshl_b32 s40, s40, 1
	v_cmp_gt_i32_e64 s[6:7], s37, v26
	v_cmp_gt_i32_e64 s[8:9], s37, v27
	;; [unrolled: 1-line block ×12, first 2 shown]
	s_mov_b32 s37, s38
	s_mov_b64 s[38:39], 0
	s_branch .LBB145_34
.LBB145_32:                             ;   in Loop: Header=BB145_34 Depth=1
	v_mul_lo_u32 v22, v22, s45
	v_readlane_b32 vcc_lo, v109, 19
	s_nop 1
	v_add_u32_e32 v22, vcc_lo, v22
	v_add_u32_e32 v90, v22, v102
	v_ashrrev_i32_e32 v91, 31, v90
	v_lshl_add_u64 v[90:91], v[90:91], 2, v[20:21]
	global_load_dwordx2 v[90:91], v[90:91], off
.LBB145_33:                             ;   in Loop: Header=BB145_34 Depth=1
	s_waitcnt vmcnt(0)
	v_cvt_pk_bf16_f32 v22, v90, v91
	v_add_u32_e32 v90, 0xc00, v100
	ds_write2_b32 v90, v22, v23 offset0:40 offset1:106
	ds_write2_b32 v90, v23, v23 offset0:172 offset1:238
	ds_read2_b64 v[90:93], v101 offset0:8 offset1:12
	v_add_u32_e32 v98, 0x200, v98
	s_mov_b64 vcc, 0x800
	v_lshl_add_u64 v[24:25], v[24:25], 0, vcc
	s_waitcnt lgkmcnt(0)
	v_mfma_f32_16x16x16_bf16 v[0:3], v[58:59], v[90:91], v[0:3]
	v_cmp_le_i32_e32 vcc, s36, v98
	v_add_u32_e32 v102, 0x400, v102
	s_or_b64 s[38:39], vcc, s[38:39]
	v_mfma_f32_16x16x16_bf16 v[4:7], v[42:43], v[90:91], v[4:7]
	v_mfma_f32_16x16x16_bf16 v[8:11], v[74:75], v[90:91], v[8:11]
	v_mfma_f32_16x16x16_bf16 v[12:15], v[88:89], v[90:91], v[12:15]
	v_mfma_f32_16x16x16_bf16 v[0:3], v[56:57], v[92:93], v[0:3]
	ds_read2_b64 v[56:59], v101 offset0:16 offset1:20
	v_mfma_f32_16x16x16_bf16 v[4:7], v[38:39], v[92:93], v[4:7]
	v_mfma_f32_16x16x16_bf16 v[8:11], v[72:73], v[92:93], v[8:11]
	v_mfma_f32_16x16x16_bf16 v[12:15], v[86:87], v[92:93], v[12:15]
	s_waitcnt lgkmcnt(0)
	v_mfma_f32_16x16x16_bf16 v[4:7], v[36:37], v[56:57], v[4:7]
	v_mfma_f32_16x16x16_bf16 v[0:3], v[54:55], v[56:57], v[0:3]
	v_mfma_f32_16x16x16_bf16 v[8:11], v[70:71], v[56:57], v[8:11]
	v_mfma_f32_16x16x16_bf16 v[12:15], v[82:83], v[56:57], v[12:15]
	v_mfma_f32_16x16x16_bf16 v[4:7], v[34:35], v[58:59], v[4:7]
	ds_read2_b64 v[34:37], v101 offset0:24 offset1:28
	v_mfma_f32_16x16x16_bf16 v[0:3], v[52:53], v[58:59], v[0:3]
	v_mfma_f32_16x16x16_bf16 v[8:11], v[68:69], v[58:59], v[8:11]
	v_mfma_f32_16x16x16_bf16 v[12:15], v[78:79], v[58:59], v[12:15]
	s_waitcnt lgkmcnt(0)
	v_mfma_f32_16x16x16_bf16 v[4:7], v[32:33], v[34:35], v[4:7]
	;; [unrolled: 10-line block ×3, first 2 shown]
	v_mfma_f32_16x16x16_bf16 v[0:3], v[46:47], v[30:31], v[0:3]
	v_mfma_f32_16x16x16_bf16 v[8:11], v[60:61], v[30:31], v[8:11]
	;; [unrolled: 1-line block ×7, first 2 shown]
	s_andn2_b64 exec, exec, s[38:39]
	s_cbranch_execz .LBB145_85
.LBB145_34:                             ; =>This Inner Loop Header: Depth=1
	v_lshl_add_u64 v[26:27], v[24:25], 0, s[2:3]
	global_load_dword v22, v[24:25], off
	global_load_dword v52, v[26:27], off
	v_add_u32_e32 v26, s54, v98
	v_ashrrev_i32_e32 v27, 31, v26
	v_add_u32_e32 v28, s55, v98
	v_add_u32_e32 v30, s56, v98
	;; [unrolled: 1-line block ×5, first 2 shown]
	v_lshl_add_u64 v[26:27], v[26:27], 2, v[18:19]
	v_ashrrev_i32_e32 v29, 31, v28
	v_ashrrev_i32_e32 v31, 31, v30
	;; [unrolled: 1-line block ×5, first 2 shown]
	v_lshl_add_u64 v[28:29], v[28:29], 2, v[18:19]
	v_lshl_add_u64 v[30:31], v[30:31], 2, v[18:19]
	;; [unrolled: 1-line block ×5, first 2 shown]
	global_load_dword v53, v[26:27], off
	global_load_dword v54, v[28:29], off
	;; [unrolled: 1-line block ×6, first 2 shown]
	v_add_u32_e32 v26, s60, v98
	v_add_u32_e32 v44, s69, v98
	v_add_u32_e32 v28, s61, v98
	v_add_u32_e32 v30, s62, v98
	v_add_u32_e32 v32, s63, v98
	v_add_u32_e32 v34, s64, v98
	v_add_u32_e32 v36, s65, v98
	v_add_u32_e32 v38, s66, v98
	v_add_u32_e32 v40, s67, v98
	v_add_u32_e32 v42, s68, v98
	v_ashrrev_i32_e32 v27, 31, v26
	v_ashrrev_i32_e32 v45, 31, v44
	;; [unrolled: 1-line block ×10, first 2 shown]
	v_lshl_add_u64 v[26:27], v[26:27], 2, v[18:19]
	v_lshl_add_u64 v[44:45], v[44:45], 2, v[18:19]
	v_add_u32_e32 v46, s70, v98
	v_add_u32_e32 v48, s71, v98
	;; [unrolled: 1-line block ×3, first 2 shown]
	v_lshl_add_u64 v[28:29], v[28:29], 2, v[18:19]
	v_lshl_add_u64 v[30:31], v[30:31], 2, v[18:19]
	;; [unrolled: 1-line block ×8, first 2 shown]
	global_load_dword v59, v[26:27], off
	global_load_dword v60, v[28:29], off
	global_load_dword v61, v[30:31], off
	global_load_dword v62, v[32:33], off
	global_load_dword v63, v[34:35], off
	global_load_dword v64, v[36:37], off
	global_load_dword v65, v[38:39], off
	global_load_dword v66, v[40:41], off
	global_load_dword v67, v[42:43], off
	s_nop 0
	global_load_dword v44, v[44:45], off
	v_add_u32_e32 v26, s73, v98
	v_ashrrev_i32_e32 v47, 31, v46
	v_ashrrev_i32_e32 v49, 31, v48
	;; [unrolled: 1-line block ×4, first 2 shown]
	v_add_u32_e32 v28, s74, v98
	v_add_u32_e32 v30, s75, v98
	;; [unrolled: 1-line block ×4, first 2 shown]
	v_lshl_add_u64 v[46:47], v[46:47], 2, v[18:19]
	v_lshl_add_u64 v[48:49], v[48:49], 2, v[18:19]
	;; [unrolled: 1-line block ×4, first 2 shown]
	v_ashrrev_i32_e32 v29, 31, v28
	v_ashrrev_i32_e32 v31, 31, v30
	;; [unrolled: 1-line block ×4, first 2 shown]
	v_lshl_add_u64 v[28:29], v[28:29], 2, v[18:19]
	v_lshl_add_u64 v[30:31], v[30:31], 2, v[18:19]
	;; [unrolled: 1-line block ×4, first 2 shown]
	v_add_u32_e32 v36, s83, v98
	v_add_u32_e32 v38, s84, v98
	;; [unrolled: 1-line block ×3, first 2 shown]
	v_ashrrev_i32_e32 v37, 31, v36
	v_ashrrev_i32_e32 v39, 31, v38
	;; [unrolled: 1-line block ×3, first 2 shown]
	v_lshl_add_u64 v[36:37], v[36:37], 2, v[18:19]
	s_waitcnt vmcnt(17)
	ds_write_b32 v100, v22 offset:64
	s_waitcnt vmcnt(16)
	ds_write_b32 v100, v52 offset:328
	;; [unrolled: 2-line block ×8, first 2 shown]
	global_load_dword v22, v[46:47], off
	global_load_dword v45, v[48:49], off
	s_nop 0
	global_load_dword v46, v[50:51], off
	global_load_dword v47, v[26:27], off
	;; [unrolled: 1-line block ×4, first 2 shown]
	s_nop 0
	global_load_dword v50, v[32:33], off
	global_load_dword v51, v[34:35], off
	v_add_u32_e32 v26, s78, v98
	v_ashrrev_i32_e32 v27, 31, v26
	v_add_u32_e32 v28, s79, v98
	v_add_u32_e32 v30, s80, v98
	v_add_u32_e32 v32, s81, v98
	v_add_u32_e32 v34, s82, v98
	v_lshl_add_u64 v[26:27], v[26:27], 2, v[18:19]
	v_ashrrev_i32_e32 v29, 31, v28
	v_ashrrev_i32_e32 v31, 31, v30
	v_ashrrev_i32_e32 v33, 31, v32
	v_ashrrev_i32_e32 v35, 31, v34
	v_lshl_add_u64 v[28:29], v[28:29], 2, v[18:19]
	v_lshl_add_u64 v[30:31], v[30:31], 2, v[18:19]
	v_lshl_add_u64 v[32:33], v[32:33], 2, v[18:19]
	v_lshl_add_u64 v[34:35], v[34:35], 2, v[18:19]
	v_lshl_add_u64 v[38:39], v[38:39], 2, v[18:19]
	v_lshl_add_u64 v[40:41], v[40:41], 2, v[18:19]
	global_load_dword v52, v[26:27], off
	global_load_dword v53, v[28:29], off
	global_load_dword v54, v[30:31], off
	global_load_dword v55, v[32:33], off
	global_load_dword v56, v[34:35], off
	global_load_dword v57, v[36:37], off
	global_load_dword v68, v[38:39], off
	global_load_dword v69, v[40:41], off
	v_add_u32_e32 v26, s86, v98
	v_ashrrev_i32_e32 v27, 31, v26
	v_add_u32_e32 v28, s87, v98
	v_add_u32_e32 v30, s88, v98
	v_add_u32_e32 v32, s89, v98
	v_add_u32_e32 v34, s90, v98
	v_add_u32_e32 v36, s91, v98
	v_add_u32_e32 v38, s92, v98
	v_add_u32_e32 v40, s93, v98
	v_lshl_add_u64 v[26:27], v[26:27], 2, v[18:19]
	v_ashrrev_i32_e32 v29, 31, v28
	v_ashrrev_i32_e32 v31, 31, v30
	v_ashrrev_i32_e32 v33, 31, v32
	v_ashrrev_i32_e32 v35, 31, v34
	v_ashrrev_i32_e32 v37, 31, v36
	v_ashrrev_i32_e32 v39, 31, v38
	v_ashrrev_i32_e32 v41, 31, v40
	v_lshl_add_u64 v[28:29], v[28:29], 2, v[18:19]
	v_lshl_add_u64 v[30:31], v[30:31], 2, v[18:19]
	v_lshl_add_u64 v[32:33], v[32:33], 2, v[18:19]
	v_lshl_add_u64 v[34:35], v[34:35], 2, v[18:19]
	v_lshl_add_u64 v[36:37], v[36:37], 2, v[18:19]
	v_lshl_add_u64 v[38:39], v[38:39], 2, v[18:19]
	v_lshl_add_u64 v[40:41], v[40:41], 2, v[18:19]
	global_load_dword v70, v[26:27], off
	global_load_dword v71, v[28:29], off
	global_load_dword v72, v[30:31], off
	global_load_dword v73, v[32:33], off
	global_load_dword v74, v[34:35], off
	global_load_dword v75, v[36:37], off
	global_load_dword v76, v[38:39], off
	global_load_dword v77, v[40:41], off
	v_add_u32_e32 v26, s94, v98
	v_ashrrev_i32_e32 v27, 31, v26
	v_add_u32_e32 v28, s95, v98
	v_add_u32_e32 v30, s96, v98
	v_add_u32_e32 v32, s97, v98
	v_add_u32_e32 v34, s98, v98
	v_add_u32_e32 v36, s99, v98
	v_add_u32_e32 v38, s5, v98
	v_add_u32_e32 v40, s52, v98
	v_lshl_add_u64 v[26:27], v[26:27], 2, v[18:19]
	v_ashrrev_i32_e32 v29, 31, v28
	v_ashrrev_i32_e32 v31, 31, v30
	v_ashrrev_i32_e32 v33, 31, v32
	v_ashrrev_i32_e32 v35, 31, v34
	v_ashrrev_i32_e32 v37, 31, v36
	v_ashrrev_i32_e32 v39, 31, v38
	v_ashrrev_i32_e32 v41, 31, v40
	v_lshl_add_u64 v[28:29], v[28:29], 2, v[18:19]
	;; [unrolled: 32-line block ×3, first 2 shown]
	v_lshl_add_u64 v[30:31], v[30:31], 2, v[18:19]
	v_lshl_add_u64 v[32:33], v[32:33], 2, v[18:19]
	;; [unrolled: 1-line block ×6, first 2 shown]
	global_load_dword v86, v[26:27], off
	global_load_dword v87, v[28:29], off
	;; [unrolled: 1-line block ×8, first 2 shown]
	v_add_u32_e32 v26, s33, v98
	v_ashrrev_i32_e32 v27, 31, v26
	v_add_u32_e32 v28, s44, v98
	v_add_u32_e32 v30, s47, v98
	;; [unrolled: 1-line block ×5, first 2 shown]
	v_lshl_add_u64 v[26:27], v[26:27], 2, v[18:19]
	v_ashrrev_i32_e32 v29, 31, v28
	v_ashrrev_i32_e32 v31, 31, v30
	;; [unrolled: 1-line block ×5, first 2 shown]
	v_lshl_add_u64 v[28:29], v[28:29], 2, v[18:19]
	v_lshl_add_u64 v[30:31], v[30:31], 2, v[18:19]
	;; [unrolled: 1-line block ×5, first 2 shown]
	global_load_dword v103, v[26:27], off
	global_load_dword v104, v[28:29], off
	;; [unrolled: 1-line block ×6, first 2 shown]
	s_waitcnt vmcnt(55)
	ds_write_b32 v100, v59 offset:2176
	s_waitcnt vmcnt(54)
	ds_write_b32 v100, v60 offset:2440
	s_waitcnt vmcnt(53)
	ds_write_b32 v100, v61 offset:2704
	s_waitcnt vmcnt(52)
	ds_write_b32 v100, v62 offset:2968
	s_waitcnt vmcnt(51)
	ds_write_b32 v100, v63 offset:3232
	s_waitcnt vmcnt(50)
	ds_write_b32 v100, v64 offset:3496
	s_waitcnt vmcnt(49)
	ds_write_b32 v100, v65 offset:3760
	s_waitcnt vmcnt(48)
	ds_write_b32 v100, v66 offset:4024
	ds_read_b64 v[42:43], v101 offset:64
	ds_read_b64 v[38:39], v101 offset:96
	ds_read_b64 v[36:37], v101 offset:128
	ds_read_b64 v[34:35], v101 offset:160
	ds_read_b64 v[32:33], v101 offset:192
	ds_read_b64 v[30:31], v101 offset:224
	ds_read_b64 v[28:29], v101 offset:256
	ds_read_b64 v[26:27], v101 offset:288
	s_waitcnt vmcnt(47)
	ds_write_b32 v100, v67 offset:64
	s_waitcnt vmcnt(46)
	ds_write_b32 v100, v44 offset:328
	s_waitcnt vmcnt(45)
	ds_write_b32 v100, v22 offset:592
	s_waitcnt vmcnt(44)
	ds_write_b32 v100, v45 offset:856
	s_waitcnt vmcnt(43)
	ds_write_b32 v100, v46 offset:1120
	s_waitcnt vmcnt(42)
	ds_write_b32 v100, v47 offset:1384
	s_waitcnt vmcnt(41)
	ds_write_b32 v100, v48 offset:1648
	s_waitcnt vmcnt(40)
	ds_write_b32 v100, v49 offset:1912
	s_waitcnt vmcnt(39)
	ds_write_b32 v100, v50 offset:2176
	s_waitcnt vmcnt(38)
	ds_write_b32 v100, v51 offset:2440
	s_waitcnt vmcnt(37)
	ds_write_b32 v100, v52 offset:2704
	s_waitcnt vmcnt(36)
	ds_write_b32 v100, v53 offset:2968
	s_waitcnt vmcnt(35)
	ds_write_b32 v100, v54 offset:3232
	s_waitcnt vmcnt(34)
	ds_write_b32 v100, v55 offset:3496
	s_waitcnt vmcnt(33)
	ds_write_b32 v100, v56 offset:3760
	s_waitcnt vmcnt(32)
	ds_write_b32 v100, v57 offset:4024
	ds_read_b64 v[58:59], v101 offset:64
	ds_read_b64 v[56:57], v101 offset:96
	ds_read_b64 v[54:55], v101 offset:128
	ds_read_b64 v[52:53], v101 offset:160
	ds_read_b64 v[50:51], v101 offset:192
	ds_read_b64 v[48:49], v101 offset:224
	ds_read_b64 v[46:47], v101 offset:256
	ds_read_b64 v[40:41], v101 offset:288
	s_waitcnt vmcnt(31)
	ds_write_b32 v100, v68 offset:64
	s_waitcnt vmcnt(30)
	ds_write_b32 v100, v69 offset:328
	s_waitcnt vmcnt(29)
	ds_write_b32 v100, v70 offset:592
	s_waitcnt vmcnt(28)
	ds_write_b32 v100, v71 offset:856
	s_waitcnt vmcnt(27)
	ds_write_b32 v100, v72 offset:1120
	s_waitcnt vmcnt(26)
	ds_write_b32 v100, v73 offset:1384
	s_waitcnt vmcnt(25)
	ds_write_b32 v100, v74 offset:1648
	s_waitcnt vmcnt(24)
	ds_write_b32 v100, v75 offset:1912
	;; [unrolled: 40-line block ×3, first 2 shown]
	s_waitcnt vmcnt(7)
	ds_write_b32 v100, v92 offset:2176
	s_waitcnt vmcnt(6)
	ds_write_b32 v100, v93 offset:2440
	;; [unrolled: 2-line block ×8, first 2 shown]
	ds_read_b64 v[88:89], v101 offset:64
	ds_read_b64 v[86:87], v101 offset:96
	ds_read_b64 v[82:83], v101 offset:128
	ds_read_b64 v[78:79], v101 offset:160
	ds_read_b64 v[84:85], v101 offset:192
	ds_read_b64 v[80:81], v101 offset:224
	ds_read_b64 v[76:77], v101 offset:256
	ds_read_b64 v[62:63], v101 offset:288
	s_andn2_b64 vcc, exec, s[0:1]
	v_mov_b32_e32 v90, 0
	v_mov_b32_e32 v91, 0
	s_cbranch_vccnz .LBB145_38
; %bb.35:                               ;   in Loop: Header=BB145_34 Depth=1
	ds_read_b32 v22, v99
	s_waitcnt lgkmcnt(0)
	v_cmp_gt_i32_e32 vcc, 0, v22
	s_cbranch_vccnz .LBB145_37
; %bb.36:                               ;   in Loop: Header=BB145_34 Depth=1
	v_mul_lo_u32 v22, v22, s45
	v_add_u32_e32 v90, v102, v22
	v_ashrrev_i32_e32 v91, 31, v90
	v_lshl_add_u64 v[90:91], v[90:91], 2, v[20:21]
	global_load_dwordx2 v[90:91], v[90:91], off
	s_branch .LBB145_38
.LBB145_37:                             ;   in Loop: Header=BB145_34 Depth=1
	v_mov_b32_e32 v90, 0
	v_mov_b32_e32 v91, 0
.LBB145_38:                             ;   in Loop: Header=BB145_34 Depth=1
	s_waitcnt vmcnt(0)
	v_cvt_pk_bf16_f32 v22, v90, v91
	v_mov_b32_e32 v90, 0
	s_andn2_b64 vcc, exec, s[6:7]
	v_mov_b32_e32 v92, 0
	v_mov_b32_e32 v93, 0
	ds_write_b32 v100, v22 offset:64
	s_cbranch_vccnz .LBB145_42
; %bb.39:                               ;   in Loop: Header=BB145_34 Depth=1
	ds_read_b32 v22, v99 offset:4
	s_waitcnt lgkmcnt(0)
	v_cmp_gt_i32_e32 vcc, 0, v22
	s_cbranch_vccnz .LBB145_41
; %bb.40:                               ;   in Loop: Header=BB145_34 Depth=1
	v_mul_lo_u32 v22, v22, s45
	v_add_u32_e32 v22, s40, v22
	v_add_u32_e32 v92, v22, v102
	v_ashrrev_i32_e32 v93, 31, v92
	v_lshl_add_u64 v[92:93], v[92:93], 2, v[20:21]
	global_load_dwordx2 v[92:93], v[92:93], off
	s_branch .LBB145_42
.LBB145_41:                             ;   in Loop: Header=BB145_34 Depth=1
	v_mov_b32_e32 v92, 0
	v_mov_b32_e32 v93, 0
.LBB145_42:                             ;   in Loop: Header=BB145_34 Depth=1
	s_waitcnt vmcnt(0)
	v_cvt_pk_bf16_f32 v22, v92, v93
	s_andn2_b64 vcc, exec, s[8:9]
	v_mov_b32_e32 v91, 0
	ds_write_b32 v100, v22 offset:328
	s_cbranch_vccnz .LBB145_46
; %bb.43:                               ;   in Loop: Header=BB145_34 Depth=1
	ds_read_b32 v22, v99 offset:8
	s_waitcnt lgkmcnt(0)
	v_cmp_gt_i32_e32 vcc, 0, v22
	s_cbranch_vccnz .LBB145_45
; %bb.44:                               ;   in Loop: Header=BB145_34 Depth=1
	v_mul_lo_u32 v22, v22, s45
	v_add_u32_e32 v22, s37, v22
	v_add_u32_e32 v90, v22, v102
	v_ashrrev_i32_e32 v91, 31, v90
	v_lshl_add_u64 v[90:91], v[90:91], 2, v[20:21]
	global_load_dwordx2 v[90:91], v[90:91], off
	s_branch .LBB145_46
.LBB145_45:                             ;   in Loop: Header=BB145_34 Depth=1
	v_mov_b32_e32 v90, 0
	v_mov_b32_e32 v91, 0
.LBB145_46:                             ;   in Loop: Header=BB145_34 Depth=1
	s_waitcnt vmcnt(0)
	v_cvt_pk_bf16_f32 v22, v90, v91
	v_mov_b32_e32 v90, 0
	s_andn2_b64 vcc, exec, s[10:11]
	v_mov_b32_e32 v92, 0
	v_mov_b32_e32 v93, 0
	ds_write_b32 v100, v22 offset:592
	s_cbranch_vccnz .LBB145_50
; %bb.47:                               ;   in Loop: Header=BB145_34 Depth=1
	ds_read_b32 v22, v99 offset:12
	s_waitcnt lgkmcnt(0)
	v_cmp_gt_i32_e32 vcc, 0, v22
	s_cbranch_vccnz .LBB145_49
; %bb.48:                               ;   in Loop: Header=BB145_34 Depth=1
	v_mul_lo_u32 v22, v22, s45
	v_readlane_b32 vcc_lo, v109, 15
	s_nop 1
	v_add_u32_e32 v22, vcc_lo, v22
	v_add_u32_e32 v92, v22, v102
	v_ashrrev_i32_e32 v93, 31, v92
	v_lshl_add_u64 v[92:93], v[92:93], 2, v[20:21]
	global_load_dwordx2 v[92:93], v[92:93], off
	s_branch .LBB145_50
.LBB145_49:                             ;   in Loop: Header=BB145_34 Depth=1
	v_mov_b32_e32 v92, 0
	v_mov_b32_e32 v93, 0
.LBB145_50:                             ;   in Loop: Header=BB145_34 Depth=1
	s_waitcnt vmcnt(0)
	v_cvt_pk_bf16_f32 v22, v92, v93
	s_andn2_b64 vcc, exec, s[12:13]
	v_mov_b32_e32 v91, 0
	ds_write_b32 v100, v22 offset:856
	s_cbranch_vccnz .LBB145_54
; %bb.51:                               ;   in Loop: Header=BB145_34 Depth=1
	ds_read_b32 v22, v99 offset:16
	s_waitcnt lgkmcnt(0)
	v_cmp_gt_i32_e32 vcc, 0, v22
	s_cbranch_vccnz .LBB145_53
; %bb.52:                               ;   in Loop: Header=BB145_34 Depth=1
	v_mul_lo_u32 v22, v22, s45
	v_readlane_b32 vcc_lo, v109, 14
	s_nop 1
	v_add_u32_e32 v22, vcc_lo, v22
	v_add_u32_e32 v90, v22, v102
	v_ashrrev_i32_e32 v91, 31, v90
	v_lshl_add_u64 v[90:91], v[90:91], 2, v[20:21]
	global_load_dwordx2 v[90:91], v[90:91], off
	s_branch .LBB145_54
.LBB145_53:                             ;   in Loop: Header=BB145_34 Depth=1
	v_mov_b32_e32 v90, 0
	v_mov_b32_e32 v91, 0
.LBB145_54:                             ;   in Loop: Header=BB145_34 Depth=1
	s_waitcnt vmcnt(0)
	v_cvt_pk_bf16_f32 v22, v90, v91
	v_mov_b32_e32 v90, 0
	s_andn2_b64 vcc, exec, s[14:15]
	v_mov_b32_e32 v92, 0
	v_mov_b32_e32 v93, 0
	ds_write_b32 v100, v22 offset:1120
	s_cbranch_vccnz .LBB145_58
; %bb.55:                               ;   in Loop: Header=BB145_34 Depth=1
	ds_read_b32 v22, v99 offset:20
	s_waitcnt lgkmcnt(0)
	v_cmp_gt_i32_e32 vcc, 0, v22
	s_cbranch_vccnz .LBB145_57
; %bb.56:                               ;   in Loop: Header=BB145_34 Depth=1
	v_mul_lo_u32 v22, v22, s45
	v_readlane_b32 vcc_lo, v109, 17
	s_nop 1
	v_add_u32_e32 v22, vcc_lo, v22
	v_add_u32_e32 v92, v22, v102
	v_ashrrev_i32_e32 v93, 31, v92
	v_lshl_add_u64 v[92:93], v[92:93], 2, v[20:21]
	global_load_dwordx2 v[92:93], v[92:93], off
	s_branch .LBB145_58
.LBB145_57:                             ;   in Loop: Header=BB145_34 Depth=1
	v_mov_b32_e32 v92, 0
	v_mov_b32_e32 v93, 0
.LBB145_58:                             ;   in Loop: Header=BB145_34 Depth=1
	s_waitcnt vmcnt(0)
	v_cvt_pk_bf16_f32 v22, v92, v93
	s_andn2_b64 vcc, exec, s[16:17]
	v_mov_b32_e32 v91, 0
	ds_write_b32 v100, v22 offset:1384
	s_cbranch_vccnz .LBB145_62
; %bb.59:                               ;   in Loop: Header=BB145_34 Depth=1
	ds_read_b32 v22, v99 offset:24
	s_waitcnt lgkmcnt(0)
	v_cmp_gt_i32_e32 vcc, 0, v22
	s_cbranch_vccnz .LBB145_61
; %bb.60:                               ;   in Loop: Header=BB145_34 Depth=1
	v_mul_lo_u32 v22, v22, s45
	v_readlane_b32 vcc_lo, v109, 18
	s_nop 1
	v_add_u32_e32 v22, vcc_lo, v22
	v_add_u32_e32 v90, v22, v102
	v_ashrrev_i32_e32 v91, 31, v90
	v_lshl_add_u64 v[90:91], v[90:91], 2, v[20:21]
	global_load_dwordx2 v[90:91], v[90:91], off
	s_branch .LBB145_62
.LBB145_61:                             ;   in Loop: Header=BB145_34 Depth=1
	v_mov_b32_e32 v90, 0
	v_mov_b32_e32 v91, 0
.LBB145_62:                             ;   in Loop: Header=BB145_34 Depth=1
	s_waitcnt vmcnt(0)
	v_cvt_pk_bf16_f32 v22, v90, v91
	v_mov_b32_e32 v90, 0
	s_andn2_b64 vcc, exec, s[18:19]
	v_mov_b32_e32 v92, 0
	v_mov_b32_e32 v93, 0
	ds_write_b32 v100, v22 offset:1648
	s_cbranch_vccnz .LBB145_66
; %bb.63:                               ;   in Loop: Header=BB145_34 Depth=1
	ds_read_b32 v22, v99 offset:28
	s_waitcnt lgkmcnt(0)
	v_cmp_gt_i32_e32 vcc, 0, v22
	s_cbranch_vccnz .LBB145_65
; %bb.64:                               ;   in Loop: Header=BB145_34 Depth=1
	v_mul_lo_u32 v22, v22, s45
	v_add_u32_e32 v22, s4, v22
	v_add_u32_e32 v92, v22, v102
	v_ashrrev_i32_e32 v93, 31, v92
	v_lshl_add_u64 v[92:93], v[92:93], 2, v[20:21]
	global_load_dwordx2 v[92:93], v[92:93], off
	s_branch .LBB145_66
.LBB145_65:                             ;   in Loop: Header=BB145_34 Depth=1
	v_mov_b32_e32 v92, 0
	v_mov_b32_e32 v93, 0
.LBB145_66:                             ;   in Loop: Header=BB145_34 Depth=1
	s_waitcnt vmcnt(0)
	v_cvt_pk_bf16_f32 v22, v92, v93
	s_andn2_b64 vcc, exec, s[20:21]
	v_mov_b32_e32 v91, 0
	ds_write_b32 v100, v22 offset:1912
	s_cbranch_vccnz .LBB145_70
; %bb.67:                               ;   in Loop: Header=BB145_34 Depth=1
	ds_read_b32 v22, v99 offset:32
	s_waitcnt lgkmcnt(0)
	v_cmp_gt_i32_e32 vcc, 0, v22
	s_cbranch_vccnz .LBB145_69
; %bb.68:                               ;   in Loop: Header=BB145_34 Depth=1
	v_mul_lo_u32 v22, v22, s45
	v_readlane_b32 vcc_lo, v109, 16
	s_nop 1
	v_add_u32_e32 v22, vcc_lo, v22
	v_add_u32_e32 v90, v22, v102
	v_ashrrev_i32_e32 v91, 31, v90
	v_lshl_add_u64 v[90:91], v[90:91], 2, v[20:21]
	global_load_dwordx2 v[90:91], v[90:91], off
	s_branch .LBB145_70
.LBB145_69:                             ;   in Loop: Header=BB145_34 Depth=1
	v_mov_b32_e32 v90, 0
	v_mov_b32_e32 v91, 0
.LBB145_70:                             ;   in Loop: Header=BB145_34 Depth=1
	s_waitcnt vmcnt(0)
	v_cvt_pk_bf16_f32 v22, v90, v91
	v_mov_b32_e32 v90, 0
	s_andn2_b64 vcc, exec, s[22:23]
	v_mov_b32_e32 v92, 0
	v_mov_b32_e32 v93, 0
	ds_write_b32 v100, v22 offset:2176
	s_cbranch_vccnz .LBB145_74
; %bb.71:                               ;   in Loop: Header=BB145_34 Depth=1
	ds_read_b32 v22, v99 offset:36
	s_waitcnt lgkmcnt(0)
	v_cmp_gt_i32_e32 vcc, 0, v22
	s_cbranch_vccnz .LBB145_73
; %bb.72:                               ;   in Loop: Header=BB145_34 Depth=1
	v_mul_lo_u32 v22, v22, s45
	v_readlane_b32 vcc_lo, v109, 22
	s_nop 1
	v_add_u32_e32 v22, vcc_lo, v22
	v_add_u32_e32 v92, v22, v102
	v_ashrrev_i32_e32 v93, 31, v92
	v_lshl_add_u64 v[92:93], v[92:93], 2, v[20:21]
	global_load_dwordx2 v[92:93], v[92:93], off
	s_branch .LBB145_74
.LBB145_73:                             ;   in Loop: Header=BB145_34 Depth=1
	v_mov_b32_e32 v92, 0
	v_mov_b32_e32 v93, 0
.LBB145_74:                             ;   in Loop: Header=BB145_34 Depth=1
	s_waitcnt vmcnt(0)
	v_cvt_pk_bf16_f32 v22, v92, v93
	s_andn2_b64 vcc, exec, s[24:25]
	v_mov_b32_e32 v91, 0
	ds_write_b32 v100, v22 offset:2440
	s_cbranch_vccnz .LBB145_78
; %bb.75:                               ;   in Loop: Header=BB145_34 Depth=1
	ds_read_b32 v22, v99 offset:40
	s_waitcnt lgkmcnt(0)
	v_cmp_gt_i32_e32 vcc, 0, v22
	s_cbranch_vccnz .LBB145_77
; %bb.76:                               ;   in Loop: Header=BB145_34 Depth=1
	v_mul_lo_u32 v22, v22, s45
	v_readlane_b32 vcc_lo, v109, 21
	s_nop 1
	v_add_u32_e32 v22, vcc_lo, v22
	v_add_u32_e32 v90, v22, v102
	v_ashrrev_i32_e32 v91, 31, v90
	v_lshl_add_u64 v[90:91], v[90:91], 2, v[20:21]
	global_load_dwordx2 v[90:91], v[90:91], off
	s_branch .LBB145_78
.LBB145_77:                             ;   in Loop: Header=BB145_34 Depth=1
	v_mov_b32_e32 v90, 0
	v_mov_b32_e32 v91, 0
.LBB145_78:                             ;   in Loop: Header=BB145_34 Depth=1
	s_waitcnt vmcnt(0)
	v_cvt_pk_bf16_f32 v22, v90, v91
	v_mov_b32_e32 v90, 0
	s_andn2_b64 vcc, exec, s[26:27]
	v_mov_b32_e32 v92, 0
	v_mov_b32_e32 v93, 0
	ds_write_b32 v100, v22 offset:2704
	s_cbranch_vccnz .LBB145_82
; %bb.79:                               ;   in Loop: Header=BB145_34 Depth=1
	ds_read_b32 v22, v99 offset:44
	s_waitcnt lgkmcnt(0)
	v_cmp_gt_i32_e32 vcc, 0, v22
	s_cbranch_vccnz .LBB145_81
; %bb.80:                               ;   in Loop: Header=BB145_34 Depth=1
	v_mul_lo_u32 v22, v22, s45
	v_readlane_b32 vcc_lo, v109, 20
	s_nop 1
	v_add_u32_e32 v22, vcc_lo, v22
	v_add_u32_e32 v92, v22, v102
	v_ashrrev_i32_e32 v93, 31, v92
	v_lshl_add_u64 v[92:93], v[92:93], 2, v[20:21]
	global_load_dwordx2 v[92:93], v[92:93], off
	s_branch .LBB145_82
.LBB145_81:                             ;   in Loop: Header=BB145_34 Depth=1
	v_mov_b32_e32 v92, 0
	v_mov_b32_e32 v93, 0
.LBB145_82:                             ;   in Loop: Header=BB145_34 Depth=1
	s_waitcnt vmcnt(0)
	v_cvt_pk_bf16_f32 v22, v92, v93
	s_andn2_b64 vcc, exec, s[28:29]
	v_mov_b32_e32 v91, 0
	ds_write_b32 v100, v22 offset:2968
	s_cbranch_vccnz .LBB145_33
; %bb.83:                               ;   in Loop: Header=BB145_34 Depth=1
	ds_read_b32 v22, v99 offset:48
	s_waitcnt lgkmcnt(0)
	v_cmp_gt_i32_e32 vcc, 0, v22
	s_cbranch_vccz .LBB145_32
; %bb.84:                               ;   in Loop: Header=BB145_34 Depth=1
	v_mov_b32_e32 v90, 0
	v_mov_b32_e32 v91, 0
	s_branch .LBB145_33
.LBB145_85:
	s_or_b64 exec, exec, s[38:39]
	v_readlane_b32 s24, v109, 6
	v_readlane_b32 s28, v109, 10
	;; [unrolled: 1-line block ×8, first 2 shown]
.LBB145_86:
	s_waitcnt lgkmcnt(0)
	v_readlane_b32 s0, v109, 4
	v_readlane_b32 s1, v109, 5
	s_or_b64 exec, exec, s[0:1]
	v_mov_b32_e32 v19, 0x100
	v_lshl_add_u32 v18, v96, 2, v19
	v_mul_u32_u24_e32 v20, 0x808, v97
	v_and_b32_e32 v21, 0x3f0, v16
	v_add3_u32 v20, v18, v20, v21
	s_barrier
	s_movk_i32 s0, 0x808
	ds_write2_b32 v20, v4, v5 offset0:16 offset1:17
	ds_write2_b32 v20, v6, v7 offset0:18 offset1:19
	;; [unrolled: 1-line block ×8, first 2 shown]
	v_lshl_add_u32 v11, v16, 2, v19
	v_mad_u32_u24 v0, v17, s0, v11
	s_waitcnt lgkmcnt(0)
	s_barrier
	ds_read2_b32 v[8:9], v0 offset0:16 offset1:80
	ds_read2_b32 v[4:5], v0 offset0:144 offset1:208
	v_add_u32_e32 v0, 64, v0
	ds_read2st64_b32 v[6:7], v0 offset0:4 offset1:5
	ds_read2st64_b32 v[2:3], v0 offset0:6 offset1:7
	v_cmp_gt_u32_e32 vcc, 13, v17
	v_mov_b32_e32 v12, -1
	s_and_saveexec_b64 s[0:1], vcc
; %bb.87:
	s_movk_i32 s2, 0xff04
	v_mad_i32_i24 v0, v17, s2, v18
	ds_read_b32 v12, v0
; %bb.88:
	s_or_b64 exec, exec, s[0:1]
	s_mul_hi_i32 s1, s30, s22
	s_mul_i32 s0, s30, s22
	s_lshl_b64 s[0:1], s[0:1], 2
	v_readlane_b32 s2, v109, 2
	v_mul_hi_i32 v1, v94, s41
	v_mul_lo_u32 v0, v94, s41
	v_readlane_b32 s3, v109, 3
	s_add_u32 s0, s2, s0
	s_addc_u32 s1, s3, s1
	v_lshlrev_b64 v[0:1], 2, v[0:1]
	s_waitcnt lgkmcnt(0)
	v_cmp_lt_i32_e32 vcc, -1, v12
	v_add_u32_e32 v10, s6, v16
	v_lshl_add_u64 v[0:1], s[0:1], 0, v[0:1]
	s_and_b64 s[2:3], vcc, s[24:25]
	s_and_saveexec_b64 s[0:1], s[2:3]
	s_cbranch_execz .LBB145_90
; %bb.89:
	v_add_f32_e32 v8, 0, v8
	v_add_f32_e32 v8, v8, v9
	;; [unrolled: 1-line block ×8, first 2 shown]
	v_mul_lo_u32 v2, v12, s46
	v_mul_lo_u32 v3, v17, s41
	v_add3_u32 v2, v10, v3, v2
	v_mov_b32_e32 v3, 0
	v_lshl_add_u64 v[2:3], v[2:3], 2, v[0:1]
	global_store_dword v[2:3], v4, off
.LBB145_90:
	s_or_b64 exec, exec, s[0:1]
	v_cmp_gt_u32_e32 vcc, 5, v17
	s_and_saveexec_b64 s[0:1], vcc
	s_cbranch_execz .LBB145_93
; %bb.91:
	v_mov_b32_e32 v2, 0x100
	v_lshl_add_u32 v2, v17, 2, v2
	ds_read_b32 v2, v2 offset:32
	v_readlane_b32 s0, v109, 0
	v_readlane_b32 s1, v109, 1
	s_waitcnt lgkmcnt(0)
	v_cmp_lt_i32_e32 vcc, -1, v2
	s_and_b64 s[0:1], vcc, s[0:1]
	s_and_b64 exec, exec, s[0:1]
	s_cbranch_execz .LBB145_93
; %bb.92:
	v_mul_u32_u24_e32 v3, 0x808, v17
	v_add_u32_e32 v3, v3, v11
	v_add_u32_e32 v8, 0x80, v3
	ds_read2st64_b32 v[4:5], v8 offset0:64 offset1:65
	v_mul_lo_u32 v11, v2, s46
	ds_read2st64_b32 v[2:3], v8 offset0:66 offset1:67
	ds_read2st64_b32 v[6:7], v8 offset0:68 offset1:69
	;; [unrolled: 1-line block ×3, first 2 shown]
	s_waitcnt lgkmcnt(3)
	v_add_f32_e32 v4, 0, v4
	v_add_f32_e32 v4, v4, v5
	s_waitcnt lgkmcnt(2)
	v_add_f32_e32 v2, v4, v2
	v_add_f32_e32 v2, v2, v3
	s_waitcnt lgkmcnt(1)
	v_add_f32_e32 v2, v2, v6
	v_add_f32_e32 v2, v2, v7
	s_waitcnt lgkmcnt(0)
	v_add_f32_e32 v2, v2, v8
	v_add_f32_e32 v4, v2, v9
	v_mul_lo_u32 v2, v95, s41
	v_add3_u32 v2, v10, v2, v11
	v_mov_b32_e32 v3, 0
	v_lshl_add_u64 v[0:1], v[2:3], 2, v[0:1]
	global_store_dword v[0:1], v4, off
.LBB145_93:
	s_endpgm
	.section	.rodata,"a",@progbits
	.p2align	6, 0x0
	.amdhsa_kernel _ZL9mul_mat_fI15__hip_bfloat162Li64ELi13ELi8ELb1EEvPKT_PKfPKiPfiiiiiiiiiiiiiiii
		.amdhsa_group_segment_fixed_size 256
		.amdhsa_private_segment_fixed_size 0
		.amdhsa_kernarg_size 352
		.amdhsa_user_sgpr_count 2
		.amdhsa_user_sgpr_dispatch_ptr 0
		.amdhsa_user_sgpr_queue_ptr 0
		.amdhsa_user_sgpr_kernarg_segment_ptr 1
		.amdhsa_user_sgpr_dispatch_id 0
		.amdhsa_user_sgpr_kernarg_preload_length 0
		.amdhsa_user_sgpr_kernarg_preload_offset 0
		.amdhsa_user_sgpr_private_segment_size 0
		.amdhsa_uses_dynamic_stack 0
		.amdhsa_enable_private_segment 0
		.amdhsa_system_sgpr_workgroup_id_x 1
		.amdhsa_system_sgpr_workgroup_id_y 1
		.amdhsa_system_sgpr_workgroup_id_z 1
		.amdhsa_system_sgpr_workgroup_info 0
		.amdhsa_system_vgpr_workitem_id 2
		.amdhsa_next_free_vgpr 110
		.amdhsa_next_free_sgpr 100
		.amdhsa_accum_offset 112
		.amdhsa_reserve_vcc 1
		.amdhsa_float_round_mode_32 0
		.amdhsa_float_round_mode_16_64 0
		.amdhsa_float_denorm_mode_32 3
		.amdhsa_float_denorm_mode_16_64 3
		.amdhsa_dx10_clamp 1
		.amdhsa_ieee_mode 1
		.amdhsa_fp16_overflow 0
		.amdhsa_tg_split 0
		.amdhsa_exception_fp_ieee_invalid_op 0
		.amdhsa_exception_fp_denorm_src 0
		.amdhsa_exception_fp_ieee_div_zero 0
		.amdhsa_exception_fp_ieee_overflow 0
		.amdhsa_exception_fp_ieee_underflow 0
		.amdhsa_exception_fp_ieee_inexact 0
		.amdhsa_exception_int_div_zero 0
	.end_amdhsa_kernel
	.section	.text._ZL9mul_mat_fI15__hip_bfloat162Li64ELi13ELi8ELb1EEvPKT_PKfPKiPfiiiiiiiiiiiiiiii,"axG",@progbits,_ZL9mul_mat_fI15__hip_bfloat162Li64ELi13ELi8ELb1EEvPKT_PKfPKiPfiiiiiiiiiiiiiiii,comdat
.Lfunc_end145:
	.size	_ZL9mul_mat_fI15__hip_bfloat162Li64ELi13ELi8ELb1EEvPKT_PKfPKiPfiiiiiiiiiiiiiiii, .Lfunc_end145-_ZL9mul_mat_fI15__hip_bfloat162Li64ELi13ELi8ELb1EEvPKT_PKfPKiPfiiiiiiiiiiiiiiii
                                        ; -- End function
	.set _ZL9mul_mat_fI15__hip_bfloat162Li64ELi13ELi8ELb1EEvPKT_PKfPKiPfiiiiiiiiiiiiiiii.num_vgpr, 110
	.set _ZL9mul_mat_fI15__hip_bfloat162Li64ELi13ELi8ELb1EEvPKT_PKfPKiPfiiiiiiiiiiiiiiii.num_agpr, 0
	.set _ZL9mul_mat_fI15__hip_bfloat162Li64ELi13ELi8ELb1EEvPKT_PKfPKiPfiiiiiiiiiiiiiiii.numbered_sgpr, 100
	.set _ZL9mul_mat_fI15__hip_bfloat162Li64ELi13ELi8ELb1EEvPKT_PKfPKiPfiiiiiiiiiiiiiiii.num_named_barrier, 0
	.set _ZL9mul_mat_fI15__hip_bfloat162Li64ELi13ELi8ELb1EEvPKT_PKfPKiPfiiiiiiiiiiiiiiii.private_seg_size, 0
	.set _ZL9mul_mat_fI15__hip_bfloat162Li64ELi13ELi8ELb1EEvPKT_PKfPKiPfiiiiiiiiiiiiiiii.uses_vcc, 1
	.set _ZL9mul_mat_fI15__hip_bfloat162Li64ELi13ELi8ELb1EEvPKT_PKfPKiPfiiiiiiiiiiiiiiii.uses_flat_scratch, 0
	.set _ZL9mul_mat_fI15__hip_bfloat162Li64ELi13ELi8ELb1EEvPKT_PKfPKiPfiiiiiiiiiiiiiiii.has_dyn_sized_stack, 0
	.set _ZL9mul_mat_fI15__hip_bfloat162Li64ELi13ELi8ELb1EEvPKT_PKfPKiPfiiiiiiiiiiiiiiii.has_recursion, 0
	.set _ZL9mul_mat_fI15__hip_bfloat162Li64ELi13ELi8ELb1EEvPKT_PKfPKiPfiiiiiiiiiiiiiiii.has_indirect_call, 0
	.section	.AMDGPU.csdata,"",@progbits
; Kernel info:
; codeLenInByte = 7536
; TotalNumSgprs: 106
; NumVgprs: 110
; NumAgprs: 0
; TotalNumVgprs: 110
; ScratchSize: 0
; MemoryBound: 0
; FloatMode: 240
; IeeeMode: 1
; LDSByteSize: 256 bytes/workgroup (compile time only)
; SGPRBlocks: 13
; VGPRBlocks: 13
; NumSGPRsForWavesPerEU: 106
; NumVGPRsForWavesPerEU: 110
; AccumOffset: 112
; Occupancy: 4
; WaveLimiterHint : 0
; COMPUTE_PGM_RSRC2:SCRATCH_EN: 0
; COMPUTE_PGM_RSRC2:USER_SGPR: 2
; COMPUTE_PGM_RSRC2:TRAP_HANDLER: 0
; COMPUTE_PGM_RSRC2:TGID_X_EN: 1
; COMPUTE_PGM_RSRC2:TGID_Y_EN: 1
; COMPUTE_PGM_RSRC2:TGID_Z_EN: 1
; COMPUTE_PGM_RSRC2:TIDIG_COMP_CNT: 2
; COMPUTE_PGM_RSRC3_GFX90A:ACCUM_OFFSET: 27
; COMPUTE_PGM_RSRC3_GFX90A:TG_SPLIT: 0
	.section	.text._ZL9mul_mat_fI15__hip_bfloat162Li64ELi13ELi8ELb0EEvPKT_PKfPKiPfiiiiiiiiiiiiiiii,"axG",@progbits,_ZL9mul_mat_fI15__hip_bfloat162Li64ELi13ELi8ELb0EEvPKT_PKfPKiPfiiiiiiiiiiiiiiii,comdat
	.globl	_ZL9mul_mat_fI15__hip_bfloat162Li64ELi13ELi8ELb0EEvPKT_PKfPKiPfiiiiiiiiiiiiiiii ; -- Begin function _ZL9mul_mat_fI15__hip_bfloat162Li64ELi13ELi8ELb0EEvPKT_PKfPKiPfiiiiiiiiiiiiiiii
	.p2align	8
	.type	_ZL9mul_mat_fI15__hip_bfloat162Li64ELi13ELi8ELb0EEvPKT_PKfPKiPfiiiiiiiiiiiiiiii,@function
_ZL9mul_mat_fI15__hip_bfloat162Li64ELi13ELi8ELb0EEvPKT_PKfPKiPfiiiiiiiiiiiiiiii: ; @_ZL9mul_mat_fI15__hip_bfloat162Li64ELi13ELi8ELb0EEvPKT_PKfPKiPfiiiiiiiiiiiiiiii
; %bb.0:
	s_load_dword s5, s[0:1], 0x20
	s_load_dwordx4 s[16:19], s[0:1], 0x2c
	v_bfe_u32 v34, v0, 10, 10
	v_lshlrev_b32_e32 v36, 6, v34
	v_and_b32_e32 v35, 0x3ff, v0
	v_add_u32_e32 v38, v36, v35
	s_waitcnt lgkmcnt(0)
	s_ashr_i32 s19, s4, 31
	v_cmp_le_i32_e32 vcc, s5, v38
	v_and_b32_e32 v37, 15, v35
	s_and_saveexec_b64 s[6:7], vcc
	s_xor_b64 s[6:7], exec, s[6:7]
; %bb.1:
	v_and_b32_e32 v37, 15, v35
                                        ; implicit-def: $vgpr38
; %bb.2:
	s_or_saveexec_b64 s[24:25], s[6:7]
	s_load_dwordx8 s[8:15], s[0:1], 0x40
	s_load_dwordx2 s[6:7], s[0:1], 0x18
	v_mov_b32_e32 v15, 0
	s_lshl_b32 s2, s2, 6
	v_mov_b32_e32 v14, v15
	v_mov_b32_e32 v13, v15
	;; [unrolled: 1-line block ×15, first 2 shown]
	s_xor_b64 exec, exec, s[24:25]
	s_cbranch_execz .LBB146_6
; %bb.3:
	s_waitcnt lgkmcnt(0)
	s_abs_i32 s26, s8
	v_cvt_f32_u32_e32 v0, s26
	s_abs_i32 s27, s12
	v_cvt_f32_u32_e32 v1, s27
	s_sub_i32 s20, 0, s26
	v_rcp_iflag_f32_e32 v0, v0
	s_abs_i32 s28, s3
	v_rcp_iflag_f32_e32 v1, v1
	s_sub_i32 s21, 0, s27
	v_mul_f32_e32 v0, 0x4f7ffffe, v0
	v_cvt_u32_f32_e32 v0, v0
	v_mul_f32_e32 v1, 0x4f7ffffe, v1
	v_cvt_u32_f32_e32 v1, v1
	s_abs_i32 s29, s4
	v_mul_lo_u32 v2, s20, v0
	v_mul_hi_u32 v2, v0, v2
	v_add_u32_e32 v0, v0, v2
	v_mul_hi_u32 v0, s28, v0
	v_mul_lo_u32 v3, s21, v1
	v_mul_lo_u32 v2, v0, s26
	v_mul_hi_u32 v3, v1, v3
	v_sub_u32_e32 v2, s28, v2
	v_add_u32_e32 v1, v1, v3
	v_add_u32_e32 v3, 1, v0
	v_subrev_u32_e32 v4, s26, v2
	v_cmp_le_u32_e32 vcc, s26, v2
	s_load_dwordx4 s[20:23], s[0:1], 0x0
	s_ashr_i32 s0, s3, 31
	v_cndmask_b32_e32 v0, v0, v3, vcc
	v_cndmask_b32_e32 v2, v2, v4, vcc
	s_ashr_i32 s1, s8, 31
	v_add_u32_e32 v3, 1, v0
	v_cmp_le_u32_e32 vcc, s26, v2
	s_xor_b32 s0, s0, s1
	v_mul_hi_u32 v1, s29, v1
	v_cndmask_b32_e32 v0, v0, v3, vcc
	v_xor_b32_e32 v0, s0, v0
	v_subrev_u32_e32 v2, s0, v0
	v_mul_lo_u32 v0, v1, s27
	v_sub_u32_e32 v0, s29, v0
	v_add_u32_e32 v3, 1, v1
	v_subrev_u32_e32 v4, s27, v0
	v_cmp_le_u32_e32 vcc, s27, v0
	s_ashr_i32 s8, s12, 31
	s_xor_b32 s0, s19, s8
	v_cndmask_b32_e32 v1, v1, v3, vcc
	v_cndmask_b32_e32 v0, v0, v4, vcc
	v_add_u32_e32 v3, 1, v1
	v_cmp_le_u32_e32 vcc, s27, v0
	v_mul_lo_u32 v2, v2, s9
	s_mul_hi_i32 s9, s14, s4
	v_cndmask_b32_e32 v0, v1, v3, vcc
	v_xor_b32_e32 v0, s0, v0
	s_mul_i32 s8, s14, s4
	v_subrev_u32_e32 v0, s0, v0
	s_lshl_b64 s[26:27], s[8:9], 2
	v_mul_hi_i32 v1, v0, s13
	v_mul_lo_u32 v0, v0, s13
	s_mul_i32 s0, s16, s2
	s_mul_i32 s28, s10, s3
	s_waitcnt lgkmcnt(0)
	s_add_u32 s8, s22, s26
	v_ashrrev_i32_e32 v3, 31, v2
	v_lshlrev_b64 v[0:1], 2, v[0:1]
	s_addc_u32 s9, s23, s27
	s_ashr_i32 s1, s0, 31
	s_ashr_i32 s29, s28, 31
	v_lshl_add_u64 v[4:5], s[20:21], 0, v[0:1]
	v_lshlrev_b64 v[2:3], 2, v[2:3]
	s_lshl_b64 s[12:13], s[0:1], 2
	s_lshl_b64 s[28:29], s[28:29], 2
	v_lshl_add_u64 v[4:5], v[4:5], 0, v[2:3]
	s_add_u32 s0, s8, s28
	s_movk_i32 s8, 0x1080
	v_lshrrev_b32_e32 v7, 1, v35
	v_lshl_add_u64 v[2:3], v[2:3], 0, s[12:13]
	v_lshl_add_u64 v[16:17], v[4:5], 0, s[12:13]
	v_mov_b32_e32 v19, 0
	v_mad_u32_u24 v5, v34, s8, 0
	v_lshlrev_b32_e32 v4, 2, v35
	v_mul_u32_u24_e32 v6, 0x108, v37
	v_and_b32_e32 v7, 0x1f8, v7
	v_lshlrev_b32_e32 v18, 8, v34
	v_lshl_add_u64 v[0:1], v[2:3], 0, v[0:1]
	s_addc_u32 s1, s9, s29
	v_add_u32_e32 v39, v5, v4
	v_add3_u32 v40, v5, v6, v7
	s_ashr_i32 s9, s16, 31
	s_mov_b32 s8, s16
	s_ashr_i32 s75, s17, 31
	s_mov_b32 s74, s17
	v_lshl_add_u64 v[0:1], v[0:1], 0, v[18:19]
	v_mov_b32_e32 v5, v19
	s_add_i32 s10, s16, s16
	s_add_i32 s14, s17, s17
	s_lshl_b32 s30, s17, 2
	s_lshl_b32 s35, s17, 3
	;; [unrolled: 1-line block ×6, first 2 shown]
	s_lshl_b64 s[8:9], s[8:9], 2
	s_lshl_b64 s[12:13], s[74:75], 3
	v_lshl_add_u64 v[0:1], v[0:1], 0, v[4:5]
	v_lshlrev_b32_e32 v18, 9, v34
	s_add_u32 s22, s22, s28
	v_lshl_add_u64 v[20:21], s[20:21], 0, v[0:1]
	v_lshl_add_u64 v[0:1], s[26:27], 0, v[18:19]
	v_lshlrev_b32_e32 v18, 3, v35
	s_addc_u32 s23, s23, s29
	v_lshl_add_u64 v[0:1], v[0:1], 0, v[18:19]
	s_mul_i32 s19, s17, 3
	s_mul_i32 s31, s17, 5
	;; [unrolled: 1-line block ×45, first 2 shown]
	v_lshl_add_u64 v[22:23], s[22:23], 0, v[0:1]
	s_mul_i32 s77, s16, 44
	s_mul_i32 s78, s16, 45
	v_mov_b32_e32 v4, 0
	v_mov_b32_e32 v6, v19
	;; [unrolled: 1-line block ×15, first 2 shown]
	s_mul_i32 s79, s16, 46
	s_mul_i32 s80, s16, 47
	;; [unrolled: 1-line block ×18, first 2 shown]
	s_mov_b64 s[16:17], 0
	s_mov_b64 s[20:21], 0x800
	;; [unrolled: 1-line block ×3, first 2 shown]
.LBB146_4:                              ; =>This Inner Loop Header: Depth=1
	v_add_u32_e32 v30, s10, v38
	v_add_u32_e32 v26, s58, v38
	v_lshl_add_u64 v[24:25], v[20:21], 0, s[8:9]
	v_add_u32_e32 v32, s40, v38
	v_ashrrev_i32_e32 v31, 31, v30
	v_ashrrev_i32_e32 v27, 31, v26
	v_add_u32_e32 v28, s59, v38
	global_load_dword v45, v[24:25], off
	v_lshl_add_u64 v[30:31], v[30:31], 2, v[16:17]
	v_add_u32_e32 v24, s60, v38
	v_ashrrev_i32_e32 v33, 31, v32
	v_lshl_add_u64 v[26:27], v[26:27], 2, v[16:17]
	v_add_u32_e32 v42, s41, v38
	global_load_dword v46, v[30:31], off
	v_ashrrev_i32_e32 v29, 31, v28
	global_load_dword v26, v[26:27], off
	v_lshl_add_u64 v[30:31], v[32:33], 2, v[16:17]
	v_add_u32_e32 v32, s61, v38
	v_ashrrev_i32_e32 v25, 31, v24
	v_add_u32_e32 v48, s42, v38
	v_ashrrev_i32_e32 v43, 31, v42
	v_lshl_add_u64 v[28:29], v[28:29], 2, v[16:17]
	v_lshl_add_u64 v[24:25], v[24:25], 2, v[16:17]
	v_ashrrev_i32_e32 v33, 31, v32
	global_load_dword v47, v[30:31], off
	v_ashrrev_i32_e32 v49, 31, v48
	global_load_dword v24, v[24:25], off
	v_add_u32_e32 v54, s43, v38
	global_load_dword v27, v[28:29], off
	v_lshl_add_u64 v[30:31], v[42:43], 2, v[16:17]
	v_lshl_add_u64 v[28:29], v[32:33], 2, v[16:17]
	global_load_dword v50, v[30:31], off
	global_load_dword v25, v[28:29], off
	v_lshl_add_u64 v[30:31], v[48:49], 2, v[16:17]
	global_load_dword v52, v[30:31], off
	v_add_u32_e32 v30, s62, v38
	v_add_u32_e32 v56, s44, v38
	v_ashrrev_i32_e32 v55, 31, v54
	v_add_u32_e32 v48, s63, v38
	v_ashrrev_i32_e32 v31, 31, v30
	v_add_u32_e32 v58, s45, v38
	v_lshl_add_u64 v[42:43], v[54:55], 2, v[16:17]
	v_ashrrev_i32_e32 v57, 31, v56
	v_add_u32_e32 v84, s64, v38
	v_lshl_add_u64 v[28:29], v[30:31], 2, v[16:17]
	v_ashrrev_i32_e32 v49, 31, v48
	v_add_u32_e32 v60, s46, v38
	global_load_dword v53, v[42:43], off
	v_ashrrev_i32_e32 v59, 31, v58
	v_add_u32_e32 v86, s65, v38
	global_load_dword v28, v[28:29], off
	v_lshl_add_u64 v[42:43], v[56:57], 2, v[16:17]
	v_lshl_add_u64 v[30:31], v[48:49], 2, v[16:17]
	v_ashrrev_i32_e32 v85, 31, v84
	v_add_u32_e32 v62, s47, v38
	global_load_dword v54, v[42:43], off
	global_load_dword v29, v[30:31], off
	v_lshl_add_u64 v[42:43], v[58:59], 2, v[16:17]
	v_ashrrev_i32_e32 v61, 31, v60
	v_add_u32_e32 v88, s66, v38
	v_lshl_add_u64 v[30:31], v[84:85], 2, v[16:17]
	v_ashrrev_i32_e32 v87, 31, v86
	v_add_u32_e32 v64, s48, v38
	global_load_dword v57, v[42:43], off
	v_ashrrev_i32_e32 v63, 31, v62
	global_load_dword v30, v[30:31], off
	v_lshl_add_u64 v[42:43], v[60:61], 2, v[16:17]
	v_lshl_add_u64 v[32:33], v[86:87], 2, v[16:17]
	v_ashrrev_i32_e32 v89, 31, v88
	v_add_u32_e32 v66, s49, v38
	global_load_dword v58, v[42:43], off
	global_load_dword v31, v[32:33], off
	v_lshl_add_u64 v[42:43], v[62:63], 2, v[16:17]
	v_ashrrev_i32_e32 v65, 31, v64
	v_lshl_add_u64 v[32:33], v[88:89], 2, v[16:17]
	v_add_u32_e32 v68, s50, v38
	global_load_dword v61, v[42:43], off
	v_ashrrev_i32_e32 v67, 31, v66
	global_load_dword v32, v[32:33], off
	v_lshl_add_u64 v[42:43], v[64:65], 2, v[16:17]
	v_add_u32_e32 v70, s51, v38
	global_load_dword v62, v[42:43], off
	v_lshl_add_u64 v[42:43], v[66:67], 2, v[16:17]
	v_ashrrev_i32_e32 v69, 31, v68
	v_add_u32_e32 v72, s52, v38
	global_load_dword v65, v[42:43], off
	v_lshl_add_u64 v[42:43], v[68:69], 2, v[16:17]
	v_ashrrev_i32_e32 v71, 31, v70
	global_load_dword v66, v[42:43], off
	v_lshl_add_u64 v[42:43], v[70:71], 2, v[16:17]
	v_ashrrev_i32_e32 v73, 31, v72
	global_load_dword v68, v[42:43], off
	v_lshl_add_u64 v[42:43], v[72:73], 2, v[16:17]
	v_add_u32_e32 v72, s67, v38
	v_add_u32_e32 v74, s53, v38
	v_ashrrev_i32_e32 v73, 31, v72
	v_ashrrev_i32_e32 v75, 31, v74
	v_lshl_add_u64 v[48:49], v[72:73], 2, v[16:17]
	global_load_dword v70, v[42:43], off
	global_load_dword v33, v[48:49], off
	v_lshl_add_u64 v[42:43], v[74:75], 2, v[16:17]
	v_add_u32_e32 v74, s68, v38
	v_add_u32_e32 v76, s54, v38
	;; [unrolled: 1-line block ×3, first 2 shown]
	v_ashrrev_i32_e32 v75, 31, v74
	v_add_u32_e32 v78, s55, v38
	v_ashrrev_i32_e32 v77, 31, v76
	v_lshl_add_u64 v[48:49], v[74:75], 2, v[16:17]
	v_ashrrev_i32_e32 v73, 31, v72
	global_load_dword v18, v[42:43], off
	v_ashrrev_i32_e32 v79, 31, v78
	global_load_dword v48, v[48:49], off
	v_lshl_add_u64 v[42:43], v[76:77], 2, v[16:17]
	v_lshl_add_u64 v[72:73], v[72:73], 2, v[16:17]
	global_load_dword v41, v[42:43], off
	global_load_dword v60, v[72:73], off
	v_lshl_add_u64 v[42:43], v[78:79], 2, v[16:17]
	v_add_u32_e32 v78, s69, v38
	v_ashrrev_i32_e32 v79, 31, v78
	v_add_u32_e32 v80, s56, v38
	v_lshl_add_u64 v[74:75], v[78:79], 2, v[16:17]
	v_add_u32_e32 v78, s73, v38
	v_add_u32_e32 v82, s57, v38
	v_ashrrev_i32_e32 v81, 31, v80
	v_ashrrev_i32_e32 v79, 31, v78
	v_lshl_add_u64 v[76:77], v[80:81], 2, v[16:17]
	v_ashrrev_i32_e32 v83, 31, v82
	v_lshl_add_u64 v[72:73], v[78:79], 2, v[16:17]
	global_load_dword v42, v[42:43], off
	v_add_u32_e32 v80, s71, v38
	global_load_dword v49, v[74:75], off
	global_load_dword v63, v[72:73], off
	;; [unrolled: 1-line block ×3, first 2 shown]
	v_lshl_add_u64 v[76:77], v[82:83], 2, v[16:17]
	global_load_dword v44, v[76:77], off
	v_add_u32_e32 v76, s70, v38
	v_ashrrev_i32_e32 v77, 31, v76
	v_lshl_add_u64 v[74:75], v[76:77], 2, v[16:17]
	v_add_u32_e32 v76, s74, v38
	v_ashrrev_i32_e32 v77, 31, v76
	v_ashrrev_i32_e32 v81, 31, v80
	v_lshl_add_u64 v[72:73], v[76:77], 2, v[16:17]
	global_load_dword v51, v[74:75], off
	global_load_dword v64, v[72:73], off
	v_lshl_add_u64 v[74:75], v[80:81], 2, v[16:17]
	v_add_u32_e32 v80, s75, v38
	v_add_u32_e32 v82, s72, v38
	v_ashrrev_i32_e32 v81, 31, v80
	v_add_u32_e32 v84, s28, v38
	v_ashrrev_i32_e32 v83, 31, v82
	v_lshl_add_u64 v[72:73], v[80:81], 2, v[16:17]
	global_load_dword v55, v[74:75], off
	global_load_dword v67, v[72:73], off
	v_lshl_add_u64 v[74:75], v[82:83], 2, v[16:17]
	v_ashrrev_i32_e32 v85, 31, v84
	global_load_dword v56, v[74:75], off
	v_lshl_add_u64 v[74:75], v[84:85], 2, v[16:17]
	global_load_dword v59, v[74:75], off
	v_add_u32_e32 v74, s76, v38
	v_add_u32_e32 v76, s26, v38
	v_ashrrev_i32_e32 v75, 31, v74
	v_lshl_add_u64 v[72:73], v[74:75], 2, v[16:17]
	v_ashrrev_i32_e32 v77, 31, v76
	v_add_u32_e32 v74, s27, v38
	global_load_dword v69, v[72:73], off
	v_lshl_add_u64 v[72:73], v[76:77], 2, v[16:17]
	v_ashrrev_i32_e32 v75, 31, v74
	global_load_dword v71, v[72:73], off
	v_lshl_add_u64 v[72:73], v[74:75], 2, v[16:17]
	v_add_u32_e32 v74, s77, v38
	v_ashrrev_i32_e32 v75, 31, v74
	v_lshl_add_u64 v[74:75], v[74:75], 2, v[16:17]
	global_load_dword v72, v[72:73], off
	v_add_u32_e32 v76, s79, v38
	global_load_dword v73, v[74:75], off
	v_add_u32_e32 v74, s78, v38
	v_ashrrev_i32_e32 v75, 31, v74
	v_ashrrev_i32_e32 v77, 31, v76
	v_lshl_add_u64 v[74:75], v[74:75], 2, v[16:17]
	v_lshl_add_u64 v[76:77], v[76:77], 2, v[16:17]
	global_load_dword v74, v[74:75], off
	v_add_u32_e32 v78, s81, v38
	global_load_dword v75, v[76:77], off
	v_add_u32_e32 v76, s80, v38
	v_ashrrev_i32_e32 v77, 31, v76
	v_ashrrev_i32_e32 v79, 31, v78
	v_lshl_add_u64 v[76:77], v[76:77], 2, v[16:17]
	;; [unrolled: 8-line block ×9, first 2 shown]
	v_lshl_add_u64 v[92:93], v[92:93], 2, v[16:17]
	global_load_dword v90, v[90:91], off
	v_add_u32_e32 v94, s31, v38
	global_load_dword v91, v[92:93], off
	v_add_u32_e32 v92, s96, v38
	v_ashrrev_i32_e32 v93, 31, v92
	v_lshl_add_u64 v[92:93], v[92:93], 2, v[16:17]
	global_load_dword v106, v[92:93], off
	s_nop 0
	global_load_dword v92, v[20:21], off
	s_waitcnt vmcnt(62)
	ds_write_b32 v39, v45 offset:264
	v_ashrrev_i32_e32 v95, 31, v94
	v_lshl_add_u64 v[94:95], v[94:95], 3, s[0:1]
	v_lshl_add_u64 v[20:21], v[20:21], 0, s[20:21]
	s_waitcnt vmcnt(0)
	ds_write_b32 v39, v92
	global_load_dwordx2 v[92:93], v[22:23], off
	s_waitcnt vmcnt(0)
	v_cvt_pk_bf16_f32 v107, v92, v93
	v_lshl_add_u64 v[92:93], v[22:23], 0, s[12:13]
	global_load_dwordx2 v[92:93], v[92:93], off
	ds_write_b32 v39, v46 offset:528
	ds_write_b32 v39, v47 offset:792
	;; [unrolled: 1-line block ×14, first 2 shown]
	v_add_u32_e32 v46, s14, v38
	v_add_u32_e32 v52, s19, v38
	v_ashrrev_i32_e32 v47, 31, v46
	v_ashrrev_i32_e32 v53, 31, v52
	v_lshl_add_u64 v[46:47], v[46:47], 3, s[0:1]
	v_lshl_add_u64 v[52:53], v[52:53], 3, s[0:1]
	;; [unrolled: 1-line block ×3, first 2 shown]
	s_waitcnt vmcnt(0)
	v_cvt_pk_bf16_f32 v108, v92, v93
	v_add_u32_e32 v92, s30, v38
	v_ashrrev_i32_e32 v93, 31, v92
	v_lshl_add_u64 v[92:93], v[92:93], 3, s[0:1]
	global_load_dwordx2 v[46:47], v[46:47], off
	s_nop 0
	global_load_dwordx2 v[52:53], v[52:53], off
	s_nop 0
	;; [unrolled: 2-line block ×3, first 2 shown]
	global_load_dwordx2 v[94:95], v[94:95], off
	s_waitcnt vmcnt(3)
	v_cvt_pk_bf16_f32 v109, v46, v47
	s_waitcnt vmcnt(2)
	v_cvt_pk_bf16_f32 v110, v52, v53
	;; [unrolled: 2-line block ×4, first 2 shown]
	v_add_u32_e32 v46, s33, v38
	v_add_u32_e32 v52, s34, v38
	v_add_u32_e32 v92, s35, v38
	v_add_u32_e32 v94, s36, v38
	v_ashrrev_i32_e32 v47, 31, v46
	v_ashrrev_i32_e32 v53, 31, v52
	;; [unrolled: 1-line block ×4, first 2 shown]
	v_lshl_add_u64 v[46:47], v[46:47], 3, s[0:1]
	v_lshl_add_u64 v[52:53], v[52:53], 3, s[0:1]
	;; [unrolled: 1-line block ×4, first 2 shown]
	global_load_dwordx2 v[46:47], v[46:47], off
	s_nop 0
	global_load_dwordx2 v[52:53], v[52:53], off
	s_nop 0
	;; [unrolled: 2-line block ×3, first 2 shown]
	global_load_dwordx2 v[94:95], v[94:95], off
	s_waitcnt vmcnt(3)
	v_cvt_pk_bf16_f32 v113, v46, v47
	s_waitcnt vmcnt(2)
	v_cvt_pk_bf16_f32 v114, v52, v53
	;; [unrolled: 2-line block ×3, first 2 shown]
	v_add_u32_e32 v46, s37, v38
	v_add_u32_e32 v52, s38, v38
	;; [unrolled: 1-line block ×3, first 2 shown]
	v_ashrrev_i32_e32 v47, 31, v46
	v_ashrrev_i32_e32 v53, 31, v52
	;; [unrolled: 1-line block ×3, first 2 shown]
	v_lshl_add_u64 v[46:47], v[46:47], 3, s[0:1]
	v_lshl_add_u64 v[52:53], v[52:53], 3, s[0:1]
	v_lshl_add_u64 v[92:93], v[92:93], 3, s[0:1]
	global_load_dwordx2 v[46:47], v[46:47], off
	s_nop 0
	global_load_dwordx2 v[52:53], v[52:53], off
	s_nop 0
	global_load_dwordx2 v[92:93], v[92:93], off
	s_waitcnt vmcnt(3)
	v_cvt_pk_bf16_f32 v116, v94, v95
	v_add_u32_e32 v38, 0x200, v38
	v_cmp_le_i32_e32 vcc, s5, v38
	s_or_b64 s[16:17], vcc, s[16:17]
	s_waitcnt vmcnt(2)
	v_cvt_pk_bf16_f32 v117, v46, v47
	s_waitcnt vmcnt(1)
	v_cvt_pk_bf16_f32 v118, v52, v53
	;; [unrolled: 2-line block ×3, first 2 shown]
	ds_read_b64 v[46:47], v40
	ds_read_b64 v[52:53], v40 offset:32
	ds_read_b64 v[92:93], v40 offset:64
	ds_read_b64 v[94:95], v40 offset:96
	ds_read_b64 v[96:97], v40 offset:128
	ds_read_b64 v[98:99], v40 offset:160
	ds_read_b64 v[100:101], v40 offset:192
	ds_read_b64 v[102:103], v40 offset:224
	ds_write_b32 v39, v18
	ds_write_b32 v39, v41 offset:264
	ds_write_b32 v39, v42 offset:528
	ds_write_b32 v39, v43 offset:792
	ds_write_b32 v39, v44 offset:1056
	ds_write_b32 v39, v26 offset:1320
	ds_write_b32 v39, v27 offset:1584
	ds_write_b32 v39, v24 offset:1848
	ds_write_b32 v39, v25 offset:2112
	ds_write_b32 v39, v28 offset:2376
	ds_write_b32 v39, v29 offset:2640
	ds_write_b32 v39, v30 offset:2904
	ds_write_b32 v39, v31 offset:3168
	ds_write_b32 v39, v32 offset:3432
	ds_write_b32 v39, v33 offset:3696
	ds_write_b32 v39, v48 offset:3960
	ds_read_b64 v[24:25], v40
	ds_read_b64 v[26:27], v40 offset:32
	ds_read_b64 v[28:29], v40 offset:64
	ds_read_b64 v[30:31], v40 offset:96
	ds_read_b64 v[32:33], v40 offset:128
	ds_read_b64 v[42:43], v40 offset:160
	ds_read_b64 v[44:45], v40 offset:192
	ds_read_b64 v[104:105], v40 offset:224
	ds_write_b32 v39, v49
	ds_write_b32 v39, v51 offset:264
	ds_write_b32 v39, v55 offset:528
	ds_write_b32 v39, v56 offset:792
	ds_write_b32 v39, v59 offset:1056
	ds_write_b32 v39, v60 offset:1320
	ds_write_b32 v39, v63 offset:1584
	ds_write_b32 v39, v64 offset:1848
	ds_write_b32 v39, v67 offset:2112
	ds_write_b32 v39, v69 offset:2376
	ds_write_b32 v39, v71 offset:2640
	ds_write_b32 v39, v72 offset:2904
	ds_write_b32 v39, v73 offset:3168
	ds_write_b32 v39, v74 offset:3432
	ds_write_b32 v39, v75 offset:3696
	ds_write_b32 v39, v76 offset:3960
	ds_read_b64 v[48:49], v40
	ds_read_b64 v[50:51], v40 offset:32
	ds_read_b64 v[54:55], v40 offset:64
	ds_read_b64 v[56:57], v40 offset:96
	ds_read_b64 v[58:59], v40 offset:128
	ds_read_b64 v[60:61], v40 offset:160
	ds_read_b64 v[62:63], v40 offset:192
	ds_read_b64 v[64:65], v40 offset:224
	ds_write_b32 v39, v77
	ds_write_b32 v39, v78 offset:264
	ds_write_b32 v39, v79 offset:528
	ds_write_b32 v39, v80 offset:792
	ds_write_b32 v39, v81 offset:1056
	ds_write_b32 v39, v82 offset:1320
	ds_write_b32 v39, v83 offset:1584
	ds_write_b32 v39, v84 offset:1848
	ds_write_b32 v39, v85 offset:2112
	ds_write_b32 v39, v86 offset:2376
	ds_write_b32 v39, v87 offset:2640
	ds_write_b32 v39, v88 offset:2904
	ds_write_b32 v39, v89 offset:3168
	ds_write_b32 v39, v90 offset:3432
	ds_write_b32 v39, v91 offset:3696
	ds_write_b32 v39, v106 offset:3960
	ds_read_b64 v[66:67], v40
	ds_read_b64 v[68:69], v40 offset:32
	ds_read_b64 v[70:71], v40 offset:64
	ds_read_b64 v[72:73], v40 offset:96
	ds_read_b64 v[74:75], v40 offset:128
	ds_read_b64 v[76:77], v40 offset:160
	ds_read_b64 v[78:79], v40 offset:192
	ds_read_b64 v[80:81], v40 offset:224
	ds_write_b32 v39, v107
	ds_write_b32 v39, v108 offset:264
	ds_write_b32 v39, v109 offset:528
	ds_write_b32 v39, v110 offset:792
	ds_write_b32 v39, v111 offset:1056
	ds_write_b32 v39, v112 offset:1320
	ds_write_b32 v39, v113 offset:1584
	ds_write_b32 v39, v114 offset:1848
	ds_write_b32 v39, v115 offset:2112
	ds_write_b32 v39, v116 offset:2376
	ds_write_b32 v39, v117 offset:2640
	ds_write_b32 v39, v118 offset:2904
	ds_write_b32 v39, v119 offset:3168
	ds_write_b32 v39, v19 offset:3432
	ds_write_b32 v39, v19 offset:3696
	ds_write_b32 v39, v19 offset:3960
	ds_read_b64 v[82:83], v40
	ds_read_b64 v[84:85], v40 offset:32
	ds_read_b64 v[86:87], v40 offset:64
	;; [unrolled: 1-line block ×3, first 2 shown]
	s_waitcnt lgkmcnt(3)
	v_mfma_f32_16x16x16_bf16 v[12:15], v[46:47], v[82:83], v[12:15]
	v_mfma_f32_16x16x16_bf16 v[8:11], v[24:25], v[82:83], v[8:11]
	ds_read_b64 v[24:25], v40 offset:128
	v_mfma_f32_16x16x16_bf16 v[0:3], v[48:49], v[82:83], v[0:3]
	v_mfma_f32_16x16x16_bf16 v[4:7], v[66:67], v[82:83], v[4:7]
	s_waitcnt lgkmcnt(3)
	v_mfma_f32_16x16x16_bf16 v[12:15], v[52:53], v[84:85], v[12:15]
	v_mfma_f32_16x16x16_bf16 v[8:11], v[26:27], v[84:85], v[8:11]
	v_mfma_f32_16x16x16_bf16 v[0:3], v[50:51], v[84:85], v[0:3]
	v_mfma_f32_16x16x16_bf16 v[4:7], v[68:69], v[84:85], v[4:7]
	s_waitcnt lgkmcnt(2)
	v_mfma_f32_16x16x16_bf16 v[12:15], v[92:93], v[86:87], v[12:15]
	v_mfma_f32_16x16x16_bf16 v[8:11], v[28:29], v[86:87], v[8:11]
	;; [unrolled: 5-line block ×3, first 2 shown]
	ds_read_b64 v[26:27], v40 offset:160
	ds_read_b64 v[28:29], v40 offset:192
	;; [unrolled: 1-line block ×3, first 2 shown]
	v_mfma_f32_16x16x16_bf16 v[0:3], v[56:57], v[88:89], v[0:3]
	v_mfma_f32_16x16x16_bf16 v[4:7], v[72:73], v[88:89], v[4:7]
	s_waitcnt lgkmcnt(3)
	v_mfma_f32_16x16x16_bf16 v[12:15], v[96:97], v[24:25], v[12:15]
	v_mfma_f32_16x16x16_bf16 v[8:11], v[32:33], v[24:25], v[8:11]
	v_mfma_f32_16x16x16_bf16 v[0:3], v[58:59], v[24:25], v[0:3]
	v_mfma_f32_16x16x16_bf16 v[4:7], v[74:75], v[24:25], v[4:7]
	s_waitcnt lgkmcnt(2)
	v_mfma_f32_16x16x16_bf16 v[12:15], v[98:99], v[26:27], v[12:15]
	v_mfma_f32_16x16x16_bf16 v[8:11], v[42:43], v[26:27], v[8:11]
	;; [unrolled: 5-line block ×4, first 2 shown]
	v_mfma_f32_16x16x16_bf16 v[0:3], v[64:65], v[30:31], v[0:3]
	v_mfma_f32_16x16x16_bf16 v[4:7], v[80:81], v[30:31], v[4:7]
	s_andn2_b64 exec, exec, s[16:17]
	s_cbranch_execnz .LBB146_4
; %bb.5:
	s_or_b64 exec, exec, s[16:17]
.LBB146_6:
	s_or_b64 exec, exec, s[24:25]
	s_waitcnt lgkmcnt(0)
	s_mul_hi_i32 s1, s15, s4
	s_mul_i32 s0, s15, s4
	s_lshl_b64 s[0:1], s[0:1], 2
	s_mul_i32 s4, s11, s3
	s_add_u32 s3, s6, s0
	s_addc_u32 s6, s7, s1
	s_ashr_i32 s5, s4, 31
	v_lshl_add_u32 v16, v36, 2, 0
	v_mul_u32_u24_e32 v17, 0x808, v37
	v_and_b32_e32 v18, 0x3f0, v35
	s_lshl_b64 s[0:1], s[4:5], 2
	v_add3_u32 v16, v16, v17, v18
	s_add_u32 s0, s3, s0
	s_barrier
	s_movk_i32 s3, 0x808
	ds_write2_b32 v16, v12, v13 offset1:1
	ds_write2_b32 v16, v14, v15 offset0:2 offset1:3
	ds_write2_b32 v16, v8, v9 offset0:16 offset1:17
	ds_write2_b32 v16, v10, v11 offset0:18 offset1:19
	ds_write2_b32 v16, v0, v1 offset0:32 offset1:33
	ds_write2_b32 v16, v2, v3 offset0:34 offset1:35
	ds_write2_b32 v16, v4, v5 offset0:48 offset1:49
	ds_write2_b32 v16, v6, v7 offset0:50 offset1:51
	v_lshl_add_u32 v1, v35, 2, 0
	v_mad_u32_u24 v8, v34, s3, v1
	s_waitcnt lgkmcnt(0)
	s_barrier
	ds_read2st64_b32 v[2:3], v8 offset1:1
	ds_read2st64_b32 v[4:5], v8 offset0:2 offset1:3
	ds_read2st64_b32 v[6:7], v8 offset0:4 offset1:5
	;; [unrolled: 1-line block ×3, first 2 shown]
	v_add_u32_e32 v0, s2, v35
	s_addc_u32 s1, s6, s1
	v_cmp_gt_u32_e32 vcc, 5, v34
	s_waitcnt lgkmcnt(3)
	v_add_f32_e32 v2, 0, v2
	v_add_f32_e32 v2, v2, v3
	s_waitcnt lgkmcnt(2)
	v_add_f32_e32 v2, v2, v4
	v_add_f32_e32 v2, v2, v5
	;; [unrolled: 3-line block ×4, first 2 shown]
	v_mad_u64_u32 v[2:3], s[4:5], v34, s18, v[0:1]
	v_mov_b32_e32 v3, 0
	v_lshl_add_u64 v[4:5], v[2:3], 2, s[0:1]
	global_store_dword v[4:5], v6, off
	s_and_saveexec_b64 s[4:5], vcc
	s_cbranch_execz .LBB146_8
; %bb.7:
	v_or_b32_e32 v2, 8, v34
	v_mad_u32_u24 v1, v2, s3, v1
	ds_read2st64_b32 v[4:5], v1 offset1:1
	ds_read2st64_b32 v[6:7], v1 offset0:2 offset1:3
	ds_read2st64_b32 v[8:9], v1 offset0:4 offset1:5
	;; [unrolled: 1-line block ×3, first 2 shown]
	s_waitcnt lgkmcnt(3)
	v_add_f32_e32 v1, 0, v4
	v_add_f32_e32 v1, v1, v5
	s_waitcnt lgkmcnt(2)
	v_add_f32_e32 v1, v1, v6
	v_add_f32_e32 v1, v1, v7
	;; [unrolled: 3-line block ×4, first 2 shown]
	v_mad_u64_u32 v[0:1], s[2:3], v2, s18, v[0:1]
	v_mov_b32_e32 v1, v3
	v_lshl_add_u64 v[0:1], v[0:1], 2, s[0:1]
	global_store_dword v[0:1], v4, off
.LBB146_8:
	s_endpgm
	.section	.rodata,"a",@progbits
	.p2align	6, 0x0
	.amdhsa_kernel _ZL9mul_mat_fI15__hip_bfloat162Li64ELi13ELi8ELb0EEvPKT_PKfPKiPfiiiiiiiiiiiiiiii
		.amdhsa_group_segment_fixed_size 0
		.amdhsa_private_segment_fixed_size 0
		.amdhsa_kernarg_size 96
		.amdhsa_user_sgpr_count 2
		.amdhsa_user_sgpr_dispatch_ptr 0
		.amdhsa_user_sgpr_queue_ptr 0
		.amdhsa_user_sgpr_kernarg_segment_ptr 1
		.amdhsa_user_sgpr_dispatch_id 0
		.amdhsa_user_sgpr_kernarg_preload_length 0
		.amdhsa_user_sgpr_kernarg_preload_offset 0
		.amdhsa_user_sgpr_private_segment_size 0
		.amdhsa_uses_dynamic_stack 0
		.amdhsa_enable_private_segment 0
		.amdhsa_system_sgpr_workgroup_id_x 1
		.amdhsa_system_sgpr_workgroup_id_y 1
		.amdhsa_system_sgpr_workgroup_id_z 1
		.amdhsa_system_sgpr_workgroup_info 0
		.amdhsa_system_vgpr_workitem_id 1
		.amdhsa_next_free_vgpr 120
		.amdhsa_next_free_sgpr 97
		.amdhsa_accum_offset 120
		.amdhsa_reserve_vcc 1
		.amdhsa_float_round_mode_32 0
		.amdhsa_float_round_mode_16_64 0
		.amdhsa_float_denorm_mode_32 3
		.amdhsa_float_denorm_mode_16_64 3
		.amdhsa_dx10_clamp 1
		.amdhsa_ieee_mode 1
		.amdhsa_fp16_overflow 0
		.amdhsa_tg_split 0
		.amdhsa_exception_fp_ieee_invalid_op 0
		.amdhsa_exception_fp_denorm_src 0
		.amdhsa_exception_fp_ieee_div_zero 0
		.amdhsa_exception_fp_ieee_overflow 0
		.amdhsa_exception_fp_ieee_underflow 0
		.amdhsa_exception_fp_ieee_inexact 0
		.amdhsa_exception_int_div_zero 0
	.end_amdhsa_kernel
	.section	.text._ZL9mul_mat_fI15__hip_bfloat162Li64ELi13ELi8ELb0EEvPKT_PKfPKiPfiiiiiiiiiiiiiiii,"axG",@progbits,_ZL9mul_mat_fI15__hip_bfloat162Li64ELi13ELi8ELb0EEvPKT_PKfPKiPfiiiiiiiiiiiiiiii,comdat
.Lfunc_end146:
	.size	_ZL9mul_mat_fI15__hip_bfloat162Li64ELi13ELi8ELb0EEvPKT_PKfPKiPfiiiiiiiiiiiiiiii, .Lfunc_end146-_ZL9mul_mat_fI15__hip_bfloat162Li64ELi13ELi8ELb0EEvPKT_PKfPKiPfiiiiiiiiiiiiiiii
                                        ; -- End function
	.set _ZL9mul_mat_fI15__hip_bfloat162Li64ELi13ELi8ELb0EEvPKT_PKfPKiPfiiiiiiiiiiiiiiii.num_vgpr, 120
	.set _ZL9mul_mat_fI15__hip_bfloat162Li64ELi13ELi8ELb0EEvPKT_PKfPKiPfiiiiiiiiiiiiiiii.num_agpr, 0
	.set _ZL9mul_mat_fI15__hip_bfloat162Li64ELi13ELi8ELb0EEvPKT_PKfPKiPfiiiiiiiiiiiiiiii.numbered_sgpr, 97
	.set _ZL9mul_mat_fI15__hip_bfloat162Li64ELi13ELi8ELb0EEvPKT_PKfPKiPfiiiiiiiiiiiiiiii.num_named_barrier, 0
	.set _ZL9mul_mat_fI15__hip_bfloat162Li64ELi13ELi8ELb0EEvPKT_PKfPKiPfiiiiiiiiiiiiiiii.private_seg_size, 0
	.set _ZL9mul_mat_fI15__hip_bfloat162Li64ELi13ELi8ELb0EEvPKT_PKfPKiPfiiiiiiiiiiiiiiii.uses_vcc, 1
	.set _ZL9mul_mat_fI15__hip_bfloat162Li64ELi13ELi8ELb0EEvPKT_PKfPKiPfiiiiiiiiiiiiiiii.uses_flat_scratch, 0
	.set _ZL9mul_mat_fI15__hip_bfloat162Li64ELi13ELi8ELb0EEvPKT_PKfPKiPfiiiiiiiiiiiiiiii.has_dyn_sized_stack, 0
	.set _ZL9mul_mat_fI15__hip_bfloat162Li64ELi13ELi8ELb0EEvPKT_PKfPKiPfiiiiiiiiiiiiiiii.has_recursion, 0
	.set _ZL9mul_mat_fI15__hip_bfloat162Li64ELi13ELi8ELb0EEvPKT_PKfPKiPfiiiiiiiiiiiiiiii.has_indirect_call, 0
	.section	.AMDGPU.csdata,"",@progbits
; Kernel info:
; codeLenInByte = 4796
; TotalNumSgprs: 103
; NumVgprs: 120
; NumAgprs: 0
; TotalNumVgprs: 120
; ScratchSize: 0
; MemoryBound: 0
; FloatMode: 240
; IeeeMode: 1
; LDSByteSize: 0 bytes/workgroup (compile time only)
; SGPRBlocks: 12
; VGPRBlocks: 14
; NumSGPRsForWavesPerEU: 103
; NumVGPRsForWavesPerEU: 120
; AccumOffset: 120
; Occupancy: 4
; WaveLimiterHint : 0
; COMPUTE_PGM_RSRC2:SCRATCH_EN: 0
; COMPUTE_PGM_RSRC2:USER_SGPR: 2
; COMPUTE_PGM_RSRC2:TRAP_HANDLER: 0
; COMPUTE_PGM_RSRC2:TGID_X_EN: 1
; COMPUTE_PGM_RSRC2:TGID_Y_EN: 1
; COMPUTE_PGM_RSRC2:TGID_Z_EN: 1
; COMPUTE_PGM_RSRC2:TIDIG_COMP_CNT: 1
; COMPUTE_PGM_RSRC3_GFX90A:ACCUM_OFFSET: 29
; COMPUTE_PGM_RSRC3_GFX90A:TG_SPLIT: 0
	.text
	.p2alignl 6, 3212836864
	.fill 256, 4, 3212836864
	.section	.AMDGPU.gpr_maximums,"",@progbits
	.set amdgpu.max_num_vgpr, 38
	.set amdgpu.max_num_agpr, 0
	.set amdgpu.max_num_sgpr, 34
	.text
	.type	.str,@object                    ; @.str
	.section	.rodata.str1.1,"aMS",@progbits,1
.str:
	.asciz	"/root/src/amdgpu-assembly/repos/ggml-org__llama.cpp/ggml/src/ggml-cuda/template-instances/../mmf.cuh"
	.size	.str, 101

	.type	__FUNCTION__._ZL13mul_mat_f_idsIfLi32ELi13ELi1EEvPKT_PKfPKiS6_S6_Pfiiiiiiiiiiiiii15HIP_vector_typeIjLj3EES9_,@object ; @__FUNCTION__._ZL13mul_mat_f_idsIfLi32ELi13ELi1EEvPKT_PKfPKiS6_S6_Pfiiiiiiiiiiiiii15HIP_vector_typeIjLj3EES9_
__FUNCTION__._ZL13mul_mat_f_idsIfLi32ELi13ELi1EEvPKT_PKfPKiS6_S6_Pfiiiiiiiiiiiiii15HIP_vector_typeIjLj3EES9_:
	.asciz	"mul_mat_f_ids"
	.size	__FUNCTION__._ZL13mul_mat_f_idsIfLi32ELi13ELi1EEvPKT_PKfPKiS6_S6_Pfiiiiiiiiiiiiii15HIP_vector_typeIjLj3EES9_, 14

	.type	.str.2,@object                  ; @.str.2
.str.2:
	.asciz	"%s:%d: ERROR: HIP kernel %s has no device code compatible with HIP arch %d.\n"
	.size	.str.2, 77

	.type	__FUNCTION__._ZL9mul_mat_fIfLi32ELi13ELi1ELb1EEvPKT_PKfPKiPfiiiiiiiiiiiiiiii,@object ; @__FUNCTION__._ZL9mul_mat_fIfLi32ELi13ELi1ELb1EEvPKT_PKfPKiPfiiiiiiiiiiiiiiii
__FUNCTION__._ZL9mul_mat_fIfLi32ELi13ELi1ELb1EEvPKT_PKfPKiPfiiiiiiiiiiiiiiii:
	.asciz	"mul_mat_f"
	.size	__FUNCTION__._ZL9mul_mat_fIfLi32ELi13ELi1ELb1EEvPKT_PKfPKiPfiiiiiiiiiiiiiiii, 10

	.type	__hip_cuid_4c935a85669f4d8f,@object ; @__hip_cuid_4c935a85669f4d8f
	.section	.bss,"aw",@nobits
	.globl	__hip_cuid_4c935a85669f4d8f
__hip_cuid_4c935a85669f4d8f:
	.byte	0                               ; 0x0
	.size	__hip_cuid_4c935a85669f4d8f, 1

	.ident	"AMD clang version 22.0.0git (https://github.com/RadeonOpenCompute/llvm-project roc-7.2.4 26084 f58b06dce1f9c15707c5f808fd002e18c2accf7e)"
	.section	".note.GNU-stack","",@progbits
	.addrsig
	.addrsig_sym __hip_cuid_4c935a85669f4d8f
	.amdgpu_metadata
---
amdhsa.kernels:
  - .agpr_count:     0
    .args:
      - .actual_access:  read_only
        .address_space:  global
        .offset:         0
        .size:           8
        .value_kind:     global_buffer
      - .actual_access:  read_only
        .address_space:  global
        .offset:         8
        .size:           8
        .value_kind:     global_buffer
      - .actual_access:  read_only
        .address_space:  global
        .offset:         16
        .size:           8
        .value_kind:     global_buffer
      - .actual_access:  read_only
        .address_space:  global
        .offset:         24
        .size:           8
        .value_kind:     global_buffer
      - .actual_access:  read_only
        .address_space:  global
        .offset:         32
        .size:           8
        .value_kind:     global_buffer
      - .actual_access:  read_only
        .address_space:  global
        .offset:         40
        .size:           8
        .value_kind:     global_buffer
      - .offset:         48
        .size:           4
        .value_kind:     by_value
      - .offset:         52
        .size:           4
        .value_kind:     by_value
      - .offset:         56
        .size:           4
        .value_kind:     by_value
      - .offset:         60
        .size:           4
        .value_kind:     by_value
      - .offset:         64
        .size:           4
        .value_kind:     by_value
      - .offset:         68
        .size:           4
        .value_kind:     by_value
      - .offset:         72
        .size:           4
        .value_kind:     by_value
      - .offset:         76
        .size:           4
        .value_kind:     by_value
      - .offset:         80
        .size:           4
        .value_kind:     by_value
      - .offset:         84
        .size:           4
        .value_kind:     by_value
      - .offset:         88
        .size:           4
        .value_kind:     by_value
      - .offset:         92
        .size:           4
        .value_kind:     by_value
      - .offset:         96
        .size:           4
        .value_kind:     by_value
      - .offset:         100
        .size:           4
        .value_kind:     by_value
      - .offset:         104
        .size:           12
        .value_kind:     by_value
      - .offset:         116
        .size:           12
        .value_kind:     by_value
      - .offset:         128
        .size:           4
        .value_kind:     hidden_block_count_x
      - .offset:         132
        .size:           4
        .value_kind:     hidden_block_count_y
      - .offset:         136
        .size:           4
        .value_kind:     hidden_block_count_z
      - .offset:         140
        .size:           2
        .value_kind:     hidden_group_size_x
      - .offset:         142
        .size:           2
        .value_kind:     hidden_group_size_y
      - .offset:         144
        .size:           2
        .value_kind:     hidden_group_size_z
      - .offset:         146
        .size:           2
        .value_kind:     hidden_remainder_x
      - .offset:         148
        .size:           2
        .value_kind:     hidden_remainder_y
      - .offset:         150
        .size:           2
        .value_kind:     hidden_remainder_z
      - .offset:         168
        .size:           8
        .value_kind:     hidden_global_offset_x
      - .offset:         176
        .size:           8
        .value_kind:     hidden_global_offset_y
      - .offset:         184
        .size:           8
        .value_kind:     hidden_global_offset_z
      - .offset:         192
        .size:           2
        .value_kind:     hidden_grid_dims
      - .offset:         208
        .size:           8
        .value_kind:     hidden_hostcall_buffer
    .group_segment_fixed_size: 0
    .kernarg_segment_align: 8
    .kernarg_segment_size: 384
    .language:       OpenCL C
    .language_version:
      - 2
      - 0
    .max_flat_workgroup_size: 64
    .name:           _ZL13mul_mat_f_idsIfLi32ELi13ELi1EEvPKT_PKfPKiS6_S6_Pfiiiiiiiiiiiiii15HIP_vector_typeIjLj3EES9_
    .private_segment_fixed_size: 16
    .sgpr_count:     40
    .sgpr_spill_count: 0
    .symbol:         _ZL13mul_mat_f_idsIfLi32ELi13ELi1EEvPKT_PKfPKiS6_S6_Pfiiiiiiiiiiiiii15HIP_vector_typeIjLj3EES9_.kd
    .uniform_work_group_size: 1
    .uses_dynamic_stack: false
    .vgpr_count:     38
    .vgpr_spill_count: 0
    .wavefront_size: 64
  - .agpr_count:     0
    .args:
      - .actual_access:  read_only
        .address_space:  global
        .offset:         0
        .size:           8
        .value_kind:     global_buffer
      - .actual_access:  read_only
        .address_space:  global
        .offset:         8
        .size:           8
        .value_kind:     global_buffer
      - .actual_access:  read_only
        .address_space:  global
        .offset:         16
        .size:           8
        .value_kind:     global_buffer
      - .actual_access:  read_only
        .address_space:  global
        .offset:         24
        .size:           8
        .value_kind:     global_buffer
      - .offset:         32
        .size:           4
        .value_kind:     by_value
      - .offset:         36
        .size:           4
        .value_kind:     by_value
      - .offset:         40
        .size:           4
        .value_kind:     by_value
      - .offset:         44
        .size:           4
        .value_kind:     by_value
      - .offset:         48
        .size:           4
        .value_kind:     by_value
      - .offset:         52
        .size:           4
        .value_kind:     by_value
      - .offset:         56
        .size:           4
        .value_kind:     by_value
      - .offset:         60
        .size:           4
        .value_kind:     by_value
      - .offset:         64
        .size:           4
        .value_kind:     by_value
      - .offset:         68
        .size:           4
        .value_kind:     by_value
      - .offset:         72
        .size:           4
        .value_kind:     by_value
      - .offset:         76
        .size:           4
        .value_kind:     by_value
      - .offset:         80
        .size:           4
        .value_kind:     by_value
      - .offset:         84
        .size:           4
        .value_kind:     by_value
      - .offset:         88
        .size:           4
        .value_kind:     by_value
      - .offset:         92
        .size:           4
        .value_kind:     by_value
      - .offset:         96
        .size:           4
        .value_kind:     hidden_block_count_x
      - .offset:         100
        .size:           4
        .value_kind:     hidden_block_count_y
      - .offset:         104
        .size:           4
        .value_kind:     hidden_block_count_z
      - .offset:         108
        .size:           2
        .value_kind:     hidden_group_size_x
      - .offset:         110
        .size:           2
        .value_kind:     hidden_group_size_y
      - .offset:         112
        .size:           2
        .value_kind:     hidden_group_size_z
      - .offset:         114
        .size:           2
        .value_kind:     hidden_remainder_x
      - .offset:         116
        .size:           2
        .value_kind:     hidden_remainder_y
      - .offset:         118
        .size:           2
        .value_kind:     hidden_remainder_z
      - .offset:         136
        .size:           8
        .value_kind:     hidden_global_offset_x
      - .offset:         144
        .size:           8
        .value_kind:     hidden_global_offset_y
      - .offset:         152
        .size:           8
        .value_kind:     hidden_global_offset_z
      - .offset:         160
        .size:           2
        .value_kind:     hidden_grid_dims
      - .offset:         176
        .size:           8
        .value_kind:     hidden_hostcall_buffer
    .group_segment_fixed_size: 0
    .kernarg_segment_align: 8
    .kernarg_segment_size: 352
    .language:       OpenCL C
    .language_version:
      - 2
      - 0
    .max_flat_workgroup_size: 64
    .name:           _ZL9mul_mat_fIfLi32ELi13ELi1ELb1EEvPKT_PKfPKiPfiiiiiiiiiiiiiiii
    .private_segment_fixed_size: 16
    .sgpr_count:     40
    .sgpr_spill_count: 0
    .symbol:         _ZL9mul_mat_fIfLi32ELi13ELi1ELb1EEvPKT_PKfPKiPfiiiiiiiiiiiiiiii.kd
    .uniform_work_group_size: 1
    .uses_dynamic_stack: false
    .vgpr_count:     38
    .vgpr_spill_count: 0
    .wavefront_size: 64
  - .agpr_count:     0
    .args:
      - .actual_access:  read_only
        .address_space:  global
        .offset:         0
        .size:           8
        .value_kind:     global_buffer
      - .actual_access:  read_only
        .address_space:  global
        .offset:         8
        .size:           8
        .value_kind:     global_buffer
      - .actual_access:  read_only
        .address_space:  global
        .offset:         16
        .size:           8
        .value_kind:     global_buffer
      - .actual_access:  read_only
        .address_space:  global
        .offset:         24
        .size:           8
        .value_kind:     global_buffer
      - .offset:         32
        .size:           4
        .value_kind:     by_value
      - .offset:         36
        .size:           4
        .value_kind:     by_value
      - .offset:         40
        .size:           4
        .value_kind:     by_value
      - .offset:         44
        .size:           4
        .value_kind:     by_value
      - .offset:         48
        .size:           4
        .value_kind:     by_value
      - .offset:         52
        .size:           4
        .value_kind:     by_value
      - .offset:         56
        .size:           4
        .value_kind:     by_value
      - .offset:         60
        .size:           4
        .value_kind:     by_value
      - .offset:         64
        .size:           4
        .value_kind:     by_value
      - .offset:         68
        .size:           4
        .value_kind:     by_value
      - .offset:         72
        .size:           4
        .value_kind:     by_value
      - .offset:         76
        .size:           4
        .value_kind:     by_value
      - .offset:         80
        .size:           4
        .value_kind:     by_value
      - .offset:         84
        .size:           4
        .value_kind:     by_value
      - .offset:         88
        .size:           4
        .value_kind:     by_value
      - .offset:         92
        .size:           4
        .value_kind:     by_value
      - .offset:         96
        .size:           4
        .value_kind:     hidden_block_count_x
      - .offset:         100
        .size:           4
        .value_kind:     hidden_block_count_y
      - .offset:         104
        .size:           4
        .value_kind:     hidden_block_count_z
      - .offset:         108
        .size:           2
        .value_kind:     hidden_group_size_x
      - .offset:         110
        .size:           2
        .value_kind:     hidden_group_size_y
      - .offset:         112
        .size:           2
        .value_kind:     hidden_group_size_z
      - .offset:         114
        .size:           2
        .value_kind:     hidden_remainder_x
      - .offset:         116
        .size:           2
        .value_kind:     hidden_remainder_y
      - .offset:         118
        .size:           2
        .value_kind:     hidden_remainder_z
      - .offset:         136
        .size:           8
        .value_kind:     hidden_global_offset_x
      - .offset:         144
        .size:           8
        .value_kind:     hidden_global_offset_y
      - .offset:         152
        .size:           8
        .value_kind:     hidden_global_offset_z
      - .offset:         160
        .size:           2
        .value_kind:     hidden_grid_dims
      - .offset:         176
        .size:           8
        .value_kind:     hidden_hostcall_buffer
    .group_segment_fixed_size: 0
    .kernarg_segment_align: 8
    .kernarg_segment_size: 352
    .language:       OpenCL C
    .language_version:
      - 2
      - 0
    .max_flat_workgroup_size: 64
    .name:           _ZL9mul_mat_fIfLi32ELi13ELi1ELb0EEvPKT_PKfPKiPfiiiiiiiiiiiiiiii
    .private_segment_fixed_size: 16
    .sgpr_count:     40
    .sgpr_spill_count: 0
    .symbol:         _ZL9mul_mat_fIfLi32ELi13ELi1ELb0EEvPKT_PKfPKiPfiiiiiiiiiiiiiiii.kd
    .uniform_work_group_size: 1
    .uses_dynamic_stack: false
    .vgpr_count:     38
    .vgpr_spill_count: 0
    .wavefront_size: 64
  - .agpr_count:     0
    .args:
      - .actual_access:  read_only
        .address_space:  global
        .offset:         0
        .size:           8
        .value_kind:     global_buffer
      - .actual_access:  read_only
        .address_space:  global
        .offset:         8
        .size:           8
        .value_kind:     global_buffer
      - .actual_access:  read_only
        .address_space:  global
        .offset:         16
        .size:           8
        .value_kind:     global_buffer
      - .actual_access:  read_only
        .address_space:  global
        .offset:         24
        .size:           8
        .value_kind:     global_buffer
      - .actual_access:  read_only
        .address_space:  global
        .offset:         32
        .size:           8
        .value_kind:     global_buffer
      - .actual_access:  read_only
        .address_space:  global
        .offset:         40
        .size:           8
        .value_kind:     global_buffer
      - .offset:         48
        .size:           4
        .value_kind:     by_value
      - .offset:         52
        .size:           4
        .value_kind:     by_value
      - .offset:         56
        .size:           4
        .value_kind:     by_value
      - .offset:         60
        .size:           4
        .value_kind:     by_value
      - .offset:         64
        .size:           4
        .value_kind:     by_value
      - .offset:         68
        .size:           4
        .value_kind:     by_value
      - .offset:         72
        .size:           4
        .value_kind:     by_value
      - .offset:         76
        .size:           4
        .value_kind:     by_value
      - .offset:         80
        .size:           4
        .value_kind:     by_value
      - .offset:         84
        .size:           4
        .value_kind:     by_value
      - .offset:         88
        .size:           4
        .value_kind:     by_value
      - .offset:         92
        .size:           4
        .value_kind:     by_value
      - .offset:         96
        .size:           4
        .value_kind:     by_value
      - .offset:         100
        .size:           4
        .value_kind:     by_value
      - .offset:         104
        .size:           12
        .value_kind:     by_value
      - .offset:         116
        .size:           12
        .value_kind:     by_value
      - .offset:         128
        .size:           4
        .value_kind:     hidden_block_count_x
      - .offset:         132
        .size:           4
        .value_kind:     hidden_block_count_y
      - .offset:         136
        .size:           4
        .value_kind:     hidden_block_count_z
      - .offset:         140
        .size:           2
        .value_kind:     hidden_group_size_x
      - .offset:         142
        .size:           2
        .value_kind:     hidden_group_size_y
      - .offset:         144
        .size:           2
        .value_kind:     hidden_group_size_z
      - .offset:         146
        .size:           2
        .value_kind:     hidden_remainder_x
      - .offset:         148
        .size:           2
        .value_kind:     hidden_remainder_y
      - .offset:         150
        .size:           2
        .value_kind:     hidden_remainder_z
      - .offset:         168
        .size:           8
        .value_kind:     hidden_global_offset_x
      - .offset:         176
        .size:           8
        .value_kind:     hidden_global_offset_y
      - .offset:         184
        .size:           8
        .value_kind:     hidden_global_offset_z
      - .offset:         192
        .size:           2
        .value_kind:     hidden_grid_dims
      - .offset:         208
        .size:           8
        .value_kind:     hidden_hostcall_buffer
    .group_segment_fixed_size: 0
    .kernarg_segment_align: 8
    .kernarg_segment_size: 384
    .language:       OpenCL C
    .language_version:
      - 2
      - 0
    .max_flat_workgroup_size: 128
    .name:           _ZL13mul_mat_f_idsIfLi32ELi13ELi2EEvPKT_PKfPKiS6_S6_Pfiiiiiiiiiiiiii15HIP_vector_typeIjLj3EES9_
    .private_segment_fixed_size: 16
    .sgpr_count:     40
    .sgpr_spill_count: 0
    .symbol:         _ZL13mul_mat_f_idsIfLi32ELi13ELi2EEvPKT_PKfPKiS6_S6_Pfiiiiiiiiiiiiii15HIP_vector_typeIjLj3EES9_.kd
    .uniform_work_group_size: 1
    .uses_dynamic_stack: false
    .vgpr_count:     38
    .vgpr_spill_count: 0
    .wavefront_size: 64
  - .agpr_count:     0
    .args:
      - .actual_access:  read_only
        .address_space:  global
        .offset:         0
        .size:           8
        .value_kind:     global_buffer
      - .actual_access:  read_only
        .address_space:  global
        .offset:         8
        .size:           8
        .value_kind:     global_buffer
      - .actual_access:  read_only
        .address_space:  global
        .offset:         16
        .size:           8
        .value_kind:     global_buffer
      - .actual_access:  read_only
        .address_space:  global
        .offset:         24
        .size:           8
        .value_kind:     global_buffer
      - .offset:         32
        .size:           4
        .value_kind:     by_value
      - .offset:         36
        .size:           4
        .value_kind:     by_value
      - .offset:         40
        .size:           4
        .value_kind:     by_value
      - .offset:         44
        .size:           4
        .value_kind:     by_value
      - .offset:         48
        .size:           4
        .value_kind:     by_value
      - .offset:         52
        .size:           4
        .value_kind:     by_value
      - .offset:         56
        .size:           4
        .value_kind:     by_value
      - .offset:         60
        .size:           4
        .value_kind:     by_value
      - .offset:         64
        .size:           4
        .value_kind:     by_value
      - .offset:         68
        .size:           4
        .value_kind:     by_value
      - .offset:         72
        .size:           4
        .value_kind:     by_value
      - .offset:         76
        .size:           4
        .value_kind:     by_value
      - .offset:         80
        .size:           4
        .value_kind:     by_value
      - .offset:         84
        .size:           4
        .value_kind:     by_value
      - .offset:         88
        .size:           4
        .value_kind:     by_value
      - .offset:         92
        .size:           4
        .value_kind:     by_value
      - .offset:         96
        .size:           4
        .value_kind:     hidden_block_count_x
      - .offset:         100
        .size:           4
        .value_kind:     hidden_block_count_y
      - .offset:         104
        .size:           4
        .value_kind:     hidden_block_count_z
      - .offset:         108
        .size:           2
        .value_kind:     hidden_group_size_x
      - .offset:         110
        .size:           2
        .value_kind:     hidden_group_size_y
      - .offset:         112
        .size:           2
        .value_kind:     hidden_group_size_z
      - .offset:         114
        .size:           2
        .value_kind:     hidden_remainder_x
      - .offset:         116
        .size:           2
        .value_kind:     hidden_remainder_y
      - .offset:         118
        .size:           2
        .value_kind:     hidden_remainder_z
      - .offset:         136
        .size:           8
        .value_kind:     hidden_global_offset_x
      - .offset:         144
        .size:           8
        .value_kind:     hidden_global_offset_y
      - .offset:         152
        .size:           8
        .value_kind:     hidden_global_offset_z
      - .offset:         160
        .size:           2
        .value_kind:     hidden_grid_dims
      - .offset:         176
        .size:           8
        .value_kind:     hidden_hostcall_buffer
    .group_segment_fixed_size: 0
    .kernarg_segment_align: 8
    .kernarg_segment_size: 352
    .language:       OpenCL C
    .language_version:
      - 2
      - 0
    .max_flat_workgroup_size: 128
    .name:           _ZL9mul_mat_fIfLi32ELi13ELi2ELb1EEvPKT_PKfPKiPfiiiiiiiiiiiiiiii
    .private_segment_fixed_size: 16
    .sgpr_count:     40
    .sgpr_spill_count: 0
    .symbol:         _ZL9mul_mat_fIfLi32ELi13ELi2ELb1EEvPKT_PKfPKiPfiiiiiiiiiiiiiiii.kd
    .uniform_work_group_size: 1
    .uses_dynamic_stack: false
    .vgpr_count:     38
    .vgpr_spill_count: 0
    .wavefront_size: 64
  - .agpr_count:     0
    .args:
      - .actual_access:  read_only
        .address_space:  global
        .offset:         0
        .size:           8
        .value_kind:     global_buffer
      - .actual_access:  read_only
        .address_space:  global
        .offset:         8
        .size:           8
        .value_kind:     global_buffer
      - .actual_access:  read_only
        .address_space:  global
        .offset:         16
        .size:           8
        .value_kind:     global_buffer
      - .actual_access:  read_only
        .address_space:  global
        .offset:         24
        .size:           8
        .value_kind:     global_buffer
      - .offset:         32
        .size:           4
        .value_kind:     by_value
      - .offset:         36
        .size:           4
        .value_kind:     by_value
      - .offset:         40
        .size:           4
        .value_kind:     by_value
      - .offset:         44
        .size:           4
        .value_kind:     by_value
      - .offset:         48
        .size:           4
        .value_kind:     by_value
      - .offset:         52
        .size:           4
        .value_kind:     by_value
      - .offset:         56
        .size:           4
        .value_kind:     by_value
      - .offset:         60
        .size:           4
        .value_kind:     by_value
      - .offset:         64
        .size:           4
        .value_kind:     by_value
      - .offset:         68
        .size:           4
        .value_kind:     by_value
      - .offset:         72
        .size:           4
        .value_kind:     by_value
      - .offset:         76
        .size:           4
        .value_kind:     by_value
      - .offset:         80
        .size:           4
        .value_kind:     by_value
      - .offset:         84
        .size:           4
        .value_kind:     by_value
      - .offset:         88
        .size:           4
        .value_kind:     by_value
      - .offset:         92
        .size:           4
        .value_kind:     by_value
      - .offset:         96
        .size:           4
        .value_kind:     hidden_block_count_x
      - .offset:         100
        .size:           4
        .value_kind:     hidden_block_count_y
      - .offset:         104
        .size:           4
        .value_kind:     hidden_block_count_z
      - .offset:         108
        .size:           2
        .value_kind:     hidden_group_size_x
      - .offset:         110
        .size:           2
        .value_kind:     hidden_group_size_y
      - .offset:         112
        .size:           2
        .value_kind:     hidden_group_size_z
      - .offset:         114
        .size:           2
        .value_kind:     hidden_remainder_x
      - .offset:         116
        .size:           2
        .value_kind:     hidden_remainder_y
      - .offset:         118
        .size:           2
        .value_kind:     hidden_remainder_z
      - .offset:         136
        .size:           8
        .value_kind:     hidden_global_offset_x
      - .offset:         144
        .size:           8
        .value_kind:     hidden_global_offset_y
      - .offset:         152
        .size:           8
        .value_kind:     hidden_global_offset_z
      - .offset:         160
        .size:           2
        .value_kind:     hidden_grid_dims
      - .offset:         176
        .size:           8
        .value_kind:     hidden_hostcall_buffer
    .group_segment_fixed_size: 0
    .kernarg_segment_align: 8
    .kernarg_segment_size: 352
    .language:       OpenCL C
    .language_version:
      - 2
      - 0
    .max_flat_workgroup_size: 128
    .name:           _ZL9mul_mat_fIfLi32ELi13ELi2ELb0EEvPKT_PKfPKiPfiiiiiiiiiiiiiiii
    .private_segment_fixed_size: 16
    .sgpr_count:     40
    .sgpr_spill_count: 0
    .symbol:         _ZL9mul_mat_fIfLi32ELi13ELi2ELb0EEvPKT_PKfPKiPfiiiiiiiiiiiiiiii.kd
    .uniform_work_group_size: 1
    .uses_dynamic_stack: false
    .vgpr_count:     38
    .vgpr_spill_count: 0
    .wavefront_size: 64
  - .agpr_count:     0
    .args:
      - .actual_access:  read_only
        .address_space:  global
        .offset:         0
        .size:           8
        .value_kind:     global_buffer
      - .actual_access:  read_only
        .address_space:  global
        .offset:         8
        .size:           8
        .value_kind:     global_buffer
      - .actual_access:  read_only
        .address_space:  global
        .offset:         16
        .size:           8
        .value_kind:     global_buffer
      - .actual_access:  read_only
        .address_space:  global
        .offset:         24
        .size:           8
        .value_kind:     global_buffer
      - .actual_access:  read_only
        .address_space:  global
        .offset:         32
        .size:           8
        .value_kind:     global_buffer
      - .actual_access:  read_only
        .address_space:  global
        .offset:         40
        .size:           8
        .value_kind:     global_buffer
      - .offset:         48
        .size:           4
        .value_kind:     by_value
      - .offset:         52
        .size:           4
        .value_kind:     by_value
      - .offset:         56
        .size:           4
        .value_kind:     by_value
      - .offset:         60
        .size:           4
        .value_kind:     by_value
      - .offset:         64
        .size:           4
        .value_kind:     by_value
      - .offset:         68
        .size:           4
        .value_kind:     by_value
      - .offset:         72
        .size:           4
        .value_kind:     by_value
      - .offset:         76
        .size:           4
        .value_kind:     by_value
      - .offset:         80
        .size:           4
        .value_kind:     by_value
      - .offset:         84
        .size:           4
        .value_kind:     by_value
      - .offset:         88
        .size:           4
        .value_kind:     by_value
      - .offset:         92
        .size:           4
        .value_kind:     by_value
      - .offset:         96
        .size:           4
        .value_kind:     by_value
      - .offset:         100
        .size:           4
        .value_kind:     by_value
      - .offset:         104
        .size:           12
        .value_kind:     by_value
      - .offset:         116
        .size:           12
        .value_kind:     by_value
      - .offset:         128
        .size:           4
        .value_kind:     hidden_block_count_x
      - .offset:         132
        .size:           4
        .value_kind:     hidden_block_count_y
      - .offset:         136
        .size:           4
        .value_kind:     hidden_block_count_z
      - .offset:         140
        .size:           2
        .value_kind:     hidden_group_size_x
      - .offset:         142
        .size:           2
        .value_kind:     hidden_group_size_y
      - .offset:         144
        .size:           2
        .value_kind:     hidden_group_size_z
      - .offset:         146
        .size:           2
        .value_kind:     hidden_remainder_x
      - .offset:         148
        .size:           2
        .value_kind:     hidden_remainder_y
      - .offset:         150
        .size:           2
        .value_kind:     hidden_remainder_z
      - .offset:         168
        .size:           8
        .value_kind:     hidden_global_offset_x
      - .offset:         176
        .size:           8
        .value_kind:     hidden_global_offset_y
      - .offset:         184
        .size:           8
        .value_kind:     hidden_global_offset_z
      - .offset:         192
        .size:           2
        .value_kind:     hidden_grid_dims
      - .offset:         208
        .size:           8
        .value_kind:     hidden_hostcall_buffer
    .group_segment_fixed_size: 0
    .kernarg_segment_align: 8
    .kernarg_segment_size: 384
    .language:       OpenCL C
    .language_version:
      - 2
      - 0
    .max_flat_workgroup_size: 192
    .name:           _ZL13mul_mat_f_idsIfLi32ELi13ELi3EEvPKT_PKfPKiS6_S6_Pfiiiiiiiiiiiiii15HIP_vector_typeIjLj3EES9_
    .private_segment_fixed_size: 16
    .sgpr_count:     40
    .sgpr_spill_count: 0
    .symbol:         _ZL13mul_mat_f_idsIfLi32ELi13ELi3EEvPKT_PKfPKiS6_S6_Pfiiiiiiiiiiiiii15HIP_vector_typeIjLj3EES9_.kd
    .uniform_work_group_size: 1
    .uses_dynamic_stack: false
    .vgpr_count:     38
    .vgpr_spill_count: 0
    .wavefront_size: 64
  - .agpr_count:     0
    .args:
      - .actual_access:  read_only
        .address_space:  global
        .offset:         0
        .size:           8
        .value_kind:     global_buffer
      - .actual_access:  read_only
        .address_space:  global
        .offset:         8
        .size:           8
        .value_kind:     global_buffer
      - .actual_access:  read_only
        .address_space:  global
        .offset:         16
        .size:           8
        .value_kind:     global_buffer
      - .actual_access:  read_only
        .address_space:  global
        .offset:         24
        .size:           8
        .value_kind:     global_buffer
      - .offset:         32
        .size:           4
        .value_kind:     by_value
      - .offset:         36
        .size:           4
        .value_kind:     by_value
      - .offset:         40
        .size:           4
        .value_kind:     by_value
      - .offset:         44
        .size:           4
        .value_kind:     by_value
      - .offset:         48
        .size:           4
        .value_kind:     by_value
      - .offset:         52
        .size:           4
        .value_kind:     by_value
      - .offset:         56
        .size:           4
        .value_kind:     by_value
      - .offset:         60
        .size:           4
        .value_kind:     by_value
      - .offset:         64
        .size:           4
        .value_kind:     by_value
      - .offset:         68
        .size:           4
        .value_kind:     by_value
      - .offset:         72
        .size:           4
        .value_kind:     by_value
      - .offset:         76
        .size:           4
        .value_kind:     by_value
      - .offset:         80
        .size:           4
        .value_kind:     by_value
      - .offset:         84
        .size:           4
        .value_kind:     by_value
      - .offset:         88
        .size:           4
        .value_kind:     by_value
      - .offset:         92
        .size:           4
        .value_kind:     by_value
      - .offset:         96
        .size:           4
        .value_kind:     hidden_block_count_x
      - .offset:         100
        .size:           4
        .value_kind:     hidden_block_count_y
      - .offset:         104
        .size:           4
        .value_kind:     hidden_block_count_z
      - .offset:         108
        .size:           2
        .value_kind:     hidden_group_size_x
      - .offset:         110
        .size:           2
        .value_kind:     hidden_group_size_y
      - .offset:         112
        .size:           2
        .value_kind:     hidden_group_size_z
      - .offset:         114
        .size:           2
        .value_kind:     hidden_remainder_x
      - .offset:         116
        .size:           2
        .value_kind:     hidden_remainder_y
      - .offset:         118
        .size:           2
        .value_kind:     hidden_remainder_z
      - .offset:         136
        .size:           8
        .value_kind:     hidden_global_offset_x
      - .offset:         144
        .size:           8
        .value_kind:     hidden_global_offset_y
      - .offset:         152
        .size:           8
        .value_kind:     hidden_global_offset_z
      - .offset:         160
        .size:           2
        .value_kind:     hidden_grid_dims
      - .offset:         176
        .size:           8
        .value_kind:     hidden_hostcall_buffer
    .group_segment_fixed_size: 0
    .kernarg_segment_align: 8
    .kernarg_segment_size: 352
    .language:       OpenCL C
    .language_version:
      - 2
      - 0
    .max_flat_workgroup_size: 192
    .name:           _ZL9mul_mat_fIfLi32ELi13ELi3ELb1EEvPKT_PKfPKiPfiiiiiiiiiiiiiiii
    .private_segment_fixed_size: 16
    .sgpr_count:     40
    .sgpr_spill_count: 0
    .symbol:         _ZL9mul_mat_fIfLi32ELi13ELi3ELb1EEvPKT_PKfPKiPfiiiiiiiiiiiiiiii.kd
    .uniform_work_group_size: 1
    .uses_dynamic_stack: false
    .vgpr_count:     38
    .vgpr_spill_count: 0
    .wavefront_size: 64
  - .agpr_count:     0
    .args:
      - .actual_access:  read_only
        .address_space:  global
        .offset:         0
        .size:           8
        .value_kind:     global_buffer
      - .actual_access:  read_only
        .address_space:  global
        .offset:         8
        .size:           8
        .value_kind:     global_buffer
      - .actual_access:  read_only
        .address_space:  global
        .offset:         16
        .size:           8
        .value_kind:     global_buffer
      - .actual_access:  read_only
        .address_space:  global
        .offset:         24
        .size:           8
        .value_kind:     global_buffer
      - .offset:         32
        .size:           4
        .value_kind:     by_value
      - .offset:         36
        .size:           4
        .value_kind:     by_value
      - .offset:         40
        .size:           4
        .value_kind:     by_value
      - .offset:         44
        .size:           4
        .value_kind:     by_value
      - .offset:         48
        .size:           4
        .value_kind:     by_value
      - .offset:         52
        .size:           4
        .value_kind:     by_value
      - .offset:         56
        .size:           4
        .value_kind:     by_value
      - .offset:         60
        .size:           4
        .value_kind:     by_value
      - .offset:         64
        .size:           4
        .value_kind:     by_value
      - .offset:         68
        .size:           4
        .value_kind:     by_value
      - .offset:         72
        .size:           4
        .value_kind:     by_value
      - .offset:         76
        .size:           4
        .value_kind:     by_value
      - .offset:         80
        .size:           4
        .value_kind:     by_value
      - .offset:         84
        .size:           4
        .value_kind:     by_value
      - .offset:         88
        .size:           4
        .value_kind:     by_value
      - .offset:         92
        .size:           4
        .value_kind:     by_value
      - .offset:         96
        .size:           4
        .value_kind:     hidden_block_count_x
      - .offset:         100
        .size:           4
        .value_kind:     hidden_block_count_y
      - .offset:         104
        .size:           4
        .value_kind:     hidden_block_count_z
      - .offset:         108
        .size:           2
        .value_kind:     hidden_group_size_x
      - .offset:         110
        .size:           2
        .value_kind:     hidden_group_size_y
      - .offset:         112
        .size:           2
        .value_kind:     hidden_group_size_z
      - .offset:         114
        .size:           2
        .value_kind:     hidden_remainder_x
      - .offset:         116
        .size:           2
        .value_kind:     hidden_remainder_y
      - .offset:         118
        .size:           2
        .value_kind:     hidden_remainder_z
      - .offset:         136
        .size:           8
        .value_kind:     hidden_global_offset_x
      - .offset:         144
        .size:           8
        .value_kind:     hidden_global_offset_y
      - .offset:         152
        .size:           8
        .value_kind:     hidden_global_offset_z
      - .offset:         160
        .size:           2
        .value_kind:     hidden_grid_dims
      - .offset:         176
        .size:           8
        .value_kind:     hidden_hostcall_buffer
    .group_segment_fixed_size: 0
    .kernarg_segment_align: 8
    .kernarg_segment_size: 352
    .language:       OpenCL C
    .language_version:
      - 2
      - 0
    .max_flat_workgroup_size: 192
    .name:           _ZL9mul_mat_fIfLi32ELi13ELi3ELb0EEvPKT_PKfPKiPfiiiiiiiiiiiiiiii
    .private_segment_fixed_size: 16
    .sgpr_count:     40
    .sgpr_spill_count: 0
    .symbol:         _ZL9mul_mat_fIfLi32ELi13ELi3ELb0EEvPKT_PKfPKiPfiiiiiiiiiiiiiiii.kd
    .uniform_work_group_size: 1
    .uses_dynamic_stack: false
    .vgpr_count:     38
    .vgpr_spill_count: 0
    .wavefront_size: 64
  - .agpr_count:     0
    .args:
      - .actual_access:  read_only
        .address_space:  global
        .offset:         0
        .size:           8
        .value_kind:     global_buffer
      - .actual_access:  read_only
        .address_space:  global
        .offset:         8
        .size:           8
        .value_kind:     global_buffer
      - .actual_access:  read_only
        .address_space:  global
        .offset:         16
        .size:           8
        .value_kind:     global_buffer
      - .actual_access:  read_only
        .address_space:  global
        .offset:         24
        .size:           8
        .value_kind:     global_buffer
      - .actual_access:  read_only
        .address_space:  global
        .offset:         32
        .size:           8
        .value_kind:     global_buffer
      - .actual_access:  read_only
        .address_space:  global
        .offset:         40
        .size:           8
        .value_kind:     global_buffer
      - .offset:         48
        .size:           4
        .value_kind:     by_value
      - .offset:         52
        .size:           4
        .value_kind:     by_value
      - .offset:         56
        .size:           4
        .value_kind:     by_value
      - .offset:         60
        .size:           4
        .value_kind:     by_value
      - .offset:         64
        .size:           4
        .value_kind:     by_value
      - .offset:         68
        .size:           4
        .value_kind:     by_value
      - .offset:         72
        .size:           4
        .value_kind:     by_value
      - .offset:         76
        .size:           4
        .value_kind:     by_value
      - .offset:         80
        .size:           4
        .value_kind:     by_value
      - .offset:         84
        .size:           4
        .value_kind:     by_value
      - .offset:         88
        .size:           4
        .value_kind:     by_value
      - .offset:         92
        .size:           4
        .value_kind:     by_value
      - .offset:         96
        .size:           4
        .value_kind:     by_value
      - .offset:         100
        .size:           4
        .value_kind:     by_value
      - .offset:         104
        .size:           12
        .value_kind:     by_value
      - .offset:         116
        .size:           12
        .value_kind:     by_value
      - .offset:         128
        .size:           4
        .value_kind:     hidden_block_count_x
      - .offset:         132
        .size:           4
        .value_kind:     hidden_block_count_y
      - .offset:         136
        .size:           4
        .value_kind:     hidden_block_count_z
      - .offset:         140
        .size:           2
        .value_kind:     hidden_group_size_x
      - .offset:         142
        .size:           2
        .value_kind:     hidden_group_size_y
      - .offset:         144
        .size:           2
        .value_kind:     hidden_group_size_z
      - .offset:         146
        .size:           2
        .value_kind:     hidden_remainder_x
      - .offset:         148
        .size:           2
        .value_kind:     hidden_remainder_y
      - .offset:         150
        .size:           2
        .value_kind:     hidden_remainder_z
      - .offset:         168
        .size:           8
        .value_kind:     hidden_global_offset_x
      - .offset:         176
        .size:           8
        .value_kind:     hidden_global_offset_y
      - .offset:         184
        .size:           8
        .value_kind:     hidden_global_offset_z
      - .offset:         192
        .size:           2
        .value_kind:     hidden_grid_dims
      - .offset:         208
        .size:           8
        .value_kind:     hidden_hostcall_buffer
    .group_segment_fixed_size: 0
    .kernarg_segment_align: 8
    .kernarg_segment_size: 384
    .language:       OpenCL C
    .language_version:
      - 2
      - 0
    .max_flat_workgroup_size: 256
    .name:           _ZL13mul_mat_f_idsIfLi32ELi13ELi4EEvPKT_PKfPKiS6_S6_Pfiiiiiiiiiiiiii15HIP_vector_typeIjLj3EES9_
    .private_segment_fixed_size: 16
    .sgpr_count:     40
    .sgpr_spill_count: 0
    .symbol:         _ZL13mul_mat_f_idsIfLi32ELi13ELi4EEvPKT_PKfPKiS6_S6_Pfiiiiiiiiiiiiii15HIP_vector_typeIjLj3EES9_.kd
    .uniform_work_group_size: 1
    .uses_dynamic_stack: false
    .vgpr_count:     38
    .vgpr_spill_count: 0
    .wavefront_size: 64
  - .agpr_count:     0
    .args:
      - .actual_access:  read_only
        .address_space:  global
        .offset:         0
        .size:           8
        .value_kind:     global_buffer
      - .actual_access:  read_only
        .address_space:  global
        .offset:         8
        .size:           8
        .value_kind:     global_buffer
      - .actual_access:  read_only
        .address_space:  global
        .offset:         16
        .size:           8
        .value_kind:     global_buffer
      - .actual_access:  read_only
        .address_space:  global
        .offset:         24
        .size:           8
        .value_kind:     global_buffer
      - .offset:         32
        .size:           4
        .value_kind:     by_value
      - .offset:         36
        .size:           4
        .value_kind:     by_value
      - .offset:         40
        .size:           4
        .value_kind:     by_value
      - .offset:         44
        .size:           4
        .value_kind:     by_value
      - .offset:         48
        .size:           4
        .value_kind:     by_value
      - .offset:         52
        .size:           4
        .value_kind:     by_value
      - .offset:         56
        .size:           4
        .value_kind:     by_value
      - .offset:         60
        .size:           4
        .value_kind:     by_value
      - .offset:         64
        .size:           4
        .value_kind:     by_value
      - .offset:         68
        .size:           4
        .value_kind:     by_value
      - .offset:         72
        .size:           4
        .value_kind:     by_value
      - .offset:         76
        .size:           4
        .value_kind:     by_value
      - .offset:         80
        .size:           4
        .value_kind:     by_value
      - .offset:         84
        .size:           4
        .value_kind:     by_value
      - .offset:         88
        .size:           4
        .value_kind:     by_value
      - .offset:         92
        .size:           4
        .value_kind:     by_value
      - .offset:         96
        .size:           4
        .value_kind:     hidden_block_count_x
      - .offset:         100
        .size:           4
        .value_kind:     hidden_block_count_y
      - .offset:         104
        .size:           4
        .value_kind:     hidden_block_count_z
      - .offset:         108
        .size:           2
        .value_kind:     hidden_group_size_x
      - .offset:         110
        .size:           2
        .value_kind:     hidden_group_size_y
      - .offset:         112
        .size:           2
        .value_kind:     hidden_group_size_z
      - .offset:         114
        .size:           2
        .value_kind:     hidden_remainder_x
      - .offset:         116
        .size:           2
        .value_kind:     hidden_remainder_y
      - .offset:         118
        .size:           2
        .value_kind:     hidden_remainder_z
      - .offset:         136
        .size:           8
        .value_kind:     hidden_global_offset_x
      - .offset:         144
        .size:           8
        .value_kind:     hidden_global_offset_y
      - .offset:         152
        .size:           8
        .value_kind:     hidden_global_offset_z
      - .offset:         160
        .size:           2
        .value_kind:     hidden_grid_dims
      - .offset:         176
        .size:           8
        .value_kind:     hidden_hostcall_buffer
    .group_segment_fixed_size: 0
    .kernarg_segment_align: 8
    .kernarg_segment_size: 352
    .language:       OpenCL C
    .language_version:
      - 2
      - 0
    .max_flat_workgroup_size: 256
    .name:           _ZL9mul_mat_fIfLi32ELi13ELi4ELb1EEvPKT_PKfPKiPfiiiiiiiiiiiiiiii
    .private_segment_fixed_size: 16
    .sgpr_count:     40
    .sgpr_spill_count: 0
    .symbol:         _ZL9mul_mat_fIfLi32ELi13ELi4ELb1EEvPKT_PKfPKiPfiiiiiiiiiiiiiiii.kd
    .uniform_work_group_size: 1
    .uses_dynamic_stack: false
    .vgpr_count:     38
    .vgpr_spill_count: 0
    .wavefront_size: 64
  - .agpr_count:     0
    .args:
      - .actual_access:  read_only
        .address_space:  global
        .offset:         0
        .size:           8
        .value_kind:     global_buffer
      - .actual_access:  read_only
        .address_space:  global
        .offset:         8
        .size:           8
        .value_kind:     global_buffer
      - .actual_access:  read_only
        .address_space:  global
        .offset:         16
        .size:           8
        .value_kind:     global_buffer
      - .actual_access:  read_only
        .address_space:  global
        .offset:         24
        .size:           8
        .value_kind:     global_buffer
      - .offset:         32
        .size:           4
        .value_kind:     by_value
      - .offset:         36
        .size:           4
        .value_kind:     by_value
      - .offset:         40
        .size:           4
        .value_kind:     by_value
      - .offset:         44
        .size:           4
        .value_kind:     by_value
      - .offset:         48
        .size:           4
        .value_kind:     by_value
      - .offset:         52
        .size:           4
        .value_kind:     by_value
      - .offset:         56
        .size:           4
        .value_kind:     by_value
      - .offset:         60
        .size:           4
        .value_kind:     by_value
      - .offset:         64
        .size:           4
        .value_kind:     by_value
      - .offset:         68
        .size:           4
        .value_kind:     by_value
      - .offset:         72
        .size:           4
        .value_kind:     by_value
      - .offset:         76
        .size:           4
        .value_kind:     by_value
      - .offset:         80
        .size:           4
        .value_kind:     by_value
      - .offset:         84
        .size:           4
        .value_kind:     by_value
      - .offset:         88
        .size:           4
        .value_kind:     by_value
      - .offset:         92
        .size:           4
        .value_kind:     by_value
      - .offset:         96
        .size:           4
        .value_kind:     hidden_block_count_x
      - .offset:         100
        .size:           4
        .value_kind:     hidden_block_count_y
      - .offset:         104
        .size:           4
        .value_kind:     hidden_block_count_z
      - .offset:         108
        .size:           2
        .value_kind:     hidden_group_size_x
      - .offset:         110
        .size:           2
        .value_kind:     hidden_group_size_y
      - .offset:         112
        .size:           2
        .value_kind:     hidden_group_size_z
      - .offset:         114
        .size:           2
        .value_kind:     hidden_remainder_x
      - .offset:         116
        .size:           2
        .value_kind:     hidden_remainder_y
      - .offset:         118
        .size:           2
        .value_kind:     hidden_remainder_z
      - .offset:         136
        .size:           8
        .value_kind:     hidden_global_offset_x
      - .offset:         144
        .size:           8
        .value_kind:     hidden_global_offset_y
      - .offset:         152
        .size:           8
        .value_kind:     hidden_global_offset_z
      - .offset:         160
        .size:           2
        .value_kind:     hidden_grid_dims
      - .offset:         176
        .size:           8
        .value_kind:     hidden_hostcall_buffer
    .group_segment_fixed_size: 0
    .kernarg_segment_align: 8
    .kernarg_segment_size: 352
    .language:       OpenCL C
    .language_version:
      - 2
      - 0
    .max_flat_workgroup_size: 256
    .name:           _ZL9mul_mat_fIfLi32ELi13ELi4ELb0EEvPKT_PKfPKiPfiiiiiiiiiiiiiiii
    .private_segment_fixed_size: 16
    .sgpr_count:     40
    .sgpr_spill_count: 0
    .symbol:         _ZL9mul_mat_fIfLi32ELi13ELi4ELb0EEvPKT_PKfPKiPfiiiiiiiiiiiiiiii.kd
    .uniform_work_group_size: 1
    .uses_dynamic_stack: false
    .vgpr_count:     38
    .vgpr_spill_count: 0
    .wavefront_size: 64
  - .agpr_count:     0
    .args:
      - .actual_access:  read_only
        .address_space:  global
        .offset:         0
        .size:           8
        .value_kind:     global_buffer
      - .actual_access:  read_only
        .address_space:  global
        .offset:         8
        .size:           8
        .value_kind:     global_buffer
      - .actual_access:  read_only
        .address_space:  global
        .offset:         16
        .size:           8
        .value_kind:     global_buffer
      - .actual_access:  read_only
        .address_space:  global
        .offset:         24
        .size:           8
        .value_kind:     global_buffer
      - .actual_access:  read_only
        .address_space:  global
        .offset:         32
        .size:           8
        .value_kind:     global_buffer
      - .actual_access:  read_only
        .address_space:  global
        .offset:         40
        .size:           8
        .value_kind:     global_buffer
      - .offset:         48
        .size:           4
        .value_kind:     by_value
      - .offset:         52
        .size:           4
        .value_kind:     by_value
      - .offset:         56
        .size:           4
        .value_kind:     by_value
      - .offset:         60
        .size:           4
        .value_kind:     by_value
      - .offset:         64
        .size:           4
        .value_kind:     by_value
      - .offset:         68
        .size:           4
        .value_kind:     by_value
      - .offset:         72
        .size:           4
        .value_kind:     by_value
      - .offset:         76
        .size:           4
        .value_kind:     by_value
      - .offset:         80
        .size:           4
        .value_kind:     by_value
      - .offset:         84
        .size:           4
        .value_kind:     by_value
      - .offset:         88
        .size:           4
        .value_kind:     by_value
      - .offset:         92
        .size:           4
        .value_kind:     by_value
      - .offset:         96
        .size:           4
        .value_kind:     by_value
      - .offset:         100
        .size:           4
        .value_kind:     by_value
      - .offset:         104
        .size:           12
        .value_kind:     by_value
      - .offset:         116
        .size:           12
        .value_kind:     by_value
      - .offset:         128
        .size:           4
        .value_kind:     hidden_block_count_x
      - .offset:         132
        .size:           4
        .value_kind:     hidden_block_count_y
      - .offset:         136
        .size:           4
        .value_kind:     hidden_block_count_z
      - .offset:         140
        .size:           2
        .value_kind:     hidden_group_size_x
      - .offset:         142
        .size:           2
        .value_kind:     hidden_group_size_y
      - .offset:         144
        .size:           2
        .value_kind:     hidden_group_size_z
      - .offset:         146
        .size:           2
        .value_kind:     hidden_remainder_x
      - .offset:         148
        .size:           2
        .value_kind:     hidden_remainder_y
      - .offset:         150
        .size:           2
        .value_kind:     hidden_remainder_z
      - .offset:         168
        .size:           8
        .value_kind:     hidden_global_offset_x
      - .offset:         176
        .size:           8
        .value_kind:     hidden_global_offset_y
      - .offset:         184
        .size:           8
        .value_kind:     hidden_global_offset_z
      - .offset:         192
        .size:           2
        .value_kind:     hidden_grid_dims
      - .offset:         208
        .size:           8
        .value_kind:     hidden_hostcall_buffer
    .group_segment_fixed_size: 0
    .kernarg_segment_align: 8
    .kernarg_segment_size: 384
    .language:       OpenCL C
    .language_version:
      - 2
      - 0
    .max_flat_workgroup_size: 320
    .name:           _ZL13mul_mat_f_idsIfLi32ELi13ELi5EEvPKT_PKfPKiS6_S6_Pfiiiiiiiiiiiiii15HIP_vector_typeIjLj3EES9_
    .private_segment_fixed_size: 16
    .sgpr_count:     40
    .sgpr_spill_count: 0
    .symbol:         _ZL13mul_mat_f_idsIfLi32ELi13ELi5EEvPKT_PKfPKiS6_S6_Pfiiiiiiiiiiiiii15HIP_vector_typeIjLj3EES9_.kd
    .uniform_work_group_size: 1
    .uses_dynamic_stack: false
    .vgpr_count:     38
    .vgpr_spill_count: 0
    .wavefront_size: 64
  - .agpr_count:     0
    .args:
      - .actual_access:  read_only
        .address_space:  global
        .offset:         0
        .size:           8
        .value_kind:     global_buffer
      - .actual_access:  read_only
        .address_space:  global
        .offset:         8
        .size:           8
        .value_kind:     global_buffer
      - .actual_access:  read_only
        .address_space:  global
        .offset:         16
        .size:           8
        .value_kind:     global_buffer
      - .actual_access:  read_only
        .address_space:  global
        .offset:         24
        .size:           8
        .value_kind:     global_buffer
      - .offset:         32
        .size:           4
        .value_kind:     by_value
      - .offset:         36
        .size:           4
        .value_kind:     by_value
      - .offset:         40
        .size:           4
        .value_kind:     by_value
      - .offset:         44
        .size:           4
        .value_kind:     by_value
      - .offset:         48
        .size:           4
        .value_kind:     by_value
      - .offset:         52
        .size:           4
        .value_kind:     by_value
      - .offset:         56
        .size:           4
        .value_kind:     by_value
      - .offset:         60
        .size:           4
        .value_kind:     by_value
      - .offset:         64
        .size:           4
        .value_kind:     by_value
      - .offset:         68
        .size:           4
        .value_kind:     by_value
      - .offset:         72
        .size:           4
        .value_kind:     by_value
      - .offset:         76
        .size:           4
        .value_kind:     by_value
      - .offset:         80
        .size:           4
        .value_kind:     by_value
      - .offset:         84
        .size:           4
        .value_kind:     by_value
      - .offset:         88
        .size:           4
        .value_kind:     by_value
      - .offset:         92
        .size:           4
        .value_kind:     by_value
      - .offset:         96
        .size:           4
        .value_kind:     hidden_block_count_x
      - .offset:         100
        .size:           4
        .value_kind:     hidden_block_count_y
      - .offset:         104
        .size:           4
        .value_kind:     hidden_block_count_z
      - .offset:         108
        .size:           2
        .value_kind:     hidden_group_size_x
      - .offset:         110
        .size:           2
        .value_kind:     hidden_group_size_y
      - .offset:         112
        .size:           2
        .value_kind:     hidden_group_size_z
      - .offset:         114
        .size:           2
        .value_kind:     hidden_remainder_x
      - .offset:         116
        .size:           2
        .value_kind:     hidden_remainder_y
      - .offset:         118
        .size:           2
        .value_kind:     hidden_remainder_z
      - .offset:         136
        .size:           8
        .value_kind:     hidden_global_offset_x
      - .offset:         144
        .size:           8
        .value_kind:     hidden_global_offset_y
      - .offset:         152
        .size:           8
        .value_kind:     hidden_global_offset_z
      - .offset:         160
        .size:           2
        .value_kind:     hidden_grid_dims
      - .offset:         176
        .size:           8
        .value_kind:     hidden_hostcall_buffer
    .group_segment_fixed_size: 0
    .kernarg_segment_align: 8
    .kernarg_segment_size: 352
    .language:       OpenCL C
    .language_version:
      - 2
      - 0
    .max_flat_workgroup_size: 320
    .name:           _ZL9mul_mat_fIfLi32ELi13ELi5ELb1EEvPKT_PKfPKiPfiiiiiiiiiiiiiiii
    .private_segment_fixed_size: 16
    .sgpr_count:     40
    .sgpr_spill_count: 0
    .symbol:         _ZL9mul_mat_fIfLi32ELi13ELi5ELb1EEvPKT_PKfPKiPfiiiiiiiiiiiiiiii.kd
    .uniform_work_group_size: 1
    .uses_dynamic_stack: false
    .vgpr_count:     38
    .vgpr_spill_count: 0
    .wavefront_size: 64
  - .agpr_count:     0
    .args:
      - .actual_access:  read_only
        .address_space:  global
        .offset:         0
        .size:           8
        .value_kind:     global_buffer
      - .actual_access:  read_only
        .address_space:  global
        .offset:         8
        .size:           8
        .value_kind:     global_buffer
      - .actual_access:  read_only
        .address_space:  global
        .offset:         16
        .size:           8
        .value_kind:     global_buffer
      - .actual_access:  read_only
        .address_space:  global
        .offset:         24
        .size:           8
        .value_kind:     global_buffer
      - .offset:         32
        .size:           4
        .value_kind:     by_value
      - .offset:         36
        .size:           4
        .value_kind:     by_value
      - .offset:         40
        .size:           4
        .value_kind:     by_value
      - .offset:         44
        .size:           4
        .value_kind:     by_value
      - .offset:         48
        .size:           4
        .value_kind:     by_value
      - .offset:         52
        .size:           4
        .value_kind:     by_value
      - .offset:         56
        .size:           4
        .value_kind:     by_value
      - .offset:         60
        .size:           4
        .value_kind:     by_value
      - .offset:         64
        .size:           4
        .value_kind:     by_value
      - .offset:         68
        .size:           4
        .value_kind:     by_value
      - .offset:         72
        .size:           4
        .value_kind:     by_value
      - .offset:         76
        .size:           4
        .value_kind:     by_value
      - .offset:         80
        .size:           4
        .value_kind:     by_value
      - .offset:         84
        .size:           4
        .value_kind:     by_value
      - .offset:         88
        .size:           4
        .value_kind:     by_value
      - .offset:         92
        .size:           4
        .value_kind:     by_value
      - .offset:         96
        .size:           4
        .value_kind:     hidden_block_count_x
      - .offset:         100
        .size:           4
        .value_kind:     hidden_block_count_y
      - .offset:         104
        .size:           4
        .value_kind:     hidden_block_count_z
      - .offset:         108
        .size:           2
        .value_kind:     hidden_group_size_x
      - .offset:         110
        .size:           2
        .value_kind:     hidden_group_size_y
      - .offset:         112
        .size:           2
        .value_kind:     hidden_group_size_z
      - .offset:         114
        .size:           2
        .value_kind:     hidden_remainder_x
      - .offset:         116
        .size:           2
        .value_kind:     hidden_remainder_y
      - .offset:         118
        .size:           2
        .value_kind:     hidden_remainder_z
      - .offset:         136
        .size:           8
        .value_kind:     hidden_global_offset_x
      - .offset:         144
        .size:           8
        .value_kind:     hidden_global_offset_y
      - .offset:         152
        .size:           8
        .value_kind:     hidden_global_offset_z
      - .offset:         160
        .size:           2
        .value_kind:     hidden_grid_dims
      - .offset:         176
        .size:           8
        .value_kind:     hidden_hostcall_buffer
    .group_segment_fixed_size: 0
    .kernarg_segment_align: 8
    .kernarg_segment_size: 352
    .language:       OpenCL C
    .language_version:
      - 2
      - 0
    .max_flat_workgroup_size: 320
    .name:           _ZL9mul_mat_fIfLi32ELi13ELi5ELb0EEvPKT_PKfPKiPfiiiiiiiiiiiiiiii
    .private_segment_fixed_size: 16
    .sgpr_count:     40
    .sgpr_spill_count: 0
    .symbol:         _ZL9mul_mat_fIfLi32ELi13ELi5ELb0EEvPKT_PKfPKiPfiiiiiiiiiiiiiiii.kd
    .uniform_work_group_size: 1
    .uses_dynamic_stack: false
    .vgpr_count:     38
    .vgpr_spill_count: 0
    .wavefront_size: 64
  - .agpr_count:     0
    .args:
      - .actual_access:  read_only
        .address_space:  global
        .offset:         0
        .size:           8
        .value_kind:     global_buffer
      - .actual_access:  read_only
        .address_space:  global
        .offset:         8
        .size:           8
        .value_kind:     global_buffer
      - .actual_access:  read_only
        .address_space:  global
        .offset:         16
        .size:           8
        .value_kind:     global_buffer
      - .actual_access:  read_only
        .address_space:  global
        .offset:         24
        .size:           8
        .value_kind:     global_buffer
      - .actual_access:  read_only
        .address_space:  global
        .offset:         32
        .size:           8
        .value_kind:     global_buffer
      - .actual_access:  read_only
        .address_space:  global
        .offset:         40
        .size:           8
        .value_kind:     global_buffer
      - .offset:         48
        .size:           4
        .value_kind:     by_value
      - .offset:         52
        .size:           4
        .value_kind:     by_value
      - .offset:         56
        .size:           4
        .value_kind:     by_value
      - .offset:         60
        .size:           4
        .value_kind:     by_value
      - .offset:         64
        .size:           4
        .value_kind:     by_value
      - .offset:         68
        .size:           4
        .value_kind:     by_value
      - .offset:         72
        .size:           4
        .value_kind:     by_value
      - .offset:         76
        .size:           4
        .value_kind:     by_value
      - .offset:         80
        .size:           4
        .value_kind:     by_value
      - .offset:         84
        .size:           4
        .value_kind:     by_value
      - .offset:         88
        .size:           4
        .value_kind:     by_value
      - .offset:         92
        .size:           4
        .value_kind:     by_value
      - .offset:         96
        .size:           4
        .value_kind:     by_value
      - .offset:         100
        .size:           4
        .value_kind:     by_value
      - .offset:         104
        .size:           12
        .value_kind:     by_value
      - .offset:         116
        .size:           12
        .value_kind:     by_value
      - .offset:         128
        .size:           4
        .value_kind:     hidden_block_count_x
      - .offset:         132
        .size:           4
        .value_kind:     hidden_block_count_y
      - .offset:         136
        .size:           4
        .value_kind:     hidden_block_count_z
      - .offset:         140
        .size:           2
        .value_kind:     hidden_group_size_x
      - .offset:         142
        .size:           2
        .value_kind:     hidden_group_size_y
      - .offset:         144
        .size:           2
        .value_kind:     hidden_group_size_z
      - .offset:         146
        .size:           2
        .value_kind:     hidden_remainder_x
      - .offset:         148
        .size:           2
        .value_kind:     hidden_remainder_y
      - .offset:         150
        .size:           2
        .value_kind:     hidden_remainder_z
      - .offset:         168
        .size:           8
        .value_kind:     hidden_global_offset_x
      - .offset:         176
        .size:           8
        .value_kind:     hidden_global_offset_y
      - .offset:         184
        .size:           8
        .value_kind:     hidden_global_offset_z
      - .offset:         192
        .size:           2
        .value_kind:     hidden_grid_dims
      - .offset:         208
        .size:           8
        .value_kind:     hidden_hostcall_buffer
    .group_segment_fixed_size: 0
    .kernarg_segment_align: 8
    .kernarg_segment_size: 384
    .language:       OpenCL C
    .language_version:
      - 2
      - 0
    .max_flat_workgroup_size: 384
    .name:           _ZL13mul_mat_f_idsIfLi32ELi13ELi6EEvPKT_PKfPKiS6_S6_Pfiiiiiiiiiiiiii15HIP_vector_typeIjLj3EES9_
    .private_segment_fixed_size: 16
    .sgpr_count:     40
    .sgpr_spill_count: 0
    .symbol:         _ZL13mul_mat_f_idsIfLi32ELi13ELi6EEvPKT_PKfPKiS6_S6_Pfiiiiiiiiiiiiii15HIP_vector_typeIjLj3EES9_.kd
    .uniform_work_group_size: 1
    .uses_dynamic_stack: false
    .vgpr_count:     38
    .vgpr_spill_count: 0
    .wavefront_size: 64
  - .agpr_count:     0
    .args:
      - .actual_access:  read_only
        .address_space:  global
        .offset:         0
        .size:           8
        .value_kind:     global_buffer
      - .actual_access:  read_only
        .address_space:  global
        .offset:         8
        .size:           8
        .value_kind:     global_buffer
      - .actual_access:  read_only
        .address_space:  global
        .offset:         16
        .size:           8
        .value_kind:     global_buffer
      - .actual_access:  read_only
        .address_space:  global
        .offset:         24
        .size:           8
        .value_kind:     global_buffer
      - .offset:         32
        .size:           4
        .value_kind:     by_value
      - .offset:         36
        .size:           4
        .value_kind:     by_value
      - .offset:         40
        .size:           4
        .value_kind:     by_value
      - .offset:         44
        .size:           4
        .value_kind:     by_value
      - .offset:         48
        .size:           4
        .value_kind:     by_value
      - .offset:         52
        .size:           4
        .value_kind:     by_value
      - .offset:         56
        .size:           4
        .value_kind:     by_value
      - .offset:         60
        .size:           4
        .value_kind:     by_value
      - .offset:         64
        .size:           4
        .value_kind:     by_value
      - .offset:         68
        .size:           4
        .value_kind:     by_value
      - .offset:         72
        .size:           4
        .value_kind:     by_value
      - .offset:         76
        .size:           4
        .value_kind:     by_value
      - .offset:         80
        .size:           4
        .value_kind:     by_value
      - .offset:         84
        .size:           4
        .value_kind:     by_value
      - .offset:         88
        .size:           4
        .value_kind:     by_value
      - .offset:         92
        .size:           4
        .value_kind:     by_value
      - .offset:         96
        .size:           4
        .value_kind:     hidden_block_count_x
      - .offset:         100
        .size:           4
        .value_kind:     hidden_block_count_y
      - .offset:         104
        .size:           4
        .value_kind:     hidden_block_count_z
      - .offset:         108
        .size:           2
        .value_kind:     hidden_group_size_x
      - .offset:         110
        .size:           2
        .value_kind:     hidden_group_size_y
      - .offset:         112
        .size:           2
        .value_kind:     hidden_group_size_z
      - .offset:         114
        .size:           2
        .value_kind:     hidden_remainder_x
      - .offset:         116
        .size:           2
        .value_kind:     hidden_remainder_y
      - .offset:         118
        .size:           2
        .value_kind:     hidden_remainder_z
      - .offset:         136
        .size:           8
        .value_kind:     hidden_global_offset_x
      - .offset:         144
        .size:           8
        .value_kind:     hidden_global_offset_y
      - .offset:         152
        .size:           8
        .value_kind:     hidden_global_offset_z
      - .offset:         160
        .size:           2
        .value_kind:     hidden_grid_dims
      - .offset:         176
        .size:           8
        .value_kind:     hidden_hostcall_buffer
    .group_segment_fixed_size: 0
    .kernarg_segment_align: 8
    .kernarg_segment_size: 352
    .language:       OpenCL C
    .language_version:
      - 2
      - 0
    .max_flat_workgroup_size: 384
    .name:           _ZL9mul_mat_fIfLi32ELi13ELi6ELb1EEvPKT_PKfPKiPfiiiiiiiiiiiiiiii
    .private_segment_fixed_size: 16
    .sgpr_count:     40
    .sgpr_spill_count: 0
    .symbol:         _ZL9mul_mat_fIfLi32ELi13ELi6ELb1EEvPKT_PKfPKiPfiiiiiiiiiiiiiiii.kd
    .uniform_work_group_size: 1
    .uses_dynamic_stack: false
    .vgpr_count:     38
    .vgpr_spill_count: 0
    .wavefront_size: 64
  - .agpr_count:     0
    .args:
      - .actual_access:  read_only
        .address_space:  global
        .offset:         0
        .size:           8
        .value_kind:     global_buffer
      - .actual_access:  read_only
        .address_space:  global
        .offset:         8
        .size:           8
        .value_kind:     global_buffer
      - .actual_access:  read_only
        .address_space:  global
        .offset:         16
        .size:           8
        .value_kind:     global_buffer
      - .actual_access:  read_only
        .address_space:  global
        .offset:         24
        .size:           8
        .value_kind:     global_buffer
      - .offset:         32
        .size:           4
        .value_kind:     by_value
      - .offset:         36
        .size:           4
        .value_kind:     by_value
      - .offset:         40
        .size:           4
        .value_kind:     by_value
      - .offset:         44
        .size:           4
        .value_kind:     by_value
      - .offset:         48
        .size:           4
        .value_kind:     by_value
      - .offset:         52
        .size:           4
        .value_kind:     by_value
      - .offset:         56
        .size:           4
        .value_kind:     by_value
      - .offset:         60
        .size:           4
        .value_kind:     by_value
      - .offset:         64
        .size:           4
        .value_kind:     by_value
      - .offset:         68
        .size:           4
        .value_kind:     by_value
      - .offset:         72
        .size:           4
        .value_kind:     by_value
      - .offset:         76
        .size:           4
        .value_kind:     by_value
      - .offset:         80
        .size:           4
        .value_kind:     by_value
      - .offset:         84
        .size:           4
        .value_kind:     by_value
      - .offset:         88
        .size:           4
        .value_kind:     by_value
      - .offset:         92
        .size:           4
        .value_kind:     by_value
      - .offset:         96
        .size:           4
        .value_kind:     hidden_block_count_x
      - .offset:         100
        .size:           4
        .value_kind:     hidden_block_count_y
      - .offset:         104
        .size:           4
        .value_kind:     hidden_block_count_z
      - .offset:         108
        .size:           2
        .value_kind:     hidden_group_size_x
      - .offset:         110
        .size:           2
        .value_kind:     hidden_group_size_y
      - .offset:         112
        .size:           2
        .value_kind:     hidden_group_size_z
      - .offset:         114
        .size:           2
        .value_kind:     hidden_remainder_x
      - .offset:         116
        .size:           2
        .value_kind:     hidden_remainder_y
      - .offset:         118
        .size:           2
        .value_kind:     hidden_remainder_z
      - .offset:         136
        .size:           8
        .value_kind:     hidden_global_offset_x
      - .offset:         144
        .size:           8
        .value_kind:     hidden_global_offset_y
      - .offset:         152
        .size:           8
        .value_kind:     hidden_global_offset_z
      - .offset:         160
        .size:           2
        .value_kind:     hidden_grid_dims
      - .offset:         176
        .size:           8
        .value_kind:     hidden_hostcall_buffer
    .group_segment_fixed_size: 0
    .kernarg_segment_align: 8
    .kernarg_segment_size: 352
    .language:       OpenCL C
    .language_version:
      - 2
      - 0
    .max_flat_workgroup_size: 384
    .name:           _ZL9mul_mat_fIfLi32ELi13ELi6ELb0EEvPKT_PKfPKiPfiiiiiiiiiiiiiiii
    .private_segment_fixed_size: 16
    .sgpr_count:     40
    .sgpr_spill_count: 0
    .symbol:         _ZL9mul_mat_fIfLi32ELi13ELi6ELb0EEvPKT_PKfPKiPfiiiiiiiiiiiiiiii.kd
    .uniform_work_group_size: 1
    .uses_dynamic_stack: false
    .vgpr_count:     38
    .vgpr_spill_count: 0
    .wavefront_size: 64
  - .agpr_count:     0
    .args:
      - .actual_access:  read_only
        .address_space:  global
        .offset:         0
        .size:           8
        .value_kind:     global_buffer
      - .actual_access:  read_only
        .address_space:  global
        .offset:         8
        .size:           8
        .value_kind:     global_buffer
      - .actual_access:  read_only
        .address_space:  global
        .offset:         16
        .size:           8
        .value_kind:     global_buffer
      - .actual_access:  read_only
        .address_space:  global
        .offset:         24
        .size:           8
        .value_kind:     global_buffer
      - .actual_access:  read_only
        .address_space:  global
        .offset:         32
        .size:           8
        .value_kind:     global_buffer
      - .actual_access:  read_only
        .address_space:  global
        .offset:         40
        .size:           8
        .value_kind:     global_buffer
      - .offset:         48
        .size:           4
        .value_kind:     by_value
      - .offset:         52
        .size:           4
        .value_kind:     by_value
      - .offset:         56
        .size:           4
        .value_kind:     by_value
      - .offset:         60
        .size:           4
        .value_kind:     by_value
      - .offset:         64
        .size:           4
        .value_kind:     by_value
      - .offset:         68
        .size:           4
        .value_kind:     by_value
      - .offset:         72
        .size:           4
        .value_kind:     by_value
      - .offset:         76
        .size:           4
        .value_kind:     by_value
      - .offset:         80
        .size:           4
        .value_kind:     by_value
      - .offset:         84
        .size:           4
        .value_kind:     by_value
      - .offset:         88
        .size:           4
        .value_kind:     by_value
      - .offset:         92
        .size:           4
        .value_kind:     by_value
      - .offset:         96
        .size:           4
        .value_kind:     by_value
      - .offset:         100
        .size:           4
        .value_kind:     by_value
      - .offset:         104
        .size:           12
        .value_kind:     by_value
      - .offset:         116
        .size:           12
        .value_kind:     by_value
      - .offset:         128
        .size:           4
        .value_kind:     hidden_block_count_x
      - .offset:         132
        .size:           4
        .value_kind:     hidden_block_count_y
      - .offset:         136
        .size:           4
        .value_kind:     hidden_block_count_z
      - .offset:         140
        .size:           2
        .value_kind:     hidden_group_size_x
      - .offset:         142
        .size:           2
        .value_kind:     hidden_group_size_y
      - .offset:         144
        .size:           2
        .value_kind:     hidden_group_size_z
      - .offset:         146
        .size:           2
        .value_kind:     hidden_remainder_x
      - .offset:         148
        .size:           2
        .value_kind:     hidden_remainder_y
      - .offset:         150
        .size:           2
        .value_kind:     hidden_remainder_z
      - .offset:         168
        .size:           8
        .value_kind:     hidden_global_offset_x
      - .offset:         176
        .size:           8
        .value_kind:     hidden_global_offset_y
      - .offset:         184
        .size:           8
        .value_kind:     hidden_global_offset_z
      - .offset:         192
        .size:           2
        .value_kind:     hidden_grid_dims
      - .offset:         208
        .size:           8
        .value_kind:     hidden_hostcall_buffer
    .group_segment_fixed_size: 0
    .kernarg_segment_align: 8
    .kernarg_segment_size: 384
    .language:       OpenCL C
    .language_version:
      - 2
      - 0
    .max_flat_workgroup_size: 448
    .name:           _ZL13mul_mat_f_idsIfLi32ELi13ELi7EEvPKT_PKfPKiS6_S6_Pfiiiiiiiiiiiiii15HIP_vector_typeIjLj3EES9_
    .private_segment_fixed_size: 16
    .sgpr_count:     40
    .sgpr_spill_count: 0
    .symbol:         _ZL13mul_mat_f_idsIfLi32ELi13ELi7EEvPKT_PKfPKiS6_S6_Pfiiiiiiiiiiiiii15HIP_vector_typeIjLj3EES9_.kd
    .uniform_work_group_size: 1
    .uses_dynamic_stack: false
    .vgpr_count:     38
    .vgpr_spill_count: 0
    .wavefront_size: 64
  - .agpr_count:     0
    .args:
      - .actual_access:  read_only
        .address_space:  global
        .offset:         0
        .size:           8
        .value_kind:     global_buffer
      - .actual_access:  read_only
        .address_space:  global
        .offset:         8
        .size:           8
        .value_kind:     global_buffer
      - .actual_access:  read_only
        .address_space:  global
        .offset:         16
        .size:           8
        .value_kind:     global_buffer
      - .actual_access:  read_only
        .address_space:  global
        .offset:         24
        .size:           8
        .value_kind:     global_buffer
      - .offset:         32
        .size:           4
        .value_kind:     by_value
      - .offset:         36
        .size:           4
        .value_kind:     by_value
      - .offset:         40
        .size:           4
        .value_kind:     by_value
      - .offset:         44
        .size:           4
        .value_kind:     by_value
      - .offset:         48
        .size:           4
        .value_kind:     by_value
      - .offset:         52
        .size:           4
        .value_kind:     by_value
      - .offset:         56
        .size:           4
        .value_kind:     by_value
      - .offset:         60
        .size:           4
        .value_kind:     by_value
      - .offset:         64
        .size:           4
        .value_kind:     by_value
      - .offset:         68
        .size:           4
        .value_kind:     by_value
      - .offset:         72
        .size:           4
        .value_kind:     by_value
      - .offset:         76
        .size:           4
        .value_kind:     by_value
      - .offset:         80
        .size:           4
        .value_kind:     by_value
      - .offset:         84
        .size:           4
        .value_kind:     by_value
      - .offset:         88
        .size:           4
        .value_kind:     by_value
      - .offset:         92
        .size:           4
        .value_kind:     by_value
      - .offset:         96
        .size:           4
        .value_kind:     hidden_block_count_x
      - .offset:         100
        .size:           4
        .value_kind:     hidden_block_count_y
      - .offset:         104
        .size:           4
        .value_kind:     hidden_block_count_z
      - .offset:         108
        .size:           2
        .value_kind:     hidden_group_size_x
      - .offset:         110
        .size:           2
        .value_kind:     hidden_group_size_y
      - .offset:         112
        .size:           2
        .value_kind:     hidden_group_size_z
      - .offset:         114
        .size:           2
        .value_kind:     hidden_remainder_x
      - .offset:         116
        .size:           2
        .value_kind:     hidden_remainder_y
      - .offset:         118
        .size:           2
        .value_kind:     hidden_remainder_z
      - .offset:         136
        .size:           8
        .value_kind:     hidden_global_offset_x
      - .offset:         144
        .size:           8
        .value_kind:     hidden_global_offset_y
      - .offset:         152
        .size:           8
        .value_kind:     hidden_global_offset_z
      - .offset:         160
        .size:           2
        .value_kind:     hidden_grid_dims
      - .offset:         176
        .size:           8
        .value_kind:     hidden_hostcall_buffer
    .group_segment_fixed_size: 0
    .kernarg_segment_align: 8
    .kernarg_segment_size: 352
    .language:       OpenCL C
    .language_version:
      - 2
      - 0
    .max_flat_workgroup_size: 448
    .name:           _ZL9mul_mat_fIfLi32ELi13ELi7ELb1EEvPKT_PKfPKiPfiiiiiiiiiiiiiiii
    .private_segment_fixed_size: 16
    .sgpr_count:     40
    .sgpr_spill_count: 0
    .symbol:         _ZL9mul_mat_fIfLi32ELi13ELi7ELb1EEvPKT_PKfPKiPfiiiiiiiiiiiiiiii.kd
    .uniform_work_group_size: 1
    .uses_dynamic_stack: false
    .vgpr_count:     38
    .vgpr_spill_count: 0
    .wavefront_size: 64
  - .agpr_count:     0
    .args:
      - .actual_access:  read_only
        .address_space:  global
        .offset:         0
        .size:           8
        .value_kind:     global_buffer
      - .actual_access:  read_only
        .address_space:  global
        .offset:         8
        .size:           8
        .value_kind:     global_buffer
      - .actual_access:  read_only
        .address_space:  global
        .offset:         16
        .size:           8
        .value_kind:     global_buffer
      - .actual_access:  read_only
        .address_space:  global
        .offset:         24
        .size:           8
        .value_kind:     global_buffer
      - .offset:         32
        .size:           4
        .value_kind:     by_value
      - .offset:         36
        .size:           4
        .value_kind:     by_value
      - .offset:         40
        .size:           4
        .value_kind:     by_value
      - .offset:         44
        .size:           4
        .value_kind:     by_value
      - .offset:         48
        .size:           4
        .value_kind:     by_value
      - .offset:         52
        .size:           4
        .value_kind:     by_value
      - .offset:         56
        .size:           4
        .value_kind:     by_value
      - .offset:         60
        .size:           4
        .value_kind:     by_value
      - .offset:         64
        .size:           4
        .value_kind:     by_value
      - .offset:         68
        .size:           4
        .value_kind:     by_value
      - .offset:         72
        .size:           4
        .value_kind:     by_value
      - .offset:         76
        .size:           4
        .value_kind:     by_value
      - .offset:         80
        .size:           4
        .value_kind:     by_value
      - .offset:         84
        .size:           4
        .value_kind:     by_value
      - .offset:         88
        .size:           4
        .value_kind:     by_value
      - .offset:         92
        .size:           4
        .value_kind:     by_value
      - .offset:         96
        .size:           4
        .value_kind:     hidden_block_count_x
      - .offset:         100
        .size:           4
        .value_kind:     hidden_block_count_y
      - .offset:         104
        .size:           4
        .value_kind:     hidden_block_count_z
      - .offset:         108
        .size:           2
        .value_kind:     hidden_group_size_x
      - .offset:         110
        .size:           2
        .value_kind:     hidden_group_size_y
      - .offset:         112
        .size:           2
        .value_kind:     hidden_group_size_z
      - .offset:         114
        .size:           2
        .value_kind:     hidden_remainder_x
      - .offset:         116
        .size:           2
        .value_kind:     hidden_remainder_y
      - .offset:         118
        .size:           2
        .value_kind:     hidden_remainder_z
      - .offset:         136
        .size:           8
        .value_kind:     hidden_global_offset_x
      - .offset:         144
        .size:           8
        .value_kind:     hidden_global_offset_y
      - .offset:         152
        .size:           8
        .value_kind:     hidden_global_offset_z
      - .offset:         160
        .size:           2
        .value_kind:     hidden_grid_dims
      - .offset:         176
        .size:           8
        .value_kind:     hidden_hostcall_buffer
    .group_segment_fixed_size: 0
    .kernarg_segment_align: 8
    .kernarg_segment_size: 352
    .language:       OpenCL C
    .language_version:
      - 2
      - 0
    .max_flat_workgroup_size: 448
    .name:           _ZL9mul_mat_fIfLi32ELi13ELi7ELb0EEvPKT_PKfPKiPfiiiiiiiiiiiiiiii
    .private_segment_fixed_size: 16
    .sgpr_count:     40
    .sgpr_spill_count: 0
    .symbol:         _ZL9mul_mat_fIfLi32ELi13ELi7ELb0EEvPKT_PKfPKiPfiiiiiiiiiiiiiiii.kd
    .uniform_work_group_size: 1
    .uses_dynamic_stack: false
    .vgpr_count:     38
    .vgpr_spill_count: 0
    .wavefront_size: 64
  - .agpr_count:     0
    .args:
      - .actual_access:  read_only
        .address_space:  global
        .offset:         0
        .size:           8
        .value_kind:     global_buffer
      - .actual_access:  read_only
        .address_space:  global
        .offset:         8
        .size:           8
        .value_kind:     global_buffer
      - .actual_access:  read_only
        .address_space:  global
        .offset:         16
        .size:           8
        .value_kind:     global_buffer
      - .actual_access:  read_only
        .address_space:  global
        .offset:         24
        .size:           8
        .value_kind:     global_buffer
      - .actual_access:  read_only
        .address_space:  global
        .offset:         32
        .size:           8
        .value_kind:     global_buffer
      - .actual_access:  read_only
        .address_space:  global
        .offset:         40
        .size:           8
        .value_kind:     global_buffer
      - .offset:         48
        .size:           4
        .value_kind:     by_value
      - .offset:         52
        .size:           4
        .value_kind:     by_value
      - .offset:         56
        .size:           4
        .value_kind:     by_value
      - .offset:         60
        .size:           4
        .value_kind:     by_value
      - .offset:         64
        .size:           4
        .value_kind:     by_value
      - .offset:         68
        .size:           4
        .value_kind:     by_value
      - .offset:         72
        .size:           4
        .value_kind:     by_value
      - .offset:         76
        .size:           4
        .value_kind:     by_value
      - .offset:         80
        .size:           4
        .value_kind:     by_value
      - .offset:         84
        .size:           4
        .value_kind:     by_value
      - .offset:         88
        .size:           4
        .value_kind:     by_value
      - .offset:         92
        .size:           4
        .value_kind:     by_value
      - .offset:         96
        .size:           4
        .value_kind:     by_value
      - .offset:         100
        .size:           4
        .value_kind:     by_value
      - .offset:         104
        .size:           12
        .value_kind:     by_value
      - .offset:         116
        .size:           12
        .value_kind:     by_value
      - .offset:         128
        .size:           4
        .value_kind:     hidden_block_count_x
      - .offset:         132
        .size:           4
        .value_kind:     hidden_block_count_y
      - .offset:         136
        .size:           4
        .value_kind:     hidden_block_count_z
      - .offset:         140
        .size:           2
        .value_kind:     hidden_group_size_x
      - .offset:         142
        .size:           2
        .value_kind:     hidden_group_size_y
      - .offset:         144
        .size:           2
        .value_kind:     hidden_group_size_z
      - .offset:         146
        .size:           2
        .value_kind:     hidden_remainder_x
      - .offset:         148
        .size:           2
        .value_kind:     hidden_remainder_y
      - .offset:         150
        .size:           2
        .value_kind:     hidden_remainder_z
      - .offset:         168
        .size:           8
        .value_kind:     hidden_global_offset_x
      - .offset:         176
        .size:           8
        .value_kind:     hidden_global_offset_y
      - .offset:         184
        .size:           8
        .value_kind:     hidden_global_offset_z
      - .offset:         192
        .size:           2
        .value_kind:     hidden_grid_dims
      - .offset:         208
        .size:           8
        .value_kind:     hidden_hostcall_buffer
    .group_segment_fixed_size: 0
    .kernarg_segment_align: 8
    .kernarg_segment_size: 384
    .language:       OpenCL C
    .language_version:
      - 2
      - 0
    .max_flat_workgroup_size: 512
    .name:           _ZL13mul_mat_f_idsIfLi32ELi13ELi8EEvPKT_PKfPKiS6_S6_Pfiiiiiiiiiiiiii15HIP_vector_typeIjLj3EES9_
    .private_segment_fixed_size: 16
    .sgpr_count:     40
    .sgpr_spill_count: 0
    .symbol:         _ZL13mul_mat_f_idsIfLi32ELi13ELi8EEvPKT_PKfPKiS6_S6_Pfiiiiiiiiiiiiii15HIP_vector_typeIjLj3EES9_.kd
    .uniform_work_group_size: 1
    .uses_dynamic_stack: false
    .vgpr_count:     38
    .vgpr_spill_count: 0
    .wavefront_size: 64
  - .agpr_count:     0
    .args:
      - .actual_access:  read_only
        .address_space:  global
        .offset:         0
        .size:           8
        .value_kind:     global_buffer
      - .actual_access:  read_only
        .address_space:  global
        .offset:         8
        .size:           8
        .value_kind:     global_buffer
      - .actual_access:  read_only
        .address_space:  global
        .offset:         16
        .size:           8
        .value_kind:     global_buffer
      - .actual_access:  read_only
        .address_space:  global
        .offset:         24
        .size:           8
        .value_kind:     global_buffer
      - .offset:         32
        .size:           4
        .value_kind:     by_value
      - .offset:         36
        .size:           4
        .value_kind:     by_value
      - .offset:         40
        .size:           4
        .value_kind:     by_value
      - .offset:         44
        .size:           4
        .value_kind:     by_value
      - .offset:         48
        .size:           4
        .value_kind:     by_value
      - .offset:         52
        .size:           4
        .value_kind:     by_value
      - .offset:         56
        .size:           4
        .value_kind:     by_value
      - .offset:         60
        .size:           4
        .value_kind:     by_value
      - .offset:         64
        .size:           4
        .value_kind:     by_value
      - .offset:         68
        .size:           4
        .value_kind:     by_value
      - .offset:         72
        .size:           4
        .value_kind:     by_value
      - .offset:         76
        .size:           4
        .value_kind:     by_value
      - .offset:         80
        .size:           4
        .value_kind:     by_value
      - .offset:         84
        .size:           4
        .value_kind:     by_value
      - .offset:         88
        .size:           4
        .value_kind:     by_value
      - .offset:         92
        .size:           4
        .value_kind:     by_value
      - .offset:         96
        .size:           4
        .value_kind:     hidden_block_count_x
      - .offset:         100
        .size:           4
        .value_kind:     hidden_block_count_y
      - .offset:         104
        .size:           4
        .value_kind:     hidden_block_count_z
      - .offset:         108
        .size:           2
        .value_kind:     hidden_group_size_x
      - .offset:         110
        .size:           2
        .value_kind:     hidden_group_size_y
      - .offset:         112
        .size:           2
        .value_kind:     hidden_group_size_z
      - .offset:         114
        .size:           2
        .value_kind:     hidden_remainder_x
      - .offset:         116
        .size:           2
        .value_kind:     hidden_remainder_y
      - .offset:         118
        .size:           2
        .value_kind:     hidden_remainder_z
      - .offset:         136
        .size:           8
        .value_kind:     hidden_global_offset_x
      - .offset:         144
        .size:           8
        .value_kind:     hidden_global_offset_y
      - .offset:         152
        .size:           8
        .value_kind:     hidden_global_offset_z
      - .offset:         160
        .size:           2
        .value_kind:     hidden_grid_dims
      - .offset:         176
        .size:           8
        .value_kind:     hidden_hostcall_buffer
    .group_segment_fixed_size: 0
    .kernarg_segment_align: 8
    .kernarg_segment_size: 352
    .language:       OpenCL C
    .language_version:
      - 2
      - 0
    .max_flat_workgroup_size: 512
    .name:           _ZL9mul_mat_fIfLi32ELi13ELi8ELb1EEvPKT_PKfPKiPfiiiiiiiiiiiiiiii
    .private_segment_fixed_size: 16
    .sgpr_count:     40
    .sgpr_spill_count: 0
    .symbol:         _ZL9mul_mat_fIfLi32ELi13ELi8ELb1EEvPKT_PKfPKiPfiiiiiiiiiiiiiiii.kd
    .uniform_work_group_size: 1
    .uses_dynamic_stack: false
    .vgpr_count:     38
    .vgpr_spill_count: 0
    .wavefront_size: 64
  - .agpr_count:     0
    .args:
      - .actual_access:  read_only
        .address_space:  global
        .offset:         0
        .size:           8
        .value_kind:     global_buffer
      - .actual_access:  read_only
        .address_space:  global
        .offset:         8
        .size:           8
        .value_kind:     global_buffer
      - .actual_access:  read_only
        .address_space:  global
        .offset:         16
        .size:           8
        .value_kind:     global_buffer
      - .actual_access:  read_only
        .address_space:  global
        .offset:         24
        .size:           8
        .value_kind:     global_buffer
      - .offset:         32
        .size:           4
        .value_kind:     by_value
      - .offset:         36
        .size:           4
        .value_kind:     by_value
      - .offset:         40
        .size:           4
        .value_kind:     by_value
      - .offset:         44
        .size:           4
        .value_kind:     by_value
      - .offset:         48
        .size:           4
        .value_kind:     by_value
      - .offset:         52
        .size:           4
        .value_kind:     by_value
      - .offset:         56
        .size:           4
        .value_kind:     by_value
      - .offset:         60
        .size:           4
        .value_kind:     by_value
      - .offset:         64
        .size:           4
        .value_kind:     by_value
      - .offset:         68
        .size:           4
        .value_kind:     by_value
      - .offset:         72
        .size:           4
        .value_kind:     by_value
      - .offset:         76
        .size:           4
        .value_kind:     by_value
      - .offset:         80
        .size:           4
        .value_kind:     by_value
      - .offset:         84
        .size:           4
        .value_kind:     by_value
      - .offset:         88
        .size:           4
        .value_kind:     by_value
      - .offset:         92
        .size:           4
        .value_kind:     by_value
      - .offset:         96
        .size:           4
        .value_kind:     hidden_block_count_x
      - .offset:         100
        .size:           4
        .value_kind:     hidden_block_count_y
      - .offset:         104
        .size:           4
        .value_kind:     hidden_block_count_z
      - .offset:         108
        .size:           2
        .value_kind:     hidden_group_size_x
      - .offset:         110
        .size:           2
        .value_kind:     hidden_group_size_y
      - .offset:         112
        .size:           2
        .value_kind:     hidden_group_size_z
      - .offset:         114
        .size:           2
        .value_kind:     hidden_remainder_x
      - .offset:         116
        .size:           2
        .value_kind:     hidden_remainder_y
      - .offset:         118
        .size:           2
        .value_kind:     hidden_remainder_z
      - .offset:         136
        .size:           8
        .value_kind:     hidden_global_offset_x
      - .offset:         144
        .size:           8
        .value_kind:     hidden_global_offset_y
      - .offset:         152
        .size:           8
        .value_kind:     hidden_global_offset_z
      - .offset:         160
        .size:           2
        .value_kind:     hidden_grid_dims
      - .offset:         176
        .size:           8
        .value_kind:     hidden_hostcall_buffer
    .group_segment_fixed_size: 0
    .kernarg_segment_align: 8
    .kernarg_segment_size: 352
    .language:       OpenCL C
    .language_version:
      - 2
      - 0
    .max_flat_workgroup_size: 512
    .name:           _ZL9mul_mat_fIfLi32ELi13ELi8ELb0EEvPKT_PKfPKiPfiiiiiiiiiiiiiiii
    .private_segment_fixed_size: 16
    .sgpr_count:     40
    .sgpr_spill_count: 0
    .symbol:         _ZL9mul_mat_fIfLi32ELi13ELi8ELb0EEvPKT_PKfPKiPfiiiiiiiiiiiiiiii.kd
    .uniform_work_group_size: 1
    .uses_dynamic_stack: false
    .vgpr_count:     38
    .vgpr_spill_count: 0
    .wavefront_size: 64
  - .agpr_count:     0
    .args:
      - .actual_access:  read_only
        .address_space:  global
        .offset:         0
        .size:           8
        .value_kind:     global_buffer
      - .actual_access:  read_only
        .address_space:  global
        .offset:         8
        .size:           8
        .value_kind:     global_buffer
      - .actual_access:  read_only
        .address_space:  global
        .offset:         16
        .size:           8
        .value_kind:     global_buffer
      - .actual_access:  read_only
        .address_space:  global
        .offset:         24
        .size:           8
        .value_kind:     global_buffer
      - .actual_access:  read_only
        .address_space:  global
        .offset:         32
        .size:           8
        .value_kind:     global_buffer
      - .actual_access:  read_only
        .address_space:  global
        .offset:         40
        .size:           8
        .value_kind:     global_buffer
      - .offset:         48
        .size:           4
        .value_kind:     by_value
      - .offset:         52
        .size:           4
        .value_kind:     by_value
      - .offset:         56
        .size:           4
        .value_kind:     by_value
      - .offset:         60
        .size:           4
        .value_kind:     by_value
      - .offset:         64
        .size:           4
        .value_kind:     by_value
      - .offset:         68
        .size:           4
        .value_kind:     by_value
      - .offset:         72
        .size:           4
        .value_kind:     by_value
      - .offset:         76
        .size:           4
        .value_kind:     by_value
      - .offset:         80
        .size:           4
        .value_kind:     by_value
      - .offset:         84
        .size:           4
        .value_kind:     by_value
      - .offset:         88
        .size:           4
        .value_kind:     by_value
      - .offset:         92
        .size:           4
        .value_kind:     by_value
      - .offset:         96
        .size:           4
        .value_kind:     by_value
      - .offset:         100
        .size:           4
        .value_kind:     by_value
      - .offset:         104
        .size:           12
        .value_kind:     by_value
      - .offset:         116
        .size:           12
        .value_kind:     by_value
      - .offset:         128
        .size:           4
        .value_kind:     hidden_block_count_x
      - .offset:         132
        .size:           4
        .value_kind:     hidden_block_count_y
      - .offset:         136
        .size:           4
        .value_kind:     hidden_block_count_z
      - .offset:         140
        .size:           2
        .value_kind:     hidden_group_size_x
      - .offset:         142
        .size:           2
        .value_kind:     hidden_group_size_y
      - .offset:         144
        .size:           2
        .value_kind:     hidden_group_size_z
      - .offset:         146
        .size:           2
        .value_kind:     hidden_remainder_x
      - .offset:         148
        .size:           2
        .value_kind:     hidden_remainder_y
      - .offset:         150
        .size:           2
        .value_kind:     hidden_remainder_z
      - .offset:         168
        .size:           8
        .value_kind:     hidden_global_offset_x
      - .offset:         176
        .size:           8
        .value_kind:     hidden_global_offset_y
      - .offset:         184
        .size:           8
        .value_kind:     hidden_global_offset_z
      - .offset:         192
        .size:           2
        .value_kind:     hidden_grid_dims
      - .offset:         208
        .size:           8
        .value_kind:     hidden_hostcall_buffer
    .group_segment_fixed_size: 0
    .kernarg_segment_align: 8
    .kernarg_segment_size: 384
    .language:       OpenCL C
    .language_version:
      - 2
      - 0
    .max_flat_workgroup_size: 64
    .name:           _ZL13mul_mat_f_idsI7__half2Li32ELi13ELi1EEvPKT_PKfPKiS7_S7_Pfiiiiiiiiiiiiii15HIP_vector_typeIjLj3EESA_
    .private_segment_fixed_size: 16
    .sgpr_count:     40
    .sgpr_spill_count: 0
    .symbol:         _ZL13mul_mat_f_idsI7__half2Li32ELi13ELi1EEvPKT_PKfPKiS7_S7_Pfiiiiiiiiiiiiii15HIP_vector_typeIjLj3EESA_.kd
    .uniform_work_group_size: 1
    .uses_dynamic_stack: false
    .vgpr_count:     38
    .vgpr_spill_count: 0
    .wavefront_size: 64
  - .agpr_count:     0
    .args:
      - .actual_access:  read_only
        .address_space:  global
        .offset:         0
        .size:           8
        .value_kind:     global_buffer
      - .actual_access:  read_only
        .address_space:  global
        .offset:         8
        .size:           8
        .value_kind:     global_buffer
      - .actual_access:  read_only
        .address_space:  global
        .offset:         16
        .size:           8
        .value_kind:     global_buffer
      - .actual_access:  read_only
        .address_space:  global
        .offset:         24
        .size:           8
        .value_kind:     global_buffer
      - .offset:         32
        .size:           4
        .value_kind:     by_value
      - .offset:         36
        .size:           4
        .value_kind:     by_value
      - .offset:         40
        .size:           4
        .value_kind:     by_value
      - .offset:         44
        .size:           4
        .value_kind:     by_value
      - .offset:         48
        .size:           4
        .value_kind:     by_value
      - .offset:         52
        .size:           4
        .value_kind:     by_value
      - .offset:         56
        .size:           4
        .value_kind:     by_value
      - .offset:         60
        .size:           4
        .value_kind:     by_value
      - .offset:         64
        .size:           4
        .value_kind:     by_value
      - .offset:         68
        .size:           4
        .value_kind:     by_value
      - .offset:         72
        .size:           4
        .value_kind:     by_value
      - .offset:         76
        .size:           4
        .value_kind:     by_value
      - .offset:         80
        .size:           4
        .value_kind:     by_value
      - .offset:         84
        .size:           4
        .value_kind:     by_value
      - .offset:         88
        .size:           4
        .value_kind:     by_value
      - .offset:         92
        .size:           4
        .value_kind:     by_value
      - .offset:         96
        .size:           4
        .value_kind:     hidden_block_count_x
      - .offset:         100
        .size:           4
        .value_kind:     hidden_block_count_y
      - .offset:         104
        .size:           4
        .value_kind:     hidden_block_count_z
      - .offset:         108
        .size:           2
        .value_kind:     hidden_group_size_x
      - .offset:         110
        .size:           2
        .value_kind:     hidden_group_size_y
      - .offset:         112
        .size:           2
        .value_kind:     hidden_group_size_z
      - .offset:         114
        .size:           2
        .value_kind:     hidden_remainder_x
      - .offset:         116
        .size:           2
        .value_kind:     hidden_remainder_y
      - .offset:         118
        .size:           2
        .value_kind:     hidden_remainder_z
      - .offset:         136
        .size:           8
        .value_kind:     hidden_global_offset_x
      - .offset:         144
        .size:           8
        .value_kind:     hidden_global_offset_y
      - .offset:         152
        .size:           8
        .value_kind:     hidden_global_offset_z
      - .offset:         160
        .size:           2
        .value_kind:     hidden_grid_dims
      - .offset:         176
        .size:           8
        .value_kind:     hidden_hostcall_buffer
    .group_segment_fixed_size: 0
    .kernarg_segment_align: 8
    .kernarg_segment_size: 352
    .language:       OpenCL C
    .language_version:
      - 2
      - 0
    .max_flat_workgroup_size: 64
    .name:           _ZL9mul_mat_fI7__half2Li32ELi13ELi1ELb1EEvPKT_PKfPKiPfiiiiiiiiiiiiiiii
    .private_segment_fixed_size: 16
    .sgpr_count:     40
    .sgpr_spill_count: 0
    .symbol:         _ZL9mul_mat_fI7__half2Li32ELi13ELi1ELb1EEvPKT_PKfPKiPfiiiiiiiiiiiiiiii.kd
    .uniform_work_group_size: 1
    .uses_dynamic_stack: false
    .vgpr_count:     38
    .vgpr_spill_count: 0
    .wavefront_size: 64
  - .agpr_count:     0
    .args:
      - .actual_access:  read_only
        .address_space:  global
        .offset:         0
        .size:           8
        .value_kind:     global_buffer
      - .actual_access:  read_only
        .address_space:  global
        .offset:         8
        .size:           8
        .value_kind:     global_buffer
      - .actual_access:  read_only
        .address_space:  global
        .offset:         16
        .size:           8
        .value_kind:     global_buffer
      - .actual_access:  read_only
        .address_space:  global
        .offset:         24
        .size:           8
        .value_kind:     global_buffer
      - .offset:         32
        .size:           4
        .value_kind:     by_value
      - .offset:         36
        .size:           4
        .value_kind:     by_value
      - .offset:         40
        .size:           4
        .value_kind:     by_value
      - .offset:         44
        .size:           4
        .value_kind:     by_value
      - .offset:         48
        .size:           4
        .value_kind:     by_value
      - .offset:         52
        .size:           4
        .value_kind:     by_value
      - .offset:         56
        .size:           4
        .value_kind:     by_value
      - .offset:         60
        .size:           4
        .value_kind:     by_value
      - .offset:         64
        .size:           4
        .value_kind:     by_value
      - .offset:         68
        .size:           4
        .value_kind:     by_value
      - .offset:         72
        .size:           4
        .value_kind:     by_value
      - .offset:         76
        .size:           4
        .value_kind:     by_value
      - .offset:         80
        .size:           4
        .value_kind:     by_value
      - .offset:         84
        .size:           4
        .value_kind:     by_value
      - .offset:         88
        .size:           4
        .value_kind:     by_value
      - .offset:         92
        .size:           4
        .value_kind:     by_value
      - .offset:         96
        .size:           4
        .value_kind:     hidden_block_count_x
      - .offset:         100
        .size:           4
        .value_kind:     hidden_block_count_y
      - .offset:         104
        .size:           4
        .value_kind:     hidden_block_count_z
      - .offset:         108
        .size:           2
        .value_kind:     hidden_group_size_x
      - .offset:         110
        .size:           2
        .value_kind:     hidden_group_size_y
      - .offset:         112
        .size:           2
        .value_kind:     hidden_group_size_z
      - .offset:         114
        .size:           2
        .value_kind:     hidden_remainder_x
      - .offset:         116
        .size:           2
        .value_kind:     hidden_remainder_y
      - .offset:         118
        .size:           2
        .value_kind:     hidden_remainder_z
      - .offset:         136
        .size:           8
        .value_kind:     hidden_global_offset_x
      - .offset:         144
        .size:           8
        .value_kind:     hidden_global_offset_y
      - .offset:         152
        .size:           8
        .value_kind:     hidden_global_offset_z
      - .offset:         160
        .size:           2
        .value_kind:     hidden_grid_dims
      - .offset:         176
        .size:           8
        .value_kind:     hidden_hostcall_buffer
    .group_segment_fixed_size: 0
    .kernarg_segment_align: 8
    .kernarg_segment_size: 352
    .language:       OpenCL C
    .language_version:
      - 2
      - 0
    .max_flat_workgroup_size: 64
    .name:           _ZL9mul_mat_fI7__half2Li32ELi13ELi1ELb0EEvPKT_PKfPKiPfiiiiiiiiiiiiiiii
    .private_segment_fixed_size: 16
    .sgpr_count:     40
    .sgpr_spill_count: 0
    .symbol:         _ZL9mul_mat_fI7__half2Li32ELi13ELi1ELb0EEvPKT_PKfPKiPfiiiiiiiiiiiiiiii.kd
    .uniform_work_group_size: 1
    .uses_dynamic_stack: false
    .vgpr_count:     38
    .vgpr_spill_count: 0
    .wavefront_size: 64
  - .agpr_count:     0
    .args:
      - .actual_access:  read_only
        .address_space:  global
        .offset:         0
        .size:           8
        .value_kind:     global_buffer
      - .actual_access:  read_only
        .address_space:  global
        .offset:         8
        .size:           8
        .value_kind:     global_buffer
      - .actual_access:  read_only
        .address_space:  global
        .offset:         16
        .size:           8
        .value_kind:     global_buffer
      - .actual_access:  read_only
        .address_space:  global
        .offset:         24
        .size:           8
        .value_kind:     global_buffer
      - .actual_access:  read_only
        .address_space:  global
        .offset:         32
        .size:           8
        .value_kind:     global_buffer
      - .actual_access:  read_only
        .address_space:  global
        .offset:         40
        .size:           8
        .value_kind:     global_buffer
      - .offset:         48
        .size:           4
        .value_kind:     by_value
      - .offset:         52
        .size:           4
        .value_kind:     by_value
      - .offset:         56
        .size:           4
        .value_kind:     by_value
      - .offset:         60
        .size:           4
        .value_kind:     by_value
      - .offset:         64
        .size:           4
        .value_kind:     by_value
      - .offset:         68
        .size:           4
        .value_kind:     by_value
      - .offset:         72
        .size:           4
        .value_kind:     by_value
      - .offset:         76
        .size:           4
        .value_kind:     by_value
      - .offset:         80
        .size:           4
        .value_kind:     by_value
      - .offset:         84
        .size:           4
        .value_kind:     by_value
      - .offset:         88
        .size:           4
        .value_kind:     by_value
      - .offset:         92
        .size:           4
        .value_kind:     by_value
      - .offset:         96
        .size:           4
        .value_kind:     by_value
      - .offset:         100
        .size:           4
        .value_kind:     by_value
      - .offset:         104
        .size:           12
        .value_kind:     by_value
      - .offset:         116
        .size:           12
        .value_kind:     by_value
      - .offset:         128
        .size:           4
        .value_kind:     hidden_block_count_x
      - .offset:         132
        .size:           4
        .value_kind:     hidden_block_count_y
      - .offset:         136
        .size:           4
        .value_kind:     hidden_block_count_z
      - .offset:         140
        .size:           2
        .value_kind:     hidden_group_size_x
      - .offset:         142
        .size:           2
        .value_kind:     hidden_group_size_y
      - .offset:         144
        .size:           2
        .value_kind:     hidden_group_size_z
      - .offset:         146
        .size:           2
        .value_kind:     hidden_remainder_x
      - .offset:         148
        .size:           2
        .value_kind:     hidden_remainder_y
      - .offset:         150
        .size:           2
        .value_kind:     hidden_remainder_z
      - .offset:         168
        .size:           8
        .value_kind:     hidden_global_offset_x
      - .offset:         176
        .size:           8
        .value_kind:     hidden_global_offset_y
      - .offset:         184
        .size:           8
        .value_kind:     hidden_global_offset_z
      - .offset:         192
        .size:           2
        .value_kind:     hidden_grid_dims
      - .offset:         208
        .size:           8
        .value_kind:     hidden_hostcall_buffer
    .group_segment_fixed_size: 0
    .kernarg_segment_align: 8
    .kernarg_segment_size: 384
    .language:       OpenCL C
    .language_version:
      - 2
      - 0
    .max_flat_workgroup_size: 128
    .name:           _ZL13mul_mat_f_idsI7__half2Li32ELi13ELi2EEvPKT_PKfPKiS7_S7_Pfiiiiiiiiiiiiii15HIP_vector_typeIjLj3EESA_
    .private_segment_fixed_size: 16
    .sgpr_count:     40
    .sgpr_spill_count: 0
    .symbol:         _ZL13mul_mat_f_idsI7__half2Li32ELi13ELi2EEvPKT_PKfPKiS7_S7_Pfiiiiiiiiiiiiii15HIP_vector_typeIjLj3EESA_.kd
    .uniform_work_group_size: 1
    .uses_dynamic_stack: false
    .vgpr_count:     38
    .vgpr_spill_count: 0
    .wavefront_size: 64
  - .agpr_count:     0
    .args:
      - .actual_access:  read_only
        .address_space:  global
        .offset:         0
        .size:           8
        .value_kind:     global_buffer
      - .actual_access:  read_only
        .address_space:  global
        .offset:         8
        .size:           8
        .value_kind:     global_buffer
      - .actual_access:  read_only
        .address_space:  global
        .offset:         16
        .size:           8
        .value_kind:     global_buffer
      - .actual_access:  read_only
        .address_space:  global
        .offset:         24
        .size:           8
        .value_kind:     global_buffer
      - .offset:         32
        .size:           4
        .value_kind:     by_value
      - .offset:         36
        .size:           4
        .value_kind:     by_value
      - .offset:         40
        .size:           4
        .value_kind:     by_value
      - .offset:         44
        .size:           4
        .value_kind:     by_value
      - .offset:         48
        .size:           4
        .value_kind:     by_value
      - .offset:         52
        .size:           4
        .value_kind:     by_value
      - .offset:         56
        .size:           4
        .value_kind:     by_value
      - .offset:         60
        .size:           4
        .value_kind:     by_value
      - .offset:         64
        .size:           4
        .value_kind:     by_value
      - .offset:         68
        .size:           4
        .value_kind:     by_value
      - .offset:         72
        .size:           4
        .value_kind:     by_value
      - .offset:         76
        .size:           4
        .value_kind:     by_value
      - .offset:         80
        .size:           4
        .value_kind:     by_value
      - .offset:         84
        .size:           4
        .value_kind:     by_value
      - .offset:         88
        .size:           4
        .value_kind:     by_value
      - .offset:         92
        .size:           4
        .value_kind:     by_value
      - .offset:         96
        .size:           4
        .value_kind:     hidden_block_count_x
      - .offset:         100
        .size:           4
        .value_kind:     hidden_block_count_y
      - .offset:         104
        .size:           4
        .value_kind:     hidden_block_count_z
      - .offset:         108
        .size:           2
        .value_kind:     hidden_group_size_x
      - .offset:         110
        .size:           2
        .value_kind:     hidden_group_size_y
      - .offset:         112
        .size:           2
        .value_kind:     hidden_group_size_z
      - .offset:         114
        .size:           2
        .value_kind:     hidden_remainder_x
      - .offset:         116
        .size:           2
        .value_kind:     hidden_remainder_y
      - .offset:         118
        .size:           2
        .value_kind:     hidden_remainder_z
      - .offset:         136
        .size:           8
        .value_kind:     hidden_global_offset_x
      - .offset:         144
        .size:           8
        .value_kind:     hidden_global_offset_y
      - .offset:         152
        .size:           8
        .value_kind:     hidden_global_offset_z
      - .offset:         160
        .size:           2
        .value_kind:     hidden_grid_dims
      - .offset:         176
        .size:           8
        .value_kind:     hidden_hostcall_buffer
    .group_segment_fixed_size: 0
    .kernarg_segment_align: 8
    .kernarg_segment_size: 352
    .language:       OpenCL C
    .language_version:
      - 2
      - 0
    .max_flat_workgroup_size: 128
    .name:           _ZL9mul_mat_fI7__half2Li32ELi13ELi2ELb1EEvPKT_PKfPKiPfiiiiiiiiiiiiiiii
    .private_segment_fixed_size: 16
    .sgpr_count:     40
    .sgpr_spill_count: 0
    .symbol:         _ZL9mul_mat_fI7__half2Li32ELi13ELi2ELb1EEvPKT_PKfPKiPfiiiiiiiiiiiiiiii.kd
    .uniform_work_group_size: 1
    .uses_dynamic_stack: false
    .vgpr_count:     38
    .vgpr_spill_count: 0
    .wavefront_size: 64
  - .agpr_count:     0
    .args:
      - .actual_access:  read_only
        .address_space:  global
        .offset:         0
        .size:           8
        .value_kind:     global_buffer
      - .actual_access:  read_only
        .address_space:  global
        .offset:         8
        .size:           8
        .value_kind:     global_buffer
      - .actual_access:  read_only
        .address_space:  global
        .offset:         16
        .size:           8
        .value_kind:     global_buffer
      - .actual_access:  read_only
        .address_space:  global
        .offset:         24
        .size:           8
        .value_kind:     global_buffer
      - .offset:         32
        .size:           4
        .value_kind:     by_value
      - .offset:         36
        .size:           4
        .value_kind:     by_value
      - .offset:         40
        .size:           4
        .value_kind:     by_value
      - .offset:         44
        .size:           4
        .value_kind:     by_value
      - .offset:         48
        .size:           4
        .value_kind:     by_value
      - .offset:         52
        .size:           4
        .value_kind:     by_value
      - .offset:         56
        .size:           4
        .value_kind:     by_value
      - .offset:         60
        .size:           4
        .value_kind:     by_value
      - .offset:         64
        .size:           4
        .value_kind:     by_value
      - .offset:         68
        .size:           4
        .value_kind:     by_value
      - .offset:         72
        .size:           4
        .value_kind:     by_value
      - .offset:         76
        .size:           4
        .value_kind:     by_value
      - .offset:         80
        .size:           4
        .value_kind:     by_value
      - .offset:         84
        .size:           4
        .value_kind:     by_value
      - .offset:         88
        .size:           4
        .value_kind:     by_value
      - .offset:         92
        .size:           4
        .value_kind:     by_value
      - .offset:         96
        .size:           4
        .value_kind:     hidden_block_count_x
      - .offset:         100
        .size:           4
        .value_kind:     hidden_block_count_y
      - .offset:         104
        .size:           4
        .value_kind:     hidden_block_count_z
      - .offset:         108
        .size:           2
        .value_kind:     hidden_group_size_x
      - .offset:         110
        .size:           2
        .value_kind:     hidden_group_size_y
      - .offset:         112
        .size:           2
        .value_kind:     hidden_group_size_z
      - .offset:         114
        .size:           2
        .value_kind:     hidden_remainder_x
      - .offset:         116
        .size:           2
        .value_kind:     hidden_remainder_y
      - .offset:         118
        .size:           2
        .value_kind:     hidden_remainder_z
      - .offset:         136
        .size:           8
        .value_kind:     hidden_global_offset_x
      - .offset:         144
        .size:           8
        .value_kind:     hidden_global_offset_y
      - .offset:         152
        .size:           8
        .value_kind:     hidden_global_offset_z
      - .offset:         160
        .size:           2
        .value_kind:     hidden_grid_dims
      - .offset:         176
        .size:           8
        .value_kind:     hidden_hostcall_buffer
    .group_segment_fixed_size: 0
    .kernarg_segment_align: 8
    .kernarg_segment_size: 352
    .language:       OpenCL C
    .language_version:
      - 2
      - 0
    .max_flat_workgroup_size: 128
    .name:           _ZL9mul_mat_fI7__half2Li32ELi13ELi2ELb0EEvPKT_PKfPKiPfiiiiiiiiiiiiiiii
    .private_segment_fixed_size: 16
    .sgpr_count:     40
    .sgpr_spill_count: 0
    .symbol:         _ZL9mul_mat_fI7__half2Li32ELi13ELi2ELb0EEvPKT_PKfPKiPfiiiiiiiiiiiiiiii.kd
    .uniform_work_group_size: 1
    .uses_dynamic_stack: false
    .vgpr_count:     38
    .vgpr_spill_count: 0
    .wavefront_size: 64
  - .agpr_count:     0
    .args:
      - .actual_access:  read_only
        .address_space:  global
        .offset:         0
        .size:           8
        .value_kind:     global_buffer
      - .actual_access:  read_only
        .address_space:  global
        .offset:         8
        .size:           8
        .value_kind:     global_buffer
      - .actual_access:  read_only
        .address_space:  global
        .offset:         16
        .size:           8
        .value_kind:     global_buffer
      - .actual_access:  read_only
        .address_space:  global
        .offset:         24
        .size:           8
        .value_kind:     global_buffer
      - .actual_access:  read_only
        .address_space:  global
        .offset:         32
        .size:           8
        .value_kind:     global_buffer
      - .actual_access:  read_only
        .address_space:  global
        .offset:         40
        .size:           8
        .value_kind:     global_buffer
      - .offset:         48
        .size:           4
        .value_kind:     by_value
      - .offset:         52
        .size:           4
        .value_kind:     by_value
      - .offset:         56
        .size:           4
        .value_kind:     by_value
      - .offset:         60
        .size:           4
        .value_kind:     by_value
      - .offset:         64
        .size:           4
        .value_kind:     by_value
      - .offset:         68
        .size:           4
        .value_kind:     by_value
      - .offset:         72
        .size:           4
        .value_kind:     by_value
      - .offset:         76
        .size:           4
        .value_kind:     by_value
      - .offset:         80
        .size:           4
        .value_kind:     by_value
      - .offset:         84
        .size:           4
        .value_kind:     by_value
      - .offset:         88
        .size:           4
        .value_kind:     by_value
      - .offset:         92
        .size:           4
        .value_kind:     by_value
      - .offset:         96
        .size:           4
        .value_kind:     by_value
      - .offset:         100
        .size:           4
        .value_kind:     by_value
      - .offset:         104
        .size:           12
        .value_kind:     by_value
      - .offset:         116
        .size:           12
        .value_kind:     by_value
      - .offset:         128
        .size:           4
        .value_kind:     hidden_block_count_x
      - .offset:         132
        .size:           4
        .value_kind:     hidden_block_count_y
      - .offset:         136
        .size:           4
        .value_kind:     hidden_block_count_z
      - .offset:         140
        .size:           2
        .value_kind:     hidden_group_size_x
      - .offset:         142
        .size:           2
        .value_kind:     hidden_group_size_y
      - .offset:         144
        .size:           2
        .value_kind:     hidden_group_size_z
      - .offset:         146
        .size:           2
        .value_kind:     hidden_remainder_x
      - .offset:         148
        .size:           2
        .value_kind:     hidden_remainder_y
      - .offset:         150
        .size:           2
        .value_kind:     hidden_remainder_z
      - .offset:         168
        .size:           8
        .value_kind:     hidden_global_offset_x
      - .offset:         176
        .size:           8
        .value_kind:     hidden_global_offset_y
      - .offset:         184
        .size:           8
        .value_kind:     hidden_global_offset_z
      - .offset:         192
        .size:           2
        .value_kind:     hidden_grid_dims
      - .offset:         208
        .size:           8
        .value_kind:     hidden_hostcall_buffer
    .group_segment_fixed_size: 0
    .kernarg_segment_align: 8
    .kernarg_segment_size: 384
    .language:       OpenCL C
    .language_version:
      - 2
      - 0
    .max_flat_workgroup_size: 192
    .name:           _ZL13mul_mat_f_idsI7__half2Li32ELi13ELi3EEvPKT_PKfPKiS7_S7_Pfiiiiiiiiiiiiii15HIP_vector_typeIjLj3EESA_
    .private_segment_fixed_size: 16
    .sgpr_count:     40
    .sgpr_spill_count: 0
    .symbol:         _ZL13mul_mat_f_idsI7__half2Li32ELi13ELi3EEvPKT_PKfPKiS7_S7_Pfiiiiiiiiiiiiii15HIP_vector_typeIjLj3EESA_.kd
    .uniform_work_group_size: 1
    .uses_dynamic_stack: false
    .vgpr_count:     38
    .vgpr_spill_count: 0
    .wavefront_size: 64
  - .agpr_count:     0
    .args:
      - .actual_access:  read_only
        .address_space:  global
        .offset:         0
        .size:           8
        .value_kind:     global_buffer
      - .actual_access:  read_only
        .address_space:  global
        .offset:         8
        .size:           8
        .value_kind:     global_buffer
      - .actual_access:  read_only
        .address_space:  global
        .offset:         16
        .size:           8
        .value_kind:     global_buffer
      - .actual_access:  read_only
        .address_space:  global
        .offset:         24
        .size:           8
        .value_kind:     global_buffer
      - .offset:         32
        .size:           4
        .value_kind:     by_value
      - .offset:         36
        .size:           4
        .value_kind:     by_value
      - .offset:         40
        .size:           4
        .value_kind:     by_value
      - .offset:         44
        .size:           4
        .value_kind:     by_value
      - .offset:         48
        .size:           4
        .value_kind:     by_value
      - .offset:         52
        .size:           4
        .value_kind:     by_value
      - .offset:         56
        .size:           4
        .value_kind:     by_value
      - .offset:         60
        .size:           4
        .value_kind:     by_value
      - .offset:         64
        .size:           4
        .value_kind:     by_value
      - .offset:         68
        .size:           4
        .value_kind:     by_value
      - .offset:         72
        .size:           4
        .value_kind:     by_value
      - .offset:         76
        .size:           4
        .value_kind:     by_value
      - .offset:         80
        .size:           4
        .value_kind:     by_value
      - .offset:         84
        .size:           4
        .value_kind:     by_value
      - .offset:         88
        .size:           4
        .value_kind:     by_value
      - .offset:         92
        .size:           4
        .value_kind:     by_value
      - .offset:         96
        .size:           4
        .value_kind:     hidden_block_count_x
      - .offset:         100
        .size:           4
        .value_kind:     hidden_block_count_y
      - .offset:         104
        .size:           4
        .value_kind:     hidden_block_count_z
      - .offset:         108
        .size:           2
        .value_kind:     hidden_group_size_x
      - .offset:         110
        .size:           2
        .value_kind:     hidden_group_size_y
      - .offset:         112
        .size:           2
        .value_kind:     hidden_group_size_z
      - .offset:         114
        .size:           2
        .value_kind:     hidden_remainder_x
      - .offset:         116
        .size:           2
        .value_kind:     hidden_remainder_y
      - .offset:         118
        .size:           2
        .value_kind:     hidden_remainder_z
      - .offset:         136
        .size:           8
        .value_kind:     hidden_global_offset_x
      - .offset:         144
        .size:           8
        .value_kind:     hidden_global_offset_y
      - .offset:         152
        .size:           8
        .value_kind:     hidden_global_offset_z
      - .offset:         160
        .size:           2
        .value_kind:     hidden_grid_dims
      - .offset:         176
        .size:           8
        .value_kind:     hidden_hostcall_buffer
    .group_segment_fixed_size: 0
    .kernarg_segment_align: 8
    .kernarg_segment_size: 352
    .language:       OpenCL C
    .language_version:
      - 2
      - 0
    .max_flat_workgroup_size: 192
    .name:           _ZL9mul_mat_fI7__half2Li32ELi13ELi3ELb1EEvPKT_PKfPKiPfiiiiiiiiiiiiiiii
    .private_segment_fixed_size: 16
    .sgpr_count:     40
    .sgpr_spill_count: 0
    .symbol:         _ZL9mul_mat_fI7__half2Li32ELi13ELi3ELb1EEvPKT_PKfPKiPfiiiiiiiiiiiiiiii.kd
    .uniform_work_group_size: 1
    .uses_dynamic_stack: false
    .vgpr_count:     38
    .vgpr_spill_count: 0
    .wavefront_size: 64
  - .agpr_count:     0
    .args:
      - .actual_access:  read_only
        .address_space:  global
        .offset:         0
        .size:           8
        .value_kind:     global_buffer
      - .actual_access:  read_only
        .address_space:  global
        .offset:         8
        .size:           8
        .value_kind:     global_buffer
      - .actual_access:  read_only
        .address_space:  global
        .offset:         16
        .size:           8
        .value_kind:     global_buffer
      - .actual_access:  read_only
        .address_space:  global
        .offset:         24
        .size:           8
        .value_kind:     global_buffer
      - .offset:         32
        .size:           4
        .value_kind:     by_value
      - .offset:         36
        .size:           4
        .value_kind:     by_value
      - .offset:         40
        .size:           4
        .value_kind:     by_value
      - .offset:         44
        .size:           4
        .value_kind:     by_value
      - .offset:         48
        .size:           4
        .value_kind:     by_value
      - .offset:         52
        .size:           4
        .value_kind:     by_value
      - .offset:         56
        .size:           4
        .value_kind:     by_value
      - .offset:         60
        .size:           4
        .value_kind:     by_value
      - .offset:         64
        .size:           4
        .value_kind:     by_value
      - .offset:         68
        .size:           4
        .value_kind:     by_value
      - .offset:         72
        .size:           4
        .value_kind:     by_value
      - .offset:         76
        .size:           4
        .value_kind:     by_value
      - .offset:         80
        .size:           4
        .value_kind:     by_value
      - .offset:         84
        .size:           4
        .value_kind:     by_value
      - .offset:         88
        .size:           4
        .value_kind:     by_value
      - .offset:         92
        .size:           4
        .value_kind:     by_value
      - .offset:         96
        .size:           4
        .value_kind:     hidden_block_count_x
      - .offset:         100
        .size:           4
        .value_kind:     hidden_block_count_y
      - .offset:         104
        .size:           4
        .value_kind:     hidden_block_count_z
      - .offset:         108
        .size:           2
        .value_kind:     hidden_group_size_x
      - .offset:         110
        .size:           2
        .value_kind:     hidden_group_size_y
      - .offset:         112
        .size:           2
        .value_kind:     hidden_group_size_z
      - .offset:         114
        .size:           2
        .value_kind:     hidden_remainder_x
      - .offset:         116
        .size:           2
        .value_kind:     hidden_remainder_y
      - .offset:         118
        .size:           2
        .value_kind:     hidden_remainder_z
      - .offset:         136
        .size:           8
        .value_kind:     hidden_global_offset_x
      - .offset:         144
        .size:           8
        .value_kind:     hidden_global_offset_y
      - .offset:         152
        .size:           8
        .value_kind:     hidden_global_offset_z
      - .offset:         160
        .size:           2
        .value_kind:     hidden_grid_dims
      - .offset:         176
        .size:           8
        .value_kind:     hidden_hostcall_buffer
    .group_segment_fixed_size: 0
    .kernarg_segment_align: 8
    .kernarg_segment_size: 352
    .language:       OpenCL C
    .language_version:
      - 2
      - 0
    .max_flat_workgroup_size: 192
    .name:           _ZL9mul_mat_fI7__half2Li32ELi13ELi3ELb0EEvPKT_PKfPKiPfiiiiiiiiiiiiiiii
    .private_segment_fixed_size: 16
    .sgpr_count:     40
    .sgpr_spill_count: 0
    .symbol:         _ZL9mul_mat_fI7__half2Li32ELi13ELi3ELb0EEvPKT_PKfPKiPfiiiiiiiiiiiiiiii.kd
    .uniform_work_group_size: 1
    .uses_dynamic_stack: false
    .vgpr_count:     38
    .vgpr_spill_count: 0
    .wavefront_size: 64
  - .agpr_count:     0
    .args:
      - .actual_access:  read_only
        .address_space:  global
        .offset:         0
        .size:           8
        .value_kind:     global_buffer
      - .actual_access:  read_only
        .address_space:  global
        .offset:         8
        .size:           8
        .value_kind:     global_buffer
      - .actual_access:  read_only
        .address_space:  global
        .offset:         16
        .size:           8
        .value_kind:     global_buffer
      - .actual_access:  read_only
        .address_space:  global
        .offset:         24
        .size:           8
        .value_kind:     global_buffer
      - .actual_access:  read_only
        .address_space:  global
        .offset:         32
        .size:           8
        .value_kind:     global_buffer
      - .actual_access:  read_only
        .address_space:  global
        .offset:         40
        .size:           8
        .value_kind:     global_buffer
      - .offset:         48
        .size:           4
        .value_kind:     by_value
      - .offset:         52
        .size:           4
        .value_kind:     by_value
      - .offset:         56
        .size:           4
        .value_kind:     by_value
      - .offset:         60
        .size:           4
        .value_kind:     by_value
      - .offset:         64
        .size:           4
        .value_kind:     by_value
      - .offset:         68
        .size:           4
        .value_kind:     by_value
      - .offset:         72
        .size:           4
        .value_kind:     by_value
      - .offset:         76
        .size:           4
        .value_kind:     by_value
      - .offset:         80
        .size:           4
        .value_kind:     by_value
      - .offset:         84
        .size:           4
        .value_kind:     by_value
      - .offset:         88
        .size:           4
        .value_kind:     by_value
      - .offset:         92
        .size:           4
        .value_kind:     by_value
      - .offset:         96
        .size:           4
        .value_kind:     by_value
      - .offset:         100
        .size:           4
        .value_kind:     by_value
      - .offset:         104
        .size:           12
        .value_kind:     by_value
      - .offset:         116
        .size:           12
        .value_kind:     by_value
      - .offset:         128
        .size:           4
        .value_kind:     hidden_block_count_x
      - .offset:         132
        .size:           4
        .value_kind:     hidden_block_count_y
      - .offset:         136
        .size:           4
        .value_kind:     hidden_block_count_z
      - .offset:         140
        .size:           2
        .value_kind:     hidden_group_size_x
      - .offset:         142
        .size:           2
        .value_kind:     hidden_group_size_y
      - .offset:         144
        .size:           2
        .value_kind:     hidden_group_size_z
      - .offset:         146
        .size:           2
        .value_kind:     hidden_remainder_x
      - .offset:         148
        .size:           2
        .value_kind:     hidden_remainder_y
      - .offset:         150
        .size:           2
        .value_kind:     hidden_remainder_z
      - .offset:         168
        .size:           8
        .value_kind:     hidden_global_offset_x
      - .offset:         176
        .size:           8
        .value_kind:     hidden_global_offset_y
      - .offset:         184
        .size:           8
        .value_kind:     hidden_global_offset_z
      - .offset:         192
        .size:           2
        .value_kind:     hidden_grid_dims
      - .offset:         208
        .size:           8
        .value_kind:     hidden_hostcall_buffer
    .group_segment_fixed_size: 0
    .kernarg_segment_align: 8
    .kernarg_segment_size: 384
    .language:       OpenCL C
    .language_version:
      - 2
      - 0
    .max_flat_workgroup_size: 256
    .name:           _ZL13mul_mat_f_idsI7__half2Li32ELi13ELi4EEvPKT_PKfPKiS7_S7_Pfiiiiiiiiiiiiii15HIP_vector_typeIjLj3EESA_
    .private_segment_fixed_size: 16
    .sgpr_count:     40
    .sgpr_spill_count: 0
    .symbol:         _ZL13mul_mat_f_idsI7__half2Li32ELi13ELi4EEvPKT_PKfPKiS7_S7_Pfiiiiiiiiiiiiii15HIP_vector_typeIjLj3EESA_.kd
    .uniform_work_group_size: 1
    .uses_dynamic_stack: false
    .vgpr_count:     38
    .vgpr_spill_count: 0
    .wavefront_size: 64
  - .agpr_count:     0
    .args:
      - .actual_access:  read_only
        .address_space:  global
        .offset:         0
        .size:           8
        .value_kind:     global_buffer
      - .actual_access:  read_only
        .address_space:  global
        .offset:         8
        .size:           8
        .value_kind:     global_buffer
      - .actual_access:  read_only
        .address_space:  global
        .offset:         16
        .size:           8
        .value_kind:     global_buffer
      - .actual_access:  read_only
        .address_space:  global
        .offset:         24
        .size:           8
        .value_kind:     global_buffer
      - .offset:         32
        .size:           4
        .value_kind:     by_value
      - .offset:         36
        .size:           4
        .value_kind:     by_value
      - .offset:         40
        .size:           4
        .value_kind:     by_value
      - .offset:         44
        .size:           4
        .value_kind:     by_value
      - .offset:         48
        .size:           4
        .value_kind:     by_value
      - .offset:         52
        .size:           4
        .value_kind:     by_value
      - .offset:         56
        .size:           4
        .value_kind:     by_value
      - .offset:         60
        .size:           4
        .value_kind:     by_value
      - .offset:         64
        .size:           4
        .value_kind:     by_value
      - .offset:         68
        .size:           4
        .value_kind:     by_value
      - .offset:         72
        .size:           4
        .value_kind:     by_value
      - .offset:         76
        .size:           4
        .value_kind:     by_value
      - .offset:         80
        .size:           4
        .value_kind:     by_value
      - .offset:         84
        .size:           4
        .value_kind:     by_value
      - .offset:         88
        .size:           4
        .value_kind:     by_value
      - .offset:         92
        .size:           4
        .value_kind:     by_value
      - .offset:         96
        .size:           4
        .value_kind:     hidden_block_count_x
      - .offset:         100
        .size:           4
        .value_kind:     hidden_block_count_y
      - .offset:         104
        .size:           4
        .value_kind:     hidden_block_count_z
      - .offset:         108
        .size:           2
        .value_kind:     hidden_group_size_x
      - .offset:         110
        .size:           2
        .value_kind:     hidden_group_size_y
      - .offset:         112
        .size:           2
        .value_kind:     hidden_group_size_z
      - .offset:         114
        .size:           2
        .value_kind:     hidden_remainder_x
      - .offset:         116
        .size:           2
        .value_kind:     hidden_remainder_y
      - .offset:         118
        .size:           2
        .value_kind:     hidden_remainder_z
      - .offset:         136
        .size:           8
        .value_kind:     hidden_global_offset_x
      - .offset:         144
        .size:           8
        .value_kind:     hidden_global_offset_y
      - .offset:         152
        .size:           8
        .value_kind:     hidden_global_offset_z
      - .offset:         160
        .size:           2
        .value_kind:     hidden_grid_dims
      - .offset:         176
        .size:           8
        .value_kind:     hidden_hostcall_buffer
    .group_segment_fixed_size: 0
    .kernarg_segment_align: 8
    .kernarg_segment_size: 352
    .language:       OpenCL C
    .language_version:
      - 2
      - 0
    .max_flat_workgroup_size: 256
    .name:           _ZL9mul_mat_fI7__half2Li32ELi13ELi4ELb1EEvPKT_PKfPKiPfiiiiiiiiiiiiiiii
    .private_segment_fixed_size: 16
    .sgpr_count:     40
    .sgpr_spill_count: 0
    .symbol:         _ZL9mul_mat_fI7__half2Li32ELi13ELi4ELb1EEvPKT_PKfPKiPfiiiiiiiiiiiiiiii.kd
    .uniform_work_group_size: 1
    .uses_dynamic_stack: false
    .vgpr_count:     38
    .vgpr_spill_count: 0
    .wavefront_size: 64
  - .agpr_count:     0
    .args:
      - .actual_access:  read_only
        .address_space:  global
        .offset:         0
        .size:           8
        .value_kind:     global_buffer
      - .actual_access:  read_only
        .address_space:  global
        .offset:         8
        .size:           8
        .value_kind:     global_buffer
      - .actual_access:  read_only
        .address_space:  global
        .offset:         16
        .size:           8
        .value_kind:     global_buffer
      - .actual_access:  read_only
        .address_space:  global
        .offset:         24
        .size:           8
        .value_kind:     global_buffer
      - .offset:         32
        .size:           4
        .value_kind:     by_value
      - .offset:         36
        .size:           4
        .value_kind:     by_value
      - .offset:         40
        .size:           4
        .value_kind:     by_value
      - .offset:         44
        .size:           4
        .value_kind:     by_value
      - .offset:         48
        .size:           4
        .value_kind:     by_value
      - .offset:         52
        .size:           4
        .value_kind:     by_value
      - .offset:         56
        .size:           4
        .value_kind:     by_value
      - .offset:         60
        .size:           4
        .value_kind:     by_value
      - .offset:         64
        .size:           4
        .value_kind:     by_value
      - .offset:         68
        .size:           4
        .value_kind:     by_value
      - .offset:         72
        .size:           4
        .value_kind:     by_value
      - .offset:         76
        .size:           4
        .value_kind:     by_value
      - .offset:         80
        .size:           4
        .value_kind:     by_value
      - .offset:         84
        .size:           4
        .value_kind:     by_value
      - .offset:         88
        .size:           4
        .value_kind:     by_value
      - .offset:         92
        .size:           4
        .value_kind:     by_value
      - .offset:         96
        .size:           4
        .value_kind:     hidden_block_count_x
      - .offset:         100
        .size:           4
        .value_kind:     hidden_block_count_y
      - .offset:         104
        .size:           4
        .value_kind:     hidden_block_count_z
      - .offset:         108
        .size:           2
        .value_kind:     hidden_group_size_x
      - .offset:         110
        .size:           2
        .value_kind:     hidden_group_size_y
      - .offset:         112
        .size:           2
        .value_kind:     hidden_group_size_z
      - .offset:         114
        .size:           2
        .value_kind:     hidden_remainder_x
      - .offset:         116
        .size:           2
        .value_kind:     hidden_remainder_y
      - .offset:         118
        .size:           2
        .value_kind:     hidden_remainder_z
      - .offset:         136
        .size:           8
        .value_kind:     hidden_global_offset_x
      - .offset:         144
        .size:           8
        .value_kind:     hidden_global_offset_y
      - .offset:         152
        .size:           8
        .value_kind:     hidden_global_offset_z
      - .offset:         160
        .size:           2
        .value_kind:     hidden_grid_dims
      - .offset:         176
        .size:           8
        .value_kind:     hidden_hostcall_buffer
    .group_segment_fixed_size: 0
    .kernarg_segment_align: 8
    .kernarg_segment_size: 352
    .language:       OpenCL C
    .language_version:
      - 2
      - 0
    .max_flat_workgroup_size: 256
    .name:           _ZL9mul_mat_fI7__half2Li32ELi13ELi4ELb0EEvPKT_PKfPKiPfiiiiiiiiiiiiiiii
    .private_segment_fixed_size: 16
    .sgpr_count:     40
    .sgpr_spill_count: 0
    .symbol:         _ZL9mul_mat_fI7__half2Li32ELi13ELi4ELb0EEvPKT_PKfPKiPfiiiiiiiiiiiiiiii.kd
    .uniform_work_group_size: 1
    .uses_dynamic_stack: false
    .vgpr_count:     38
    .vgpr_spill_count: 0
    .wavefront_size: 64
  - .agpr_count:     0
    .args:
      - .actual_access:  read_only
        .address_space:  global
        .offset:         0
        .size:           8
        .value_kind:     global_buffer
      - .actual_access:  read_only
        .address_space:  global
        .offset:         8
        .size:           8
        .value_kind:     global_buffer
      - .actual_access:  read_only
        .address_space:  global
        .offset:         16
        .size:           8
        .value_kind:     global_buffer
      - .actual_access:  read_only
        .address_space:  global
        .offset:         24
        .size:           8
        .value_kind:     global_buffer
      - .actual_access:  read_only
        .address_space:  global
        .offset:         32
        .size:           8
        .value_kind:     global_buffer
      - .actual_access:  read_only
        .address_space:  global
        .offset:         40
        .size:           8
        .value_kind:     global_buffer
      - .offset:         48
        .size:           4
        .value_kind:     by_value
      - .offset:         52
        .size:           4
        .value_kind:     by_value
      - .offset:         56
        .size:           4
        .value_kind:     by_value
      - .offset:         60
        .size:           4
        .value_kind:     by_value
      - .offset:         64
        .size:           4
        .value_kind:     by_value
      - .offset:         68
        .size:           4
        .value_kind:     by_value
      - .offset:         72
        .size:           4
        .value_kind:     by_value
      - .offset:         76
        .size:           4
        .value_kind:     by_value
      - .offset:         80
        .size:           4
        .value_kind:     by_value
      - .offset:         84
        .size:           4
        .value_kind:     by_value
      - .offset:         88
        .size:           4
        .value_kind:     by_value
      - .offset:         92
        .size:           4
        .value_kind:     by_value
      - .offset:         96
        .size:           4
        .value_kind:     by_value
      - .offset:         100
        .size:           4
        .value_kind:     by_value
      - .offset:         104
        .size:           12
        .value_kind:     by_value
      - .offset:         116
        .size:           12
        .value_kind:     by_value
      - .offset:         128
        .size:           4
        .value_kind:     hidden_block_count_x
      - .offset:         132
        .size:           4
        .value_kind:     hidden_block_count_y
      - .offset:         136
        .size:           4
        .value_kind:     hidden_block_count_z
      - .offset:         140
        .size:           2
        .value_kind:     hidden_group_size_x
      - .offset:         142
        .size:           2
        .value_kind:     hidden_group_size_y
      - .offset:         144
        .size:           2
        .value_kind:     hidden_group_size_z
      - .offset:         146
        .size:           2
        .value_kind:     hidden_remainder_x
      - .offset:         148
        .size:           2
        .value_kind:     hidden_remainder_y
      - .offset:         150
        .size:           2
        .value_kind:     hidden_remainder_z
      - .offset:         168
        .size:           8
        .value_kind:     hidden_global_offset_x
      - .offset:         176
        .size:           8
        .value_kind:     hidden_global_offset_y
      - .offset:         184
        .size:           8
        .value_kind:     hidden_global_offset_z
      - .offset:         192
        .size:           2
        .value_kind:     hidden_grid_dims
      - .offset:         208
        .size:           8
        .value_kind:     hidden_hostcall_buffer
    .group_segment_fixed_size: 0
    .kernarg_segment_align: 8
    .kernarg_segment_size: 384
    .language:       OpenCL C
    .language_version:
      - 2
      - 0
    .max_flat_workgroup_size: 320
    .name:           _ZL13mul_mat_f_idsI7__half2Li32ELi13ELi5EEvPKT_PKfPKiS7_S7_Pfiiiiiiiiiiiiii15HIP_vector_typeIjLj3EESA_
    .private_segment_fixed_size: 16
    .sgpr_count:     40
    .sgpr_spill_count: 0
    .symbol:         _ZL13mul_mat_f_idsI7__half2Li32ELi13ELi5EEvPKT_PKfPKiS7_S7_Pfiiiiiiiiiiiiii15HIP_vector_typeIjLj3EESA_.kd
    .uniform_work_group_size: 1
    .uses_dynamic_stack: false
    .vgpr_count:     38
    .vgpr_spill_count: 0
    .wavefront_size: 64
  - .agpr_count:     0
    .args:
      - .actual_access:  read_only
        .address_space:  global
        .offset:         0
        .size:           8
        .value_kind:     global_buffer
      - .actual_access:  read_only
        .address_space:  global
        .offset:         8
        .size:           8
        .value_kind:     global_buffer
      - .actual_access:  read_only
        .address_space:  global
        .offset:         16
        .size:           8
        .value_kind:     global_buffer
      - .actual_access:  read_only
        .address_space:  global
        .offset:         24
        .size:           8
        .value_kind:     global_buffer
      - .offset:         32
        .size:           4
        .value_kind:     by_value
      - .offset:         36
        .size:           4
        .value_kind:     by_value
      - .offset:         40
        .size:           4
        .value_kind:     by_value
      - .offset:         44
        .size:           4
        .value_kind:     by_value
      - .offset:         48
        .size:           4
        .value_kind:     by_value
      - .offset:         52
        .size:           4
        .value_kind:     by_value
      - .offset:         56
        .size:           4
        .value_kind:     by_value
      - .offset:         60
        .size:           4
        .value_kind:     by_value
      - .offset:         64
        .size:           4
        .value_kind:     by_value
      - .offset:         68
        .size:           4
        .value_kind:     by_value
      - .offset:         72
        .size:           4
        .value_kind:     by_value
      - .offset:         76
        .size:           4
        .value_kind:     by_value
      - .offset:         80
        .size:           4
        .value_kind:     by_value
      - .offset:         84
        .size:           4
        .value_kind:     by_value
      - .offset:         88
        .size:           4
        .value_kind:     by_value
      - .offset:         92
        .size:           4
        .value_kind:     by_value
      - .offset:         96
        .size:           4
        .value_kind:     hidden_block_count_x
      - .offset:         100
        .size:           4
        .value_kind:     hidden_block_count_y
      - .offset:         104
        .size:           4
        .value_kind:     hidden_block_count_z
      - .offset:         108
        .size:           2
        .value_kind:     hidden_group_size_x
      - .offset:         110
        .size:           2
        .value_kind:     hidden_group_size_y
      - .offset:         112
        .size:           2
        .value_kind:     hidden_group_size_z
      - .offset:         114
        .size:           2
        .value_kind:     hidden_remainder_x
      - .offset:         116
        .size:           2
        .value_kind:     hidden_remainder_y
      - .offset:         118
        .size:           2
        .value_kind:     hidden_remainder_z
      - .offset:         136
        .size:           8
        .value_kind:     hidden_global_offset_x
      - .offset:         144
        .size:           8
        .value_kind:     hidden_global_offset_y
      - .offset:         152
        .size:           8
        .value_kind:     hidden_global_offset_z
      - .offset:         160
        .size:           2
        .value_kind:     hidden_grid_dims
      - .offset:         176
        .size:           8
        .value_kind:     hidden_hostcall_buffer
    .group_segment_fixed_size: 0
    .kernarg_segment_align: 8
    .kernarg_segment_size: 352
    .language:       OpenCL C
    .language_version:
      - 2
      - 0
    .max_flat_workgroup_size: 320
    .name:           _ZL9mul_mat_fI7__half2Li32ELi13ELi5ELb1EEvPKT_PKfPKiPfiiiiiiiiiiiiiiii
    .private_segment_fixed_size: 16
    .sgpr_count:     40
    .sgpr_spill_count: 0
    .symbol:         _ZL9mul_mat_fI7__half2Li32ELi13ELi5ELb1EEvPKT_PKfPKiPfiiiiiiiiiiiiiiii.kd
    .uniform_work_group_size: 1
    .uses_dynamic_stack: false
    .vgpr_count:     38
    .vgpr_spill_count: 0
    .wavefront_size: 64
  - .agpr_count:     0
    .args:
      - .actual_access:  read_only
        .address_space:  global
        .offset:         0
        .size:           8
        .value_kind:     global_buffer
      - .actual_access:  read_only
        .address_space:  global
        .offset:         8
        .size:           8
        .value_kind:     global_buffer
      - .actual_access:  read_only
        .address_space:  global
        .offset:         16
        .size:           8
        .value_kind:     global_buffer
      - .actual_access:  read_only
        .address_space:  global
        .offset:         24
        .size:           8
        .value_kind:     global_buffer
      - .offset:         32
        .size:           4
        .value_kind:     by_value
      - .offset:         36
        .size:           4
        .value_kind:     by_value
      - .offset:         40
        .size:           4
        .value_kind:     by_value
      - .offset:         44
        .size:           4
        .value_kind:     by_value
      - .offset:         48
        .size:           4
        .value_kind:     by_value
      - .offset:         52
        .size:           4
        .value_kind:     by_value
      - .offset:         56
        .size:           4
        .value_kind:     by_value
      - .offset:         60
        .size:           4
        .value_kind:     by_value
      - .offset:         64
        .size:           4
        .value_kind:     by_value
      - .offset:         68
        .size:           4
        .value_kind:     by_value
      - .offset:         72
        .size:           4
        .value_kind:     by_value
      - .offset:         76
        .size:           4
        .value_kind:     by_value
      - .offset:         80
        .size:           4
        .value_kind:     by_value
      - .offset:         84
        .size:           4
        .value_kind:     by_value
      - .offset:         88
        .size:           4
        .value_kind:     by_value
      - .offset:         92
        .size:           4
        .value_kind:     by_value
      - .offset:         96
        .size:           4
        .value_kind:     hidden_block_count_x
      - .offset:         100
        .size:           4
        .value_kind:     hidden_block_count_y
      - .offset:         104
        .size:           4
        .value_kind:     hidden_block_count_z
      - .offset:         108
        .size:           2
        .value_kind:     hidden_group_size_x
      - .offset:         110
        .size:           2
        .value_kind:     hidden_group_size_y
      - .offset:         112
        .size:           2
        .value_kind:     hidden_group_size_z
      - .offset:         114
        .size:           2
        .value_kind:     hidden_remainder_x
      - .offset:         116
        .size:           2
        .value_kind:     hidden_remainder_y
      - .offset:         118
        .size:           2
        .value_kind:     hidden_remainder_z
      - .offset:         136
        .size:           8
        .value_kind:     hidden_global_offset_x
      - .offset:         144
        .size:           8
        .value_kind:     hidden_global_offset_y
      - .offset:         152
        .size:           8
        .value_kind:     hidden_global_offset_z
      - .offset:         160
        .size:           2
        .value_kind:     hidden_grid_dims
      - .offset:         176
        .size:           8
        .value_kind:     hidden_hostcall_buffer
    .group_segment_fixed_size: 0
    .kernarg_segment_align: 8
    .kernarg_segment_size: 352
    .language:       OpenCL C
    .language_version:
      - 2
      - 0
    .max_flat_workgroup_size: 320
    .name:           _ZL9mul_mat_fI7__half2Li32ELi13ELi5ELb0EEvPKT_PKfPKiPfiiiiiiiiiiiiiiii
    .private_segment_fixed_size: 16
    .sgpr_count:     40
    .sgpr_spill_count: 0
    .symbol:         _ZL9mul_mat_fI7__half2Li32ELi13ELi5ELb0EEvPKT_PKfPKiPfiiiiiiiiiiiiiiii.kd
    .uniform_work_group_size: 1
    .uses_dynamic_stack: false
    .vgpr_count:     38
    .vgpr_spill_count: 0
    .wavefront_size: 64
  - .agpr_count:     0
    .args:
      - .actual_access:  read_only
        .address_space:  global
        .offset:         0
        .size:           8
        .value_kind:     global_buffer
      - .actual_access:  read_only
        .address_space:  global
        .offset:         8
        .size:           8
        .value_kind:     global_buffer
      - .actual_access:  read_only
        .address_space:  global
        .offset:         16
        .size:           8
        .value_kind:     global_buffer
      - .actual_access:  read_only
        .address_space:  global
        .offset:         24
        .size:           8
        .value_kind:     global_buffer
      - .actual_access:  read_only
        .address_space:  global
        .offset:         32
        .size:           8
        .value_kind:     global_buffer
      - .actual_access:  read_only
        .address_space:  global
        .offset:         40
        .size:           8
        .value_kind:     global_buffer
      - .offset:         48
        .size:           4
        .value_kind:     by_value
      - .offset:         52
        .size:           4
        .value_kind:     by_value
      - .offset:         56
        .size:           4
        .value_kind:     by_value
      - .offset:         60
        .size:           4
        .value_kind:     by_value
      - .offset:         64
        .size:           4
        .value_kind:     by_value
      - .offset:         68
        .size:           4
        .value_kind:     by_value
      - .offset:         72
        .size:           4
        .value_kind:     by_value
      - .offset:         76
        .size:           4
        .value_kind:     by_value
      - .offset:         80
        .size:           4
        .value_kind:     by_value
      - .offset:         84
        .size:           4
        .value_kind:     by_value
      - .offset:         88
        .size:           4
        .value_kind:     by_value
      - .offset:         92
        .size:           4
        .value_kind:     by_value
      - .offset:         96
        .size:           4
        .value_kind:     by_value
      - .offset:         100
        .size:           4
        .value_kind:     by_value
      - .offset:         104
        .size:           12
        .value_kind:     by_value
      - .offset:         116
        .size:           12
        .value_kind:     by_value
      - .offset:         128
        .size:           4
        .value_kind:     hidden_block_count_x
      - .offset:         132
        .size:           4
        .value_kind:     hidden_block_count_y
      - .offset:         136
        .size:           4
        .value_kind:     hidden_block_count_z
      - .offset:         140
        .size:           2
        .value_kind:     hidden_group_size_x
      - .offset:         142
        .size:           2
        .value_kind:     hidden_group_size_y
      - .offset:         144
        .size:           2
        .value_kind:     hidden_group_size_z
      - .offset:         146
        .size:           2
        .value_kind:     hidden_remainder_x
      - .offset:         148
        .size:           2
        .value_kind:     hidden_remainder_y
      - .offset:         150
        .size:           2
        .value_kind:     hidden_remainder_z
      - .offset:         168
        .size:           8
        .value_kind:     hidden_global_offset_x
      - .offset:         176
        .size:           8
        .value_kind:     hidden_global_offset_y
      - .offset:         184
        .size:           8
        .value_kind:     hidden_global_offset_z
      - .offset:         192
        .size:           2
        .value_kind:     hidden_grid_dims
      - .offset:         208
        .size:           8
        .value_kind:     hidden_hostcall_buffer
    .group_segment_fixed_size: 0
    .kernarg_segment_align: 8
    .kernarg_segment_size: 384
    .language:       OpenCL C
    .language_version:
      - 2
      - 0
    .max_flat_workgroup_size: 384
    .name:           _ZL13mul_mat_f_idsI7__half2Li32ELi13ELi6EEvPKT_PKfPKiS7_S7_Pfiiiiiiiiiiiiii15HIP_vector_typeIjLj3EESA_
    .private_segment_fixed_size: 16
    .sgpr_count:     40
    .sgpr_spill_count: 0
    .symbol:         _ZL13mul_mat_f_idsI7__half2Li32ELi13ELi6EEvPKT_PKfPKiS7_S7_Pfiiiiiiiiiiiiii15HIP_vector_typeIjLj3EESA_.kd
    .uniform_work_group_size: 1
    .uses_dynamic_stack: false
    .vgpr_count:     38
    .vgpr_spill_count: 0
    .wavefront_size: 64
  - .agpr_count:     0
    .args:
      - .actual_access:  read_only
        .address_space:  global
        .offset:         0
        .size:           8
        .value_kind:     global_buffer
      - .actual_access:  read_only
        .address_space:  global
        .offset:         8
        .size:           8
        .value_kind:     global_buffer
      - .actual_access:  read_only
        .address_space:  global
        .offset:         16
        .size:           8
        .value_kind:     global_buffer
      - .actual_access:  read_only
        .address_space:  global
        .offset:         24
        .size:           8
        .value_kind:     global_buffer
      - .offset:         32
        .size:           4
        .value_kind:     by_value
      - .offset:         36
        .size:           4
        .value_kind:     by_value
      - .offset:         40
        .size:           4
        .value_kind:     by_value
      - .offset:         44
        .size:           4
        .value_kind:     by_value
      - .offset:         48
        .size:           4
        .value_kind:     by_value
      - .offset:         52
        .size:           4
        .value_kind:     by_value
      - .offset:         56
        .size:           4
        .value_kind:     by_value
      - .offset:         60
        .size:           4
        .value_kind:     by_value
      - .offset:         64
        .size:           4
        .value_kind:     by_value
      - .offset:         68
        .size:           4
        .value_kind:     by_value
      - .offset:         72
        .size:           4
        .value_kind:     by_value
      - .offset:         76
        .size:           4
        .value_kind:     by_value
      - .offset:         80
        .size:           4
        .value_kind:     by_value
      - .offset:         84
        .size:           4
        .value_kind:     by_value
      - .offset:         88
        .size:           4
        .value_kind:     by_value
      - .offset:         92
        .size:           4
        .value_kind:     by_value
      - .offset:         96
        .size:           4
        .value_kind:     hidden_block_count_x
      - .offset:         100
        .size:           4
        .value_kind:     hidden_block_count_y
      - .offset:         104
        .size:           4
        .value_kind:     hidden_block_count_z
      - .offset:         108
        .size:           2
        .value_kind:     hidden_group_size_x
      - .offset:         110
        .size:           2
        .value_kind:     hidden_group_size_y
      - .offset:         112
        .size:           2
        .value_kind:     hidden_group_size_z
      - .offset:         114
        .size:           2
        .value_kind:     hidden_remainder_x
      - .offset:         116
        .size:           2
        .value_kind:     hidden_remainder_y
      - .offset:         118
        .size:           2
        .value_kind:     hidden_remainder_z
      - .offset:         136
        .size:           8
        .value_kind:     hidden_global_offset_x
      - .offset:         144
        .size:           8
        .value_kind:     hidden_global_offset_y
      - .offset:         152
        .size:           8
        .value_kind:     hidden_global_offset_z
      - .offset:         160
        .size:           2
        .value_kind:     hidden_grid_dims
      - .offset:         176
        .size:           8
        .value_kind:     hidden_hostcall_buffer
    .group_segment_fixed_size: 0
    .kernarg_segment_align: 8
    .kernarg_segment_size: 352
    .language:       OpenCL C
    .language_version:
      - 2
      - 0
    .max_flat_workgroup_size: 384
    .name:           _ZL9mul_mat_fI7__half2Li32ELi13ELi6ELb1EEvPKT_PKfPKiPfiiiiiiiiiiiiiiii
    .private_segment_fixed_size: 16
    .sgpr_count:     40
    .sgpr_spill_count: 0
    .symbol:         _ZL9mul_mat_fI7__half2Li32ELi13ELi6ELb1EEvPKT_PKfPKiPfiiiiiiiiiiiiiiii.kd
    .uniform_work_group_size: 1
    .uses_dynamic_stack: false
    .vgpr_count:     38
    .vgpr_spill_count: 0
    .wavefront_size: 64
  - .agpr_count:     0
    .args:
      - .actual_access:  read_only
        .address_space:  global
        .offset:         0
        .size:           8
        .value_kind:     global_buffer
      - .actual_access:  read_only
        .address_space:  global
        .offset:         8
        .size:           8
        .value_kind:     global_buffer
      - .actual_access:  read_only
        .address_space:  global
        .offset:         16
        .size:           8
        .value_kind:     global_buffer
      - .actual_access:  read_only
        .address_space:  global
        .offset:         24
        .size:           8
        .value_kind:     global_buffer
      - .offset:         32
        .size:           4
        .value_kind:     by_value
      - .offset:         36
        .size:           4
        .value_kind:     by_value
      - .offset:         40
        .size:           4
        .value_kind:     by_value
      - .offset:         44
        .size:           4
        .value_kind:     by_value
      - .offset:         48
        .size:           4
        .value_kind:     by_value
      - .offset:         52
        .size:           4
        .value_kind:     by_value
      - .offset:         56
        .size:           4
        .value_kind:     by_value
      - .offset:         60
        .size:           4
        .value_kind:     by_value
      - .offset:         64
        .size:           4
        .value_kind:     by_value
      - .offset:         68
        .size:           4
        .value_kind:     by_value
      - .offset:         72
        .size:           4
        .value_kind:     by_value
      - .offset:         76
        .size:           4
        .value_kind:     by_value
      - .offset:         80
        .size:           4
        .value_kind:     by_value
      - .offset:         84
        .size:           4
        .value_kind:     by_value
      - .offset:         88
        .size:           4
        .value_kind:     by_value
      - .offset:         92
        .size:           4
        .value_kind:     by_value
      - .offset:         96
        .size:           4
        .value_kind:     hidden_block_count_x
      - .offset:         100
        .size:           4
        .value_kind:     hidden_block_count_y
      - .offset:         104
        .size:           4
        .value_kind:     hidden_block_count_z
      - .offset:         108
        .size:           2
        .value_kind:     hidden_group_size_x
      - .offset:         110
        .size:           2
        .value_kind:     hidden_group_size_y
      - .offset:         112
        .size:           2
        .value_kind:     hidden_group_size_z
      - .offset:         114
        .size:           2
        .value_kind:     hidden_remainder_x
      - .offset:         116
        .size:           2
        .value_kind:     hidden_remainder_y
      - .offset:         118
        .size:           2
        .value_kind:     hidden_remainder_z
      - .offset:         136
        .size:           8
        .value_kind:     hidden_global_offset_x
      - .offset:         144
        .size:           8
        .value_kind:     hidden_global_offset_y
      - .offset:         152
        .size:           8
        .value_kind:     hidden_global_offset_z
      - .offset:         160
        .size:           2
        .value_kind:     hidden_grid_dims
      - .offset:         176
        .size:           8
        .value_kind:     hidden_hostcall_buffer
    .group_segment_fixed_size: 0
    .kernarg_segment_align: 8
    .kernarg_segment_size: 352
    .language:       OpenCL C
    .language_version:
      - 2
      - 0
    .max_flat_workgroup_size: 384
    .name:           _ZL9mul_mat_fI7__half2Li32ELi13ELi6ELb0EEvPKT_PKfPKiPfiiiiiiiiiiiiiiii
    .private_segment_fixed_size: 16
    .sgpr_count:     40
    .sgpr_spill_count: 0
    .symbol:         _ZL9mul_mat_fI7__half2Li32ELi13ELi6ELb0EEvPKT_PKfPKiPfiiiiiiiiiiiiiiii.kd
    .uniform_work_group_size: 1
    .uses_dynamic_stack: false
    .vgpr_count:     38
    .vgpr_spill_count: 0
    .wavefront_size: 64
  - .agpr_count:     0
    .args:
      - .actual_access:  read_only
        .address_space:  global
        .offset:         0
        .size:           8
        .value_kind:     global_buffer
      - .actual_access:  read_only
        .address_space:  global
        .offset:         8
        .size:           8
        .value_kind:     global_buffer
      - .actual_access:  read_only
        .address_space:  global
        .offset:         16
        .size:           8
        .value_kind:     global_buffer
      - .actual_access:  read_only
        .address_space:  global
        .offset:         24
        .size:           8
        .value_kind:     global_buffer
      - .actual_access:  read_only
        .address_space:  global
        .offset:         32
        .size:           8
        .value_kind:     global_buffer
      - .actual_access:  read_only
        .address_space:  global
        .offset:         40
        .size:           8
        .value_kind:     global_buffer
      - .offset:         48
        .size:           4
        .value_kind:     by_value
      - .offset:         52
        .size:           4
        .value_kind:     by_value
      - .offset:         56
        .size:           4
        .value_kind:     by_value
      - .offset:         60
        .size:           4
        .value_kind:     by_value
      - .offset:         64
        .size:           4
        .value_kind:     by_value
      - .offset:         68
        .size:           4
        .value_kind:     by_value
      - .offset:         72
        .size:           4
        .value_kind:     by_value
      - .offset:         76
        .size:           4
        .value_kind:     by_value
      - .offset:         80
        .size:           4
        .value_kind:     by_value
      - .offset:         84
        .size:           4
        .value_kind:     by_value
      - .offset:         88
        .size:           4
        .value_kind:     by_value
      - .offset:         92
        .size:           4
        .value_kind:     by_value
      - .offset:         96
        .size:           4
        .value_kind:     by_value
      - .offset:         100
        .size:           4
        .value_kind:     by_value
      - .offset:         104
        .size:           12
        .value_kind:     by_value
      - .offset:         116
        .size:           12
        .value_kind:     by_value
      - .offset:         128
        .size:           4
        .value_kind:     hidden_block_count_x
      - .offset:         132
        .size:           4
        .value_kind:     hidden_block_count_y
      - .offset:         136
        .size:           4
        .value_kind:     hidden_block_count_z
      - .offset:         140
        .size:           2
        .value_kind:     hidden_group_size_x
      - .offset:         142
        .size:           2
        .value_kind:     hidden_group_size_y
      - .offset:         144
        .size:           2
        .value_kind:     hidden_group_size_z
      - .offset:         146
        .size:           2
        .value_kind:     hidden_remainder_x
      - .offset:         148
        .size:           2
        .value_kind:     hidden_remainder_y
      - .offset:         150
        .size:           2
        .value_kind:     hidden_remainder_z
      - .offset:         168
        .size:           8
        .value_kind:     hidden_global_offset_x
      - .offset:         176
        .size:           8
        .value_kind:     hidden_global_offset_y
      - .offset:         184
        .size:           8
        .value_kind:     hidden_global_offset_z
      - .offset:         192
        .size:           2
        .value_kind:     hidden_grid_dims
      - .offset:         208
        .size:           8
        .value_kind:     hidden_hostcall_buffer
    .group_segment_fixed_size: 0
    .kernarg_segment_align: 8
    .kernarg_segment_size: 384
    .language:       OpenCL C
    .language_version:
      - 2
      - 0
    .max_flat_workgroup_size: 448
    .name:           _ZL13mul_mat_f_idsI7__half2Li32ELi13ELi7EEvPKT_PKfPKiS7_S7_Pfiiiiiiiiiiiiii15HIP_vector_typeIjLj3EESA_
    .private_segment_fixed_size: 16
    .sgpr_count:     40
    .sgpr_spill_count: 0
    .symbol:         _ZL13mul_mat_f_idsI7__half2Li32ELi13ELi7EEvPKT_PKfPKiS7_S7_Pfiiiiiiiiiiiiii15HIP_vector_typeIjLj3EESA_.kd
    .uniform_work_group_size: 1
    .uses_dynamic_stack: false
    .vgpr_count:     38
    .vgpr_spill_count: 0
    .wavefront_size: 64
  - .agpr_count:     0
    .args:
      - .actual_access:  read_only
        .address_space:  global
        .offset:         0
        .size:           8
        .value_kind:     global_buffer
      - .actual_access:  read_only
        .address_space:  global
        .offset:         8
        .size:           8
        .value_kind:     global_buffer
      - .actual_access:  read_only
        .address_space:  global
        .offset:         16
        .size:           8
        .value_kind:     global_buffer
      - .actual_access:  read_only
        .address_space:  global
        .offset:         24
        .size:           8
        .value_kind:     global_buffer
      - .offset:         32
        .size:           4
        .value_kind:     by_value
      - .offset:         36
        .size:           4
        .value_kind:     by_value
      - .offset:         40
        .size:           4
        .value_kind:     by_value
      - .offset:         44
        .size:           4
        .value_kind:     by_value
      - .offset:         48
        .size:           4
        .value_kind:     by_value
      - .offset:         52
        .size:           4
        .value_kind:     by_value
      - .offset:         56
        .size:           4
        .value_kind:     by_value
      - .offset:         60
        .size:           4
        .value_kind:     by_value
      - .offset:         64
        .size:           4
        .value_kind:     by_value
      - .offset:         68
        .size:           4
        .value_kind:     by_value
      - .offset:         72
        .size:           4
        .value_kind:     by_value
      - .offset:         76
        .size:           4
        .value_kind:     by_value
      - .offset:         80
        .size:           4
        .value_kind:     by_value
      - .offset:         84
        .size:           4
        .value_kind:     by_value
      - .offset:         88
        .size:           4
        .value_kind:     by_value
      - .offset:         92
        .size:           4
        .value_kind:     by_value
      - .offset:         96
        .size:           4
        .value_kind:     hidden_block_count_x
      - .offset:         100
        .size:           4
        .value_kind:     hidden_block_count_y
      - .offset:         104
        .size:           4
        .value_kind:     hidden_block_count_z
      - .offset:         108
        .size:           2
        .value_kind:     hidden_group_size_x
      - .offset:         110
        .size:           2
        .value_kind:     hidden_group_size_y
      - .offset:         112
        .size:           2
        .value_kind:     hidden_group_size_z
      - .offset:         114
        .size:           2
        .value_kind:     hidden_remainder_x
      - .offset:         116
        .size:           2
        .value_kind:     hidden_remainder_y
      - .offset:         118
        .size:           2
        .value_kind:     hidden_remainder_z
      - .offset:         136
        .size:           8
        .value_kind:     hidden_global_offset_x
      - .offset:         144
        .size:           8
        .value_kind:     hidden_global_offset_y
      - .offset:         152
        .size:           8
        .value_kind:     hidden_global_offset_z
      - .offset:         160
        .size:           2
        .value_kind:     hidden_grid_dims
      - .offset:         176
        .size:           8
        .value_kind:     hidden_hostcall_buffer
    .group_segment_fixed_size: 0
    .kernarg_segment_align: 8
    .kernarg_segment_size: 352
    .language:       OpenCL C
    .language_version:
      - 2
      - 0
    .max_flat_workgroup_size: 448
    .name:           _ZL9mul_mat_fI7__half2Li32ELi13ELi7ELb1EEvPKT_PKfPKiPfiiiiiiiiiiiiiiii
    .private_segment_fixed_size: 16
    .sgpr_count:     40
    .sgpr_spill_count: 0
    .symbol:         _ZL9mul_mat_fI7__half2Li32ELi13ELi7ELb1EEvPKT_PKfPKiPfiiiiiiiiiiiiiiii.kd
    .uniform_work_group_size: 1
    .uses_dynamic_stack: false
    .vgpr_count:     38
    .vgpr_spill_count: 0
    .wavefront_size: 64
  - .agpr_count:     0
    .args:
      - .actual_access:  read_only
        .address_space:  global
        .offset:         0
        .size:           8
        .value_kind:     global_buffer
      - .actual_access:  read_only
        .address_space:  global
        .offset:         8
        .size:           8
        .value_kind:     global_buffer
      - .actual_access:  read_only
        .address_space:  global
        .offset:         16
        .size:           8
        .value_kind:     global_buffer
      - .actual_access:  read_only
        .address_space:  global
        .offset:         24
        .size:           8
        .value_kind:     global_buffer
      - .offset:         32
        .size:           4
        .value_kind:     by_value
      - .offset:         36
        .size:           4
        .value_kind:     by_value
      - .offset:         40
        .size:           4
        .value_kind:     by_value
      - .offset:         44
        .size:           4
        .value_kind:     by_value
      - .offset:         48
        .size:           4
        .value_kind:     by_value
      - .offset:         52
        .size:           4
        .value_kind:     by_value
      - .offset:         56
        .size:           4
        .value_kind:     by_value
      - .offset:         60
        .size:           4
        .value_kind:     by_value
      - .offset:         64
        .size:           4
        .value_kind:     by_value
      - .offset:         68
        .size:           4
        .value_kind:     by_value
      - .offset:         72
        .size:           4
        .value_kind:     by_value
      - .offset:         76
        .size:           4
        .value_kind:     by_value
      - .offset:         80
        .size:           4
        .value_kind:     by_value
      - .offset:         84
        .size:           4
        .value_kind:     by_value
      - .offset:         88
        .size:           4
        .value_kind:     by_value
      - .offset:         92
        .size:           4
        .value_kind:     by_value
      - .offset:         96
        .size:           4
        .value_kind:     hidden_block_count_x
      - .offset:         100
        .size:           4
        .value_kind:     hidden_block_count_y
      - .offset:         104
        .size:           4
        .value_kind:     hidden_block_count_z
      - .offset:         108
        .size:           2
        .value_kind:     hidden_group_size_x
      - .offset:         110
        .size:           2
        .value_kind:     hidden_group_size_y
      - .offset:         112
        .size:           2
        .value_kind:     hidden_group_size_z
      - .offset:         114
        .size:           2
        .value_kind:     hidden_remainder_x
      - .offset:         116
        .size:           2
        .value_kind:     hidden_remainder_y
      - .offset:         118
        .size:           2
        .value_kind:     hidden_remainder_z
      - .offset:         136
        .size:           8
        .value_kind:     hidden_global_offset_x
      - .offset:         144
        .size:           8
        .value_kind:     hidden_global_offset_y
      - .offset:         152
        .size:           8
        .value_kind:     hidden_global_offset_z
      - .offset:         160
        .size:           2
        .value_kind:     hidden_grid_dims
      - .offset:         176
        .size:           8
        .value_kind:     hidden_hostcall_buffer
    .group_segment_fixed_size: 0
    .kernarg_segment_align: 8
    .kernarg_segment_size: 352
    .language:       OpenCL C
    .language_version:
      - 2
      - 0
    .max_flat_workgroup_size: 448
    .name:           _ZL9mul_mat_fI7__half2Li32ELi13ELi7ELb0EEvPKT_PKfPKiPfiiiiiiiiiiiiiiii
    .private_segment_fixed_size: 16
    .sgpr_count:     40
    .sgpr_spill_count: 0
    .symbol:         _ZL9mul_mat_fI7__half2Li32ELi13ELi7ELb0EEvPKT_PKfPKiPfiiiiiiiiiiiiiiii.kd
    .uniform_work_group_size: 1
    .uses_dynamic_stack: false
    .vgpr_count:     38
    .vgpr_spill_count: 0
    .wavefront_size: 64
  - .agpr_count:     0
    .args:
      - .actual_access:  read_only
        .address_space:  global
        .offset:         0
        .size:           8
        .value_kind:     global_buffer
      - .actual_access:  read_only
        .address_space:  global
        .offset:         8
        .size:           8
        .value_kind:     global_buffer
      - .actual_access:  read_only
        .address_space:  global
        .offset:         16
        .size:           8
        .value_kind:     global_buffer
      - .actual_access:  read_only
        .address_space:  global
        .offset:         24
        .size:           8
        .value_kind:     global_buffer
      - .actual_access:  read_only
        .address_space:  global
        .offset:         32
        .size:           8
        .value_kind:     global_buffer
      - .actual_access:  read_only
        .address_space:  global
        .offset:         40
        .size:           8
        .value_kind:     global_buffer
      - .offset:         48
        .size:           4
        .value_kind:     by_value
      - .offset:         52
        .size:           4
        .value_kind:     by_value
      - .offset:         56
        .size:           4
        .value_kind:     by_value
      - .offset:         60
        .size:           4
        .value_kind:     by_value
      - .offset:         64
        .size:           4
        .value_kind:     by_value
      - .offset:         68
        .size:           4
        .value_kind:     by_value
      - .offset:         72
        .size:           4
        .value_kind:     by_value
      - .offset:         76
        .size:           4
        .value_kind:     by_value
      - .offset:         80
        .size:           4
        .value_kind:     by_value
      - .offset:         84
        .size:           4
        .value_kind:     by_value
      - .offset:         88
        .size:           4
        .value_kind:     by_value
      - .offset:         92
        .size:           4
        .value_kind:     by_value
      - .offset:         96
        .size:           4
        .value_kind:     by_value
      - .offset:         100
        .size:           4
        .value_kind:     by_value
      - .offset:         104
        .size:           12
        .value_kind:     by_value
      - .offset:         116
        .size:           12
        .value_kind:     by_value
      - .offset:         128
        .size:           4
        .value_kind:     hidden_block_count_x
      - .offset:         132
        .size:           4
        .value_kind:     hidden_block_count_y
      - .offset:         136
        .size:           4
        .value_kind:     hidden_block_count_z
      - .offset:         140
        .size:           2
        .value_kind:     hidden_group_size_x
      - .offset:         142
        .size:           2
        .value_kind:     hidden_group_size_y
      - .offset:         144
        .size:           2
        .value_kind:     hidden_group_size_z
      - .offset:         146
        .size:           2
        .value_kind:     hidden_remainder_x
      - .offset:         148
        .size:           2
        .value_kind:     hidden_remainder_y
      - .offset:         150
        .size:           2
        .value_kind:     hidden_remainder_z
      - .offset:         168
        .size:           8
        .value_kind:     hidden_global_offset_x
      - .offset:         176
        .size:           8
        .value_kind:     hidden_global_offset_y
      - .offset:         184
        .size:           8
        .value_kind:     hidden_global_offset_z
      - .offset:         192
        .size:           2
        .value_kind:     hidden_grid_dims
      - .offset:         208
        .size:           8
        .value_kind:     hidden_hostcall_buffer
    .group_segment_fixed_size: 0
    .kernarg_segment_align: 8
    .kernarg_segment_size: 384
    .language:       OpenCL C
    .language_version:
      - 2
      - 0
    .max_flat_workgroup_size: 512
    .name:           _ZL13mul_mat_f_idsI7__half2Li32ELi13ELi8EEvPKT_PKfPKiS7_S7_Pfiiiiiiiiiiiiii15HIP_vector_typeIjLj3EESA_
    .private_segment_fixed_size: 16
    .sgpr_count:     40
    .sgpr_spill_count: 0
    .symbol:         _ZL13mul_mat_f_idsI7__half2Li32ELi13ELi8EEvPKT_PKfPKiS7_S7_Pfiiiiiiiiiiiiii15HIP_vector_typeIjLj3EESA_.kd
    .uniform_work_group_size: 1
    .uses_dynamic_stack: false
    .vgpr_count:     38
    .vgpr_spill_count: 0
    .wavefront_size: 64
  - .agpr_count:     0
    .args:
      - .actual_access:  read_only
        .address_space:  global
        .offset:         0
        .size:           8
        .value_kind:     global_buffer
      - .actual_access:  read_only
        .address_space:  global
        .offset:         8
        .size:           8
        .value_kind:     global_buffer
      - .actual_access:  read_only
        .address_space:  global
        .offset:         16
        .size:           8
        .value_kind:     global_buffer
      - .actual_access:  read_only
        .address_space:  global
        .offset:         24
        .size:           8
        .value_kind:     global_buffer
      - .offset:         32
        .size:           4
        .value_kind:     by_value
      - .offset:         36
        .size:           4
        .value_kind:     by_value
      - .offset:         40
        .size:           4
        .value_kind:     by_value
      - .offset:         44
        .size:           4
        .value_kind:     by_value
      - .offset:         48
        .size:           4
        .value_kind:     by_value
      - .offset:         52
        .size:           4
        .value_kind:     by_value
      - .offset:         56
        .size:           4
        .value_kind:     by_value
      - .offset:         60
        .size:           4
        .value_kind:     by_value
      - .offset:         64
        .size:           4
        .value_kind:     by_value
      - .offset:         68
        .size:           4
        .value_kind:     by_value
      - .offset:         72
        .size:           4
        .value_kind:     by_value
      - .offset:         76
        .size:           4
        .value_kind:     by_value
      - .offset:         80
        .size:           4
        .value_kind:     by_value
      - .offset:         84
        .size:           4
        .value_kind:     by_value
      - .offset:         88
        .size:           4
        .value_kind:     by_value
      - .offset:         92
        .size:           4
        .value_kind:     by_value
      - .offset:         96
        .size:           4
        .value_kind:     hidden_block_count_x
      - .offset:         100
        .size:           4
        .value_kind:     hidden_block_count_y
      - .offset:         104
        .size:           4
        .value_kind:     hidden_block_count_z
      - .offset:         108
        .size:           2
        .value_kind:     hidden_group_size_x
      - .offset:         110
        .size:           2
        .value_kind:     hidden_group_size_y
      - .offset:         112
        .size:           2
        .value_kind:     hidden_group_size_z
      - .offset:         114
        .size:           2
        .value_kind:     hidden_remainder_x
      - .offset:         116
        .size:           2
        .value_kind:     hidden_remainder_y
      - .offset:         118
        .size:           2
        .value_kind:     hidden_remainder_z
      - .offset:         136
        .size:           8
        .value_kind:     hidden_global_offset_x
      - .offset:         144
        .size:           8
        .value_kind:     hidden_global_offset_y
      - .offset:         152
        .size:           8
        .value_kind:     hidden_global_offset_z
      - .offset:         160
        .size:           2
        .value_kind:     hidden_grid_dims
      - .offset:         176
        .size:           8
        .value_kind:     hidden_hostcall_buffer
    .group_segment_fixed_size: 0
    .kernarg_segment_align: 8
    .kernarg_segment_size: 352
    .language:       OpenCL C
    .language_version:
      - 2
      - 0
    .max_flat_workgroup_size: 512
    .name:           _ZL9mul_mat_fI7__half2Li32ELi13ELi8ELb1EEvPKT_PKfPKiPfiiiiiiiiiiiiiiii
    .private_segment_fixed_size: 16
    .sgpr_count:     40
    .sgpr_spill_count: 0
    .symbol:         _ZL9mul_mat_fI7__half2Li32ELi13ELi8ELb1EEvPKT_PKfPKiPfiiiiiiiiiiiiiiii.kd
    .uniform_work_group_size: 1
    .uses_dynamic_stack: false
    .vgpr_count:     38
    .vgpr_spill_count: 0
    .wavefront_size: 64
  - .agpr_count:     0
    .args:
      - .actual_access:  read_only
        .address_space:  global
        .offset:         0
        .size:           8
        .value_kind:     global_buffer
      - .actual_access:  read_only
        .address_space:  global
        .offset:         8
        .size:           8
        .value_kind:     global_buffer
      - .actual_access:  read_only
        .address_space:  global
        .offset:         16
        .size:           8
        .value_kind:     global_buffer
      - .actual_access:  read_only
        .address_space:  global
        .offset:         24
        .size:           8
        .value_kind:     global_buffer
      - .offset:         32
        .size:           4
        .value_kind:     by_value
      - .offset:         36
        .size:           4
        .value_kind:     by_value
      - .offset:         40
        .size:           4
        .value_kind:     by_value
      - .offset:         44
        .size:           4
        .value_kind:     by_value
      - .offset:         48
        .size:           4
        .value_kind:     by_value
      - .offset:         52
        .size:           4
        .value_kind:     by_value
      - .offset:         56
        .size:           4
        .value_kind:     by_value
      - .offset:         60
        .size:           4
        .value_kind:     by_value
      - .offset:         64
        .size:           4
        .value_kind:     by_value
      - .offset:         68
        .size:           4
        .value_kind:     by_value
      - .offset:         72
        .size:           4
        .value_kind:     by_value
      - .offset:         76
        .size:           4
        .value_kind:     by_value
      - .offset:         80
        .size:           4
        .value_kind:     by_value
      - .offset:         84
        .size:           4
        .value_kind:     by_value
      - .offset:         88
        .size:           4
        .value_kind:     by_value
      - .offset:         92
        .size:           4
        .value_kind:     by_value
      - .offset:         96
        .size:           4
        .value_kind:     hidden_block_count_x
      - .offset:         100
        .size:           4
        .value_kind:     hidden_block_count_y
      - .offset:         104
        .size:           4
        .value_kind:     hidden_block_count_z
      - .offset:         108
        .size:           2
        .value_kind:     hidden_group_size_x
      - .offset:         110
        .size:           2
        .value_kind:     hidden_group_size_y
      - .offset:         112
        .size:           2
        .value_kind:     hidden_group_size_z
      - .offset:         114
        .size:           2
        .value_kind:     hidden_remainder_x
      - .offset:         116
        .size:           2
        .value_kind:     hidden_remainder_y
      - .offset:         118
        .size:           2
        .value_kind:     hidden_remainder_z
      - .offset:         136
        .size:           8
        .value_kind:     hidden_global_offset_x
      - .offset:         144
        .size:           8
        .value_kind:     hidden_global_offset_y
      - .offset:         152
        .size:           8
        .value_kind:     hidden_global_offset_z
      - .offset:         160
        .size:           2
        .value_kind:     hidden_grid_dims
      - .offset:         176
        .size:           8
        .value_kind:     hidden_hostcall_buffer
    .group_segment_fixed_size: 0
    .kernarg_segment_align: 8
    .kernarg_segment_size: 352
    .language:       OpenCL C
    .language_version:
      - 2
      - 0
    .max_flat_workgroup_size: 512
    .name:           _ZL9mul_mat_fI7__half2Li32ELi13ELi8ELb0EEvPKT_PKfPKiPfiiiiiiiiiiiiiiii
    .private_segment_fixed_size: 16
    .sgpr_count:     40
    .sgpr_spill_count: 0
    .symbol:         _ZL9mul_mat_fI7__half2Li32ELi13ELi8ELb0EEvPKT_PKfPKiPfiiiiiiiiiiiiiiii.kd
    .uniform_work_group_size: 1
    .uses_dynamic_stack: false
    .vgpr_count:     38
    .vgpr_spill_count: 0
    .wavefront_size: 64
  - .agpr_count:     0
    .args:
      - .actual_access:  read_only
        .address_space:  global
        .offset:         0
        .size:           8
        .value_kind:     global_buffer
      - .actual_access:  read_only
        .address_space:  global
        .offset:         8
        .size:           8
        .value_kind:     global_buffer
      - .actual_access:  read_only
        .address_space:  global
        .offset:         16
        .size:           8
        .value_kind:     global_buffer
      - .actual_access:  read_only
        .address_space:  global
        .offset:         24
        .size:           8
        .value_kind:     global_buffer
      - .actual_access:  read_only
        .address_space:  global
        .offset:         32
        .size:           8
        .value_kind:     global_buffer
      - .actual_access:  read_only
        .address_space:  global
        .offset:         40
        .size:           8
        .value_kind:     global_buffer
      - .offset:         48
        .size:           4
        .value_kind:     by_value
      - .offset:         52
        .size:           4
        .value_kind:     by_value
      - .offset:         56
        .size:           4
        .value_kind:     by_value
      - .offset:         60
        .size:           4
        .value_kind:     by_value
      - .offset:         64
        .size:           4
        .value_kind:     by_value
      - .offset:         68
        .size:           4
        .value_kind:     by_value
      - .offset:         72
        .size:           4
        .value_kind:     by_value
      - .offset:         76
        .size:           4
        .value_kind:     by_value
      - .offset:         80
        .size:           4
        .value_kind:     by_value
      - .offset:         84
        .size:           4
        .value_kind:     by_value
      - .offset:         88
        .size:           4
        .value_kind:     by_value
      - .offset:         92
        .size:           4
        .value_kind:     by_value
      - .offset:         96
        .size:           4
        .value_kind:     by_value
      - .offset:         100
        .size:           4
        .value_kind:     by_value
      - .offset:         104
        .size:           12
        .value_kind:     by_value
      - .offset:         116
        .size:           12
        .value_kind:     by_value
      - .offset:         128
        .size:           4
        .value_kind:     hidden_block_count_x
      - .offset:         132
        .size:           4
        .value_kind:     hidden_block_count_y
      - .offset:         136
        .size:           4
        .value_kind:     hidden_block_count_z
      - .offset:         140
        .size:           2
        .value_kind:     hidden_group_size_x
      - .offset:         142
        .size:           2
        .value_kind:     hidden_group_size_y
      - .offset:         144
        .size:           2
        .value_kind:     hidden_group_size_z
      - .offset:         146
        .size:           2
        .value_kind:     hidden_remainder_x
      - .offset:         148
        .size:           2
        .value_kind:     hidden_remainder_y
      - .offset:         150
        .size:           2
        .value_kind:     hidden_remainder_z
      - .offset:         168
        .size:           8
        .value_kind:     hidden_global_offset_x
      - .offset:         176
        .size:           8
        .value_kind:     hidden_global_offset_y
      - .offset:         184
        .size:           8
        .value_kind:     hidden_global_offset_z
      - .offset:         192
        .size:           2
        .value_kind:     hidden_grid_dims
      - .offset:         208
        .size:           8
        .value_kind:     hidden_hostcall_buffer
    .group_segment_fixed_size: 0
    .kernarg_segment_align: 8
    .kernarg_segment_size: 384
    .language:       OpenCL C
    .language_version:
      - 2
      - 0
    .max_flat_workgroup_size: 64
    .name:           _ZL13mul_mat_f_idsI15__hip_bfloat162Li32ELi13ELi1EEvPKT_PKfPKiS7_S7_Pfiiiiiiiiiiiiii15HIP_vector_typeIjLj3EESA_
    .private_segment_fixed_size: 16
    .sgpr_count:     40
    .sgpr_spill_count: 0
    .symbol:         _ZL13mul_mat_f_idsI15__hip_bfloat162Li32ELi13ELi1EEvPKT_PKfPKiS7_S7_Pfiiiiiiiiiiiiii15HIP_vector_typeIjLj3EESA_.kd
    .uniform_work_group_size: 1
    .uses_dynamic_stack: false
    .vgpr_count:     38
    .vgpr_spill_count: 0
    .wavefront_size: 64
  - .agpr_count:     0
    .args:
      - .actual_access:  read_only
        .address_space:  global
        .offset:         0
        .size:           8
        .value_kind:     global_buffer
      - .actual_access:  read_only
        .address_space:  global
        .offset:         8
        .size:           8
        .value_kind:     global_buffer
      - .actual_access:  read_only
        .address_space:  global
        .offset:         16
        .size:           8
        .value_kind:     global_buffer
      - .actual_access:  read_only
        .address_space:  global
        .offset:         24
        .size:           8
        .value_kind:     global_buffer
      - .offset:         32
        .size:           4
        .value_kind:     by_value
      - .offset:         36
        .size:           4
        .value_kind:     by_value
      - .offset:         40
        .size:           4
        .value_kind:     by_value
      - .offset:         44
        .size:           4
        .value_kind:     by_value
      - .offset:         48
        .size:           4
        .value_kind:     by_value
      - .offset:         52
        .size:           4
        .value_kind:     by_value
      - .offset:         56
        .size:           4
        .value_kind:     by_value
      - .offset:         60
        .size:           4
        .value_kind:     by_value
      - .offset:         64
        .size:           4
        .value_kind:     by_value
      - .offset:         68
        .size:           4
        .value_kind:     by_value
      - .offset:         72
        .size:           4
        .value_kind:     by_value
      - .offset:         76
        .size:           4
        .value_kind:     by_value
      - .offset:         80
        .size:           4
        .value_kind:     by_value
      - .offset:         84
        .size:           4
        .value_kind:     by_value
      - .offset:         88
        .size:           4
        .value_kind:     by_value
      - .offset:         92
        .size:           4
        .value_kind:     by_value
      - .offset:         96
        .size:           4
        .value_kind:     hidden_block_count_x
      - .offset:         100
        .size:           4
        .value_kind:     hidden_block_count_y
      - .offset:         104
        .size:           4
        .value_kind:     hidden_block_count_z
      - .offset:         108
        .size:           2
        .value_kind:     hidden_group_size_x
      - .offset:         110
        .size:           2
        .value_kind:     hidden_group_size_y
      - .offset:         112
        .size:           2
        .value_kind:     hidden_group_size_z
      - .offset:         114
        .size:           2
        .value_kind:     hidden_remainder_x
      - .offset:         116
        .size:           2
        .value_kind:     hidden_remainder_y
      - .offset:         118
        .size:           2
        .value_kind:     hidden_remainder_z
      - .offset:         136
        .size:           8
        .value_kind:     hidden_global_offset_x
      - .offset:         144
        .size:           8
        .value_kind:     hidden_global_offset_y
      - .offset:         152
        .size:           8
        .value_kind:     hidden_global_offset_z
      - .offset:         160
        .size:           2
        .value_kind:     hidden_grid_dims
      - .offset:         176
        .size:           8
        .value_kind:     hidden_hostcall_buffer
    .group_segment_fixed_size: 0
    .kernarg_segment_align: 8
    .kernarg_segment_size: 352
    .language:       OpenCL C
    .language_version:
      - 2
      - 0
    .max_flat_workgroup_size: 64
    .name:           _ZL9mul_mat_fI15__hip_bfloat162Li32ELi13ELi1ELb1EEvPKT_PKfPKiPfiiiiiiiiiiiiiiii
    .private_segment_fixed_size: 16
    .sgpr_count:     40
    .sgpr_spill_count: 0
    .symbol:         _ZL9mul_mat_fI15__hip_bfloat162Li32ELi13ELi1ELb1EEvPKT_PKfPKiPfiiiiiiiiiiiiiiii.kd
    .uniform_work_group_size: 1
    .uses_dynamic_stack: false
    .vgpr_count:     38
    .vgpr_spill_count: 0
    .wavefront_size: 64
  - .agpr_count:     0
    .args:
      - .actual_access:  read_only
        .address_space:  global
        .offset:         0
        .size:           8
        .value_kind:     global_buffer
      - .actual_access:  read_only
        .address_space:  global
        .offset:         8
        .size:           8
        .value_kind:     global_buffer
      - .actual_access:  read_only
        .address_space:  global
        .offset:         16
        .size:           8
        .value_kind:     global_buffer
      - .actual_access:  read_only
        .address_space:  global
        .offset:         24
        .size:           8
        .value_kind:     global_buffer
      - .offset:         32
        .size:           4
        .value_kind:     by_value
      - .offset:         36
        .size:           4
        .value_kind:     by_value
      - .offset:         40
        .size:           4
        .value_kind:     by_value
      - .offset:         44
        .size:           4
        .value_kind:     by_value
      - .offset:         48
        .size:           4
        .value_kind:     by_value
      - .offset:         52
        .size:           4
        .value_kind:     by_value
      - .offset:         56
        .size:           4
        .value_kind:     by_value
      - .offset:         60
        .size:           4
        .value_kind:     by_value
      - .offset:         64
        .size:           4
        .value_kind:     by_value
      - .offset:         68
        .size:           4
        .value_kind:     by_value
      - .offset:         72
        .size:           4
        .value_kind:     by_value
      - .offset:         76
        .size:           4
        .value_kind:     by_value
      - .offset:         80
        .size:           4
        .value_kind:     by_value
      - .offset:         84
        .size:           4
        .value_kind:     by_value
      - .offset:         88
        .size:           4
        .value_kind:     by_value
      - .offset:         92
        .size:           4
        .value_kind:     by_value
      - .offset:         96
        .size:           4
        .value_kind:     hidden_block_count_x
      - .offset:         100
        .size:           4
        .value_kind:     hidden_block_count_y
      - .offset:         104
        .size:           4
        .value_kind:     hidden_block_count_z
      - .offset:         108
        .size:           2
        .value_kind:     hidden_group_size_x
      - .offset:         110
        .size:           2
        .value_kind:     hidden_group_size_y
      - .offset:         112
        .size:           2
        .value_kind:     hidden_group_size_z
      - .offset:         114
        .size:           2
        .value_kind:     hidden_remainder_x
      - .offset:         116
        .size:           2
        .value_kind:     hidden_remainder_y
      - .offset:         118
        .size:           2
        .value_kind:     hidden_remainder_z
      - .offset:         136
        .size:           8
        .value_kind:     hidden_global_offset_x
      - .offset:         144
        .size:           8
        .value_kind:     hidden_global_offset_y
      - .offset:         152
        .size:           8
        .value_kind:     hidden_global_offset_z
      - .offset:         160
        .size:           2
        .value_kind:     hidden_grid_dims
      - .offset:         176
        .size:           8
        .value_kind:     hidden_hostcall_buffer
    .group_segment_fixed_size: 0
    .kernarg_segment_align: 8
    .kernarg_segment_size: 352
    .language:       OpenCL C
    .language_version:
      - 2
      - 0
    .max_flat_workgroup_size: 64
    .name:           _ZL9mul_mat_fI15__hip_bfloat162Li32ELi13ELi1ELb0EEvPKT_PKfPKiPfiiiiiiiiiiiiiiii
    .private_segment_fixed_size: 16
    .sgpr_count:     40
    .sgpr_spill_count: 0
    .symbol:         _ZL9mul_mat_fI15__hip_bfloat162Li32ELi13ELi1ELb0EEvPKT_PKfPKiPfiiiiiiiiiiiiiiii.kd
    .uniform_work_group_size: 1
    .uses_dynamic_stack: false
    .vgpr_count:     38
    .vgpr_spill_count: 0
    .wavefront_size: 64
  - .agpr_count:     0
    .args:
      - .actual_access:  read_only
        .address_space:  global
        .offset:         0
        .size:           8
        .value_kind:     global_buffer
      - .actual_access:  read_only
        .address_space:  global
        .offset:         8
        .size:           8
        .value_kind:     global_buffer
      - .actual_access:  read_only
        .address_space:  global
        .offset:         16
        .size:           8
        .value_kind:     global_buffer
      - .actual_access:  read_only
        .address_space:  global
        .offset:         24
        .size:           8
        .value_kind:     global_buffer
      - .actual_access:  read_only
        .address_space:  global
        .offset:         32
        .size:           8
        .value_kind:     global_buffer
      - .actual_access:  read_only
        .address_space:  global
        .offset:         40
        .size:           8
        .value_kind:     global_buffer
      - .offset:         48
        .size:           4
        .value_kind:     by_value
      - .offset:         52
        .size:           4
        .value_kind:     by_value
      - .offset:         56
        .size:           4
        .value_kind:     by_value
      - .offset:         60
        .size:           4
        .value_kind:     by_value
      - .offset:         64
        .size:           4
        .value_kind:     by_value
      - .offset:         68
        .size:           4
        .value_kind:     by_value
      - .offset:         72
        .size:           4
        .value_kind:     by_value
      - .offset:         76
        .size:           4
        .value_kind:     by_value
      - .offset:         80
        .size:           4
        .value_kind:     by_value
      - .offset:         84
        .size:           4
        .value_kind:     by_value
      - .offset:         88
        .size:           4
        .value_kind:     by_value
      - .offset:         92
        .size:           4
        .value_kind:     by_value
      - .offset:         96
        .size:           4
        .value_kind:     by_value
      - .offset:         100
        .size:           4
        .value_kind:     by_value
      - .offset:         104
        .size:           12
        .value_kind:     by_value
      - .offset:         116
        .size:           12
        .value_kind:     by_value
      - .offset:         128
        .size:           4
        .value_kind:     hidden_block_count_x
      - .offset:         132
        .size:           4
        .value_kind:     hidden_block_count_y
      - .offset:         136
        .size:           4
        .value_kind:     hidden_block_count_z
      - .offset:         140
        .size:           2
        .value_kind:     hidden_group_size_x
      - .offset:         142
        .size:           2
        .value_kind:     hidden_group_size_y
      - .offset:         144
        .size:           2
        .value_kind:     hidden_group_size_z
      - .offset:         146
        .size:           2
        .value_kind:     hidden_remainder_x
      - .offset:         148
        .size:           2
        .value_kind:     hidden_remainder_y
      - .offset:         150
        .size:           2
        .value_kind:     hidden_remainder_z
      - .offset:         168
        .size:           8
        .value_kind:     hidden_global_offset_x
      - .offset:         176
        .size:           8
        .value_kind:     hidden_global_offset_y
      - .offset:         184
        .size:           8
        .value_kind:     hidden_global_offset_z
      - .offset:         192
        .size:           2
        .value_kind:     hidden_grid_dims
      - .offset:         208
        .size:           8
        .value_kind:     hidden_hostcall_buffer
    .group_segment_fixed_size: 0
    .kernarg_segment_align: 8
    .kernarg_segment_size: 384
    .language:       OpenCL C
    .language_version:
      - 2
      - 0
    .max_flat_workgroup_size: 128
    .name:           _ZL13mul_mat_f_idsI15__hip_bfloat162Li32ELi13ELi2EEvPKT_PKfPKiS7_S7_Pfiiiiiiiiiiiiii15HIP_vector_typeIjLj3EESA_
    .private_segment_fixed_size: 16
    .sgpr_count:     40
    .sgpr_spill_count: 0
    .symbol:         _ZL13mul_mat_f_idsI15__hip_bfloat162Li32ELi13ELi2EEvPKT_PKfPKiS7_S7_Pfiiiiiiiiiiiiii15HIP_vector_typeIjLj3EESA_.kd
    .uniform_work_group_size: 1
    .uses_dynamic_stack: false
    .vgpr_count:     38
    .vgpr_spill_count: 0
    .wavefront_size: 64
  - .agpr_count:     0
    .args:
      - .actual_access:  read_only
        .address_space:  global
        .offset:         0
        .size:           8
        .value_kind:     global_buffer
      - .actual_access:  read_only
        .address_space:  global
        .offset:         8
        .size:           8
        .value_kind:     global_buffer
      - .actual_access:  read_only
        .address_space:  global
        .offset:         16
        .size:           8
        .value_kind:     global_buffer
      - .actual_access:  read_only
        .address_space:  global
        .offset:         24
        .size:           8
        .value_kind:     global_buffer
      - .offset:         32
        .size:           4
        .value_kind:     by_value
      - .offset:         36
        .size:           4
        .value_kind:     by_value
      - .offset:         40
        .size:           4
        .value_kind:     by_value
      - .offset:         44
        .size:           4
        .value_kind:     by_value
      - .offset:         48
        .size:           4
        .value_kind:     by_value
      - .offset:         52
        .size:           4
        .value_kind:     by_value
      - .offset:         56
        .size:           4
        .value_kind:     by_value
      - .offset:         60
        .size:           4
        .value_kind:     by_value
      - .offset:         64
        .size:           4
        .value_kind:     by_value
      - .offset:         68
        .size:           4
        .value_kind:     by_value
      - .offset:         72
        .size:           4
        .value_kind:     by_value
      - .offset:         76
        .size:           4
        .value_kind:     by_value
      - .offset:         80
        .size:           4
        .value_kind:     by_value
      - .offset:         84
        .size:           4
        .value_kind:     by_value
      - .offset:         88
        .size:           4
        .value_kind:     by_value
      - .offset:         92
        .size:           4
        .value_kind:     by_value
      - .offset:         96
        .size:           4
        .value_kind:     hidden_block_count_x
      - .offset:         100
        .size:           4
        .value_kind:     hidden_block_count_y
      - .offset:         104
        .size:           4
        .value_kind:     hidden_block_count_z
      - .offset:         108
        .size:           2
        .value_kind:     hidden_group_size_x
      - .offset:         110
        .size:           2
        .value_kind:     hidden_group_size_y
      - .offset:         112
        .size:           2
        .value_kind:     hidden_group_size_z
      - .offset:         114
        .size:           2
        .value_kind:     hidden_remainder_x
      - .offset:         116
        .size:           2
        .value_kind:     hidden_remainder_y
      - .offset:         118
        .size:           2
        .value_kind:     hidden_remainder_z
      - .offset:         136
        .size:           8
        .value_kind:     hidden_global_offset_x
      - .offset:         144
        .size:           8
        .value_kind:     hidden_global_offset_y
      - .offset:         152
        .size:           8
        .value_kind:     hidden_global_offset_z
      - .offset:         160
        .size:           2
        .value_kind:     hidden_grid_dims
      - .offset:         176
        .size:           8
        .value_kind:     hidden_hostcall_buffer
    .group_segment_fixed_size: 0
    .kernarg_segment_align: 8
    .kernarg_segment_size: 352
    .language:       OpenCL C
    .language_version:
      - 2
      - 0
    .max_flat_workgroup_size: 128
    .name:           _ZL9mul_mat_fI15__hip_bfloat162Li32ELi13ELi2ELb1EEvPKT_PKfPKiPfiiiiiiiiiiiiiiii
    .private_segment_fixed_size: 16
    .sgpr_count:     40
    .sgpr_spill_count: 0
    .symbol:         _ZL9mul_mat_fI15__hip_bfloat162Li32ELi13ELi2ELb1EEvPKT_PKfPKiPfiiiiiiiiiiiiiiii.kd
    .uniform_work_group_size: 1
    .uses_dynamic_stack: false
    .vgpr_count:     38
    .vgpr_spill_count: 0
    .wavefront_size: 64
  - .agpr_count:     0
    .args:
      - .actual_access:  read_only
        .address_space:  global
        .offset:         0
        .size:           8
        .value_kind:     global_buffer
      - .actual_access:  read_only
        .address_space:  global
        .offset:         8
        .size:           8
        .value_kind:     global_buffer
      - .actual_access:  read_only
        .address_space:  global
        .offset:         16
        .size:           8
        .value_kind:     global_buffer
      - .actual_access:  read_only
        .address_space:  global
        .offset:         24
        .size:           8
        .value_kind:     global_buffer
      - .offset:         32
        .size:           4
        .value_kind:     by_value
      - .offset:         36
        .size:           4
        .value_kind:     by_value
      - .offset:         40
        .size:           4
        .value_kind:     by_value
      - .offset:         44
        .size:           4
        .value_kind:     by_value
      - .offset:         48
        .size:           4
        .value_kind:     by_value
      - .offset:         52
        .size:           4
        .value_kind:     by_value
      - .offset:         56
        .size:           4
        .value_kind:     by_value
      - .offset:         60
        .size:           4
        .value_kind:     by_value
      - .offset:         64
        .size:           4
        .value_kind:     by_value
      - .offset:         68
        .size:           4
        .value_kind:     by_value
      - .offset:         72
        .size:           4
        .value_kind:     by_value
      - .offset:         76
        .size:           4
        .value_kind:     by_value
      - .offset:         80
        .size:           4
        .value_kind:     by_value
      - .offset:         84
        .size:           4
        .value_kind:     by_value
      - .offset:         88
        .size:           4
        .value_kind:     by_value
      - .offset:         92
        .size:           4
        .value_kind:     by_value
      - .offset:         96
        .size:           4
        .value_kind:     hidden_block_count_x
      - .offset:         100
        .size:           4
        .value_kind:     hidden_block_count_y
      - .offset:         104
        .size:           4
        .value_kind:     hidden_block_count_z
      - .offset:         108
        .size:           2
        .value_kind:     hidden_group_size_x
      - .offset:         110
        .size:           2
        .value_kind:     hidden_group_size_y
      - .offset:         112
        .size:           2
        .value_kind:     hidden_group_size_z
      - .offset:         114
        .size:           2
        .value_kind:     hidden_remainder_x
      - .offset:         116
        .size:           2
        .value_kind:     hidden_remainder_y
      - .offset:         118
        .size:           2
        .value_kind:     hidden_remainder_z
      - .offset:         136
        .size:           8
        .value_kind:     hidden_global_offset_x
      - .offset:         144
        .size:           8
        .value_kind:     hidden_global_offset_y
      - .offset:         152
        .size:           8
        .value_kind:     hidden_global_offset_z
      - .offset:         160
        .size:           2
        .value_kind:     hidden_grid_dims
      - .offset:         176
        .size:           8
        .value_kind:     hidden_hostcall_buffer
    .group_segment_fixed_size: 0
    .kernarg_segment_align: 8
    .kernarg_segment_size: 352
    .language:       OpenCL C
    .language_version:
      - 2
      - 0
    .max_flat_workgroup_size: 128
    .name:           _ZL9mul_mat_fI15__hip_bfloat162Li32ELi13ELi2ELb0EEvPKT_PKfPKiPfiiiiiiiiiiiiiiii
    .private_segment_fixed_size: 16
    .sgpr_count:     40
    .sgpr_spill_count: 0
    .symbol:         _ZL9mul_mat_fI15__hip_bfloat162Li32ELi13ELi2ELb0EEvPKT_PKfPKiPfiiiiiiiiiiiiiiii.kd
    .uniform_work_group_size: 1
    .uses_dynamic_stack: false
    .vgpr_count:     38
    .vgpr_spill_count: 0
    .wavefront_size: 64
  - .agpr_count:     0
    .args:
      - .actual_access:  read_only
        .address_space:  global
        .offset:         0
        .size:           8
        .value_kind:     global_buffer
      - .actual_access:  read_only
        .address_space:  global
        .offset:         8
        .size:           8
        .value_kind:     global_buffer
      - .actual_access:  read_only
        .address_space:  global
        .offset:         16
        .size:           8
        .value_kind:     global_buffer
      - .actual_access:  read_only
        .address_space:  global
        .offset:         24
        .size:           8
        .value_kind:     global_buffer
      - .actual_access:  read_only
        .address_space:  global
        .offset:         32
        .size:           8
        .value_kind:     global_buffer
      - .actual_access:  read_only
        .address_space:  global
        .offset:         40
        .size:           8
        .value_kind:     global_buffer
      - .offset:         48
        .size:           4
        .value_kind:     by_value
      - .offset:         52
        .size:           4
        .value_kind:     by_value
      - .offset:         56
        .size:           4
        .value_kind:     by_value
      - .offset:         60
        .size:           4
        .value_kind:     by_value
      - .offset:         64
        .size:           4
        .value_kind:     by_value
      - .offset:         68
        .size:           4
        .value_kind:     by_value
      - .offset:         72
        .size:           4
        .value_kind:     by_value
      - .offset:         76
        .size:           4
        .value_kind:     by_value
      - .offset:         80
        .size:           4
        .value_kind:     by_value
      - .offset:         84
        .size:           4
        .value_kind:     by_value
      - .offset:         88
        .size:           4
        .value_kind:     by_value
      - .offset:         92
        .size:           4
        .value_kind:     by_value
      - .offset:         96
        .size:           4
        .value_kind:     by_value
      - .offset:         100
        .size:           4
        .value_kind:     by_value
      - .offset:         104
        .size:           12
        .value_kind:     by_value
      - .offset:         116
        .size:           12
        .value_kind:     by_value
      - .offset:         128
        .size:           4
        .value_kind:     hidden_block_count_x
      - .offset:         132
        .size:           4
        .value_kind:     hidden_block_count_y
      - .offset:         136
        .size:           4
        .value_kind:     hidden_block_count_z
      - .offset:         140
        .size:           2
        .value_kind:     hidden_group_size_x
      - .offset:         142
        .size:           2
        .value_kind:     hidden_group_size_y
      - .offset:         144
        .size:           2
        .value_kind:     hidden_group_size_z
      - .offset:         146
        .size:           2
        .value_kind:     hidden_remainder_x
      - .offset:         148
        .size:           2
        .value_kind:     hidden_remainder_y
      - .offset:         150
        .size:           2
        .value_kind:     hidden_remainder_z
      - .offset:         168
        .size:           8
        .value_kind:     hidden_global_offset_x
      - .offset:         176
        .size:           8
        .value_kind:     hidden_global_offset_y
      - .offset:         184
        .size:           8
        .value_kind:     hidden_global_offset_z
      - .offset:         192
        .size:           2
        .value_kind:     hidden_grid_dims
      - .offset:         208
        .size:           8
        .value_kind:     hidden_hostcall_buffer
    .group_segment_fixed_size: 0
    .kernarg_segment_align: 8
    .kernarg_segment_size: 384
    .language:       OpenCL C
    .language_version:
      - 2
      - 0
    .max_flat_workgroup_size: 192
    .name:           _ZL13mul_mat_f_idsI15__hip_bfloat162Li32ELi13ELi3EEvPKT_PKfPKiS7_S7_Pfiiiiiiiiiiiiii15HIP_vector_typeIjLj3EESA_
    .private_segment_fixed_size: 16
    .sgpr_count:     40
    .sgpr_spill_count: 0
    .symbol:         _ZL13mul_mat_f_idsI15__hip_bfloat162Li32ELi13ELi3EEvPKT_PKfPKiS7_S7_Pfiiiiiiiiiiiiii15HIP_vector_typeIjLj3EESA_.kd
    .uniform_work_group_size: 1
    .uses_dynamic_stack: false
    .vgpr_count:     38
    .vgpr_spill_count: 0
    .wavefront_size: 64
  - .agpr_count:     0
    .args:
      - .actual_access:  read_only
        .address_space:  global
        .offset:         0
        .size:           8
        .value_kind:     global_buffer
      - .actual_access:  read_only
        .address_space:  global
        .offset:         8
        .size:           8
        .value_kind:     global_buffer
      - .actual_access:  read_only
        .address_space:  global
        .offset:         16
        .size:           8
        .value_kind:     global_buffer
      - .actual_access:  read_only
        .address_space:  global
        .offset:         24
        .size:           8
        .value_kind:     global_buffer
      - .offset:         32
        .size:           4
        .value_kind:     by_value
      - .offset:         36
        .size:           4
        .value_kind:     by_value
      - .offset:         40
        .size:           4
        .value_kind:     by_value
      - .offset:         44
        .size:           4
        .value_kind:     by_value
      - .offset:         48
        .size:           4
        .value_kind:     by_value
      - .offset:         52
        .size:           4
        .value_kind:     by_value
      - .offset:         56
        .size:           4
        .value_kind:     by_value
      - .offset:         60
        .size:           4
        .value_kind:     by_value
      - .offset:         64
        .size:           4
        .value_kind:     by_value
      - .offset:         68
        .size:           4
        .value_kind:     by_value
      - .offset:         72
        .size:           4
        .value_kind:     by_value
      - .offset:         76
        .size:           4
        .value_kind:     by_value
      - .offset:         80
        .size:           4
        .value_kind:     by_value
      - .offset:         84
        .size:           4
        .value_kind:     by_value
      - .offset:         88
        .size:           4
        .value_kind:     by_value
      - .offset:         92
        .size:           4
        .value_kind:     by_value
      - .offset:         96
        .size:           4
        .value_kind:     hidden_block_count_x
      - .offset:         100
        .size:           4
        .value_kind:     hidden_block_count_y
      - .offset:         104
        .size:           4
        .value_kind:     hidden_block_count_z
      - .offset:         108
        .size:           2
        .value_kind:     hidden_group_size_x
      - .offset:         110
        .size:           2
        .value_kind:     hidden_group_size_y
      - .offset:         112
        .size:           2
        .value_kind:     hidden_group_size_z
      - .offset:         114
        .size:           2
        .value_kind:     hidden_remainder_x
      - .offset:         116
        .size:           2
        .value_kind:     hidden_remainder_y
      - .offset:         118
        .size:           2
        .value_kind:     hidden_remainder_z
      - .offset:         136
        .size:           8
        .value_kind:     hidden_global_offset_x
      - .offset:         144
        .size:           8
        .value_kind:     hidden_global_offset_y
      - .offset:         152
        .size:           8
        .value_kind:     hidden_global_offset_z
      - .offset:         160
        .size:           2
        .value_kind:     hidden_grid_dims
      - .offset:         176
        .size:           8
        .value_kind:     hidden_hostcall_buffer
    .group_segment_fixed_size: 0
    .kernarg_segment_align: 8
    .kernarg_segment_size: 352
    .language:       OpenCL C
    .language_version:
      - 2
      - 0
    .max_flat_workgroup_size: 192
    .name:           _ZL9mul_mat_fI15__hip_bfloat162Li32ELi13ELi3ELb1EEvPKT_PKfPKiPfiiiiiiiiiiiiiiii
    .private_segment_fixed_size: 16
    .sgpr_count:     40
    .sgpr_spill_count: 0
    .symbol:         _ZL9mul_mat_fI15__hip_bfloat162Li32ELi13ELi3ELb1EEvPKT_PKfPKiPfiiiiiiiiiiiiiiii.kd
    .uniform_work_group_size: 1
    .uses_dynamic_stack: false
    .vgpr_count:     38
    .vgpr_spill_count: 0
    .wavefront_size: 64
  - .agpr_count:     0
    .args:
      - .actual_access:  read_only
        .address_space:  global
        .offset:         0
        .size:           8
        .value_kind:     global_buffer
      - .actual_access:  read_only
        .address_space:  global
        .offset:         8
        .size:           8
        .value_kind:     global_buffer
      - .actual_access:  read_only
        .address_space:  global
        .offset:         16
        .size:           8
        .value_kind:     global_buffer
      - .actual_access:  read_only
        .address_space:  global
        .offset:         24
        .size:           8
        .value_kind:     global_buffer
      - .offset:         32
        .size:           4
        .value_kind:     by_value
      - .offset:         36
        .size:           4
        .value_kind:     by_value
      - .offset:         40
        .size:           4
        .value_kind:     by_value
      - .offset:         44
        .size:           4
        .value_kind:     by_value
      - .offset:         48
        .size:           4
        .value_kind:     by_value
      - .offset:         52
        .size:           4
        .value_kind:     by_value
      - .offset:         56
        .size:           4
        .value_kind:     by_value
      - .offset:         60
        .size:           4
        .value_kind:     by_value
      - .offset:         64
        .size:           4
        .value_kind:     by_value
      - .offset:         68
        .size:           4
        .value_kind:     by_value
      - .offset:         72
        .size:           4
        .value_kind:     by_value
      - .offset:         76
        .size:           4
        .value_kind:     by_value
      - .offset:         80
        .size:           4
        .value_kind:     by_value
      - .offset:         84
        .size:           4
        .value_kind:     by_value
      - .offset:         88
        .size:           4
        .value_kind:     by_value
      - .offset:         92
        .size:           4
        .value_kind:     by_value
      - .offset:         96
        .size:           4
        .value_kind:     hidden_block_count_x
      - .offset:         100
        .size:           4
        .value_kind:     hidden_block_count_y
      - .offset:         104
        .size:           4
        .value_kind:     hidden_block_count_z
      - .offset:         108
        .size:           2
        .value_kind:     hidden_group_size_x
      - .offset:         110
        .size:           2
        .value_kind:     hidden_group_size_y
      - .offset:         112
        .size:           2
        .value_kind:     hidden_group_size_z
      - .offset:         114
        .size:           2
        .value_kind:     hidden_remainder_x
      - .offset:         116
        .size:           2
        .value_kind:     hidden_remainder_y
      - .offset:         118
        .size:           2
        .value_kind:     hidden_remainder_z
      - .offset:         136
        .size:           8
        .value_kind:     hidden_global_offset_x
      - .offset:         144
        .size:           8
        .value_kind:     hidden_global_offset_y
      - .offset:         152
        .size:           8
        .value_kind:     hidden_global_offset_z
      - .offset:         160
        .size:           2
        .value_kind:     hidden_grid_dims
      - .offset:         176
        .size:           8
        .value_kind:     hidden_hostcall_buffer
    .group_segment_fixed_size: 0
    .kernarg_segment_align: 8
    .kernarg_segment_size: 352
    .language:       OpenCL C
    .language_version:
      - 2
      - 0
    .max_flat_workgroup_size: 192
    .name:           _ZL9mul_mat_fI15__hip_bfloat162Li32ELi13ELi3ELb0EEvPKT_PKfPKiPfiiiiiiiiiiiiiiii
    .private_segment_fixed_size: 16
    .sgpr_count:     40
    .sgpr_spill_count: 0
    .symbol:         _ZL9mul_mat_fI15__hip_bfloat162Li32ELi13ELi3ELb0EEvPKT_PKfPKiPfiiiiiiiiiiiiiiii.kd
    .uniform_work_group_size: 1
    .uses_dynamic_stack: false
    .vgpr_count:     38
    .vgpr_spill_count: 0
    .wavefront_size: 64
  - .agpr_count:     0
    .args:
      - .actual_access:  read_only
        .address_space:  global
        .offset:         0
        .size:           8
        .value_kind:     global_buffer
      - .actual_access:  read_only
        .address_space:  global
        .offset:         8
        .size:           8
        .value_kind:     global_buffer
      - .actual_access:  read_only
        .address_space:  global
        .offset:         16
        .size:           8
        .value_kind:     global_buffer
      - .actual_access:  read_only
        .address_space:  global
        .offset:         24
        .size:           8
        .value_kind:     global_buffer
      - .actual_access:  read_only
        .address_space:  global
        .offset:         32
        .size:           8
        .value_kind:     global_buffer
      - .actual_access:  read_only
        .address_space:  global
        .offset:         40
        .size:           8
        .value_kind:     global_buffer
      - .offset:         48
        .size:           4
        .value_kind:     by_value
      - .offset:         52
        .size:           4
        .value_kind:     by_value
      - .offset:         56
        .size:           4
        .value_kind:     by_value
      - .offset:         60
        .size:           4
        .value_kind:     by_value
      - .offset:         64
        .size:           4
        .value_kind:     by_value
      - .offset:         68
        .size:           4
        .value_kind:     by_value
      - .offset:         72
        .size:           4
        .value_kind:     by_value
      - .offset:         76
        .size:           4
        .value_kind:     by_value
      - .offset:         80
        .size:           4
        .value_kind:     by_value
      - .offset:         84
        .size:           4
        .value_kind:     by_value
      - .offset:         88
        .size:           4
        .value_kind:     by_value
      - .offset:         92
        .size:           4
        .value_kind:     by_value
      - .offset:         96
        .size:           4
        .value_kind:     by_value
      - .offset:         100
        .size:           4
        .value_kind:     by_value
      - .offset:         104
        .size:           12
        .value_kind:     by_value
      - .offset:         116
        .size:           12
        .value_kind:     by_value
      - .offset:         128
        .size:           4
        .value_kind:     hidden_block_count_x
      - .offset:         132
        .size:           4
        .value_kind:     hidden_block_count_y
      - .offset:         136
        .size:           4
        .value_kind:     hidden_block_count_z
      - .offset:         140
        .size:           2
        .value_kind:     hidden_group_size_x
      - .offset:         142
        .size:           2
        .value_kind:     hidden_group_size_y
      - .offset:         144
        .size:           2
        .value_kind:     hidden_group_size_z
      - .offset:         146
        .size:           2
        .value_kind:     hidden_remainder_x
      - .offset:         148
        .size:           2
        .value_kind:     hidden_remainder_y
      - .offset:         150
        .size:           2
        .value_kind:     hidden_remainder_z
      - .offset:         168
        .size:           8
        .value_kind:     hidden_global_offset_x
      - .offset:         176
        .size:           8
        .value_kind:     hidden_global_offset_y
      - .offset:         184
        .size:           8
        .value_kind:     hidden_global_offset_z
      - .offset:         192
        .size:           2
        .value_kind:     hidden_grid_dims
      - .offset:         208
        .size:           8
        .value_kind:     hidden_hostcall_buffer
    .group_segment_fixed_size: 0
    .kernarg_segment_align: 8
    .kernarg_segment_size: 384
    .language:       OpenCL C
    .language_version:
      - 2
      - 0
    .max_flat_workgroup_size: 256
    .name:           _ZL13mul_mat_f_idsI15__hip_bfloat162Li32ELi13ELi4EEvPKT_PKfPKiS7_S7_Pfiiiiiiiiiiiiii15HIP_vector_typeIjLj3EESA_
    .private_segment_fixed_size: 16
    .sgpr_count:     40
    .sgpr_spill_count: 0
    .symbol:         _ZL13mul_mat_f_idsI15__hip_bfloat162Li32ELi13ELi4EEvPKT_PKfPKiS7_S7_Pfiiiiiiiiiiiiii15HIP_vector_typeIjLj3EESA_.kd
    .uniform_work_group_size: 1
    .uses_dynamic_stack: false
    .vgpr_count:     38
    .vgpr_spill_count: 0
    .wavefront_size: 64
  - .agpr_count:     0
    .args:
      - .actual_access:  read_only
        .address_space:  global
        .offset:         0
        .size:           8
        .value_kind:     global_buffer
      - .actual_access:  read_only
        .address_space:  global
        .offset:         8
        .size:           8
        .value_kind:     global_buffer
      - .actual_access:  read_only
        .address_space:  global
        .offset:         16
        .size:           8
        .value_kind:     global_buffer
      - .actual_access:  read_only
        .address_space:  global
        .offset:         24
        .size:           8
        .value_kind:     global_buffer
      - .offset:         32
        .size:           4
        .value_kind:     by_value
      - .offset:         36
        .size:           4
        .value_kind:     by_value
      - .offset:         40
        .size:           4
        .value_kind:     by_value
      - .offset:         44
        .size:           4
        .value_kind:     by_value
      - .offset:         48
        .size:           4
        .value_kind:     by_value
      - .offset:         52
        .size:           4
        .value_kind:     by_value
      - .offset:         56
        .size:           4
        .value_kind:     by_value
      - .offset:         60
        .size:           4
        .value_kind:     by_value
      - .offset:         64
        .size:           4
        .value_kind:     by_value
      - .offset:         68
        .size:           4
        .value_kind:     by_value
      - .offset:         72
        .size:           4
        .value_kind:     by_value
      - .offset:         76
        .size:           4
        .value_kind:     by_value
      - .offset:         80
        .size:           4
        .value_kind:     by_value
      - .offset:         84
        .size:           4
        .value_kind:     by_value
      - .offset:         88
        .size:           4
        .value_kind:     by_value
      - .offset:         92
        .size:           4
        .value_kind:     by_value
      - .offset:         96
        .size:           4
        .value_kind:     hidden_block_count_x
      - .offset:         100
        .size:           4
        .value_kind:     hidden_block_count_y
      - .offset:         104
        .size:           4
        .value_kind:     hidden_block_count_z
      - .offset:         108
        .size:           2
        .value_kind:     hidden_group_size_x
      - .offset:         110
        .size:           2
        .value_kind:     hidden_group_size_y
      - .offset:         112
        .size:           2
        .value_kind:     hidden_group_size_z
      - .offset:         114
        .size:           2
        .value_kind:     hidden_remainder_x
      - .offset:         116
        .size:           2
        .value_kind:     hidden_remainder_y
      - .offset:         118
        .size:           2
        .value_kind:     hidden_remainder_z
      - .offset:         136
        .size:           8
        .value_kind:     hidden_global_offset_x
      - .offset:         144
        .size:           8
        .value_kind:     hidden_global_offset_y
      - .offset:         152
        .size:           8
        .value_kind:     hidden_global_offset_z
      - .offset:         160
        .size:           2
        .value_kind:     hidden_grid_dims
      - .offset:         176
        .size:           8
        .value_kind:     hidden_hostcall_buffer
    .group_segment_fixed_size: 0
    .kernarg_segment_align: 8
    .kernarg_segment_size: 352
    .language:       OpenCL C
    .language_version:
      - 2
      - 0
    .max_flat_workgroup_size: 256
    .name:           _ZL9mul_mat_fI15__hip_bfloat162Li32ELi13ELi4ELb1EEvPKT_PKfPKiPfiiiiiiiiiiiiiiii
    .private_segment_fixed_size: 16
    .sgpr_count:     40
    .sgpr_spill_count: 0
    .symbol:         _ZL9mul_mat_fI15__hip_bfloat162Li32ELi13ELi4ELb1EEvPKT_PKfPKiPfiiiiiiiiiiiiiiii.kd
    .uniform_work_group_size: 1
    .uses_dynamic_stack: false
    .vgpr_count:     38
    .vgpr_spill_count: 0
    .wavefront_size: 64
  - .agpr_count:     0
    .args:
      - .actual_access:  read_only
        .address_space:  global
        .offset:         0
        .size:           8
        .value_kind:     global_buffer
      - .actual_access:  read_only
        .address_space:  global
        .offset:         8
        .size:           8
        .value_kind:     global_buffer
      - .actual_access:  read_only
        .address_space:  global
        .offset:         16
        .size:           8
        .value_kind:     global_buffer
      - .actual_access:  read_only
        .address_space:  global
        .offset:         24
        .size:           8
        .value_kind:     global_buffer
      - .offset:         32
        .size:           4
        .value_kind:     by_value
      - .offset:         36
        .size:           4
        .value_kind:     by_value
      - .offset:         40
        .size:           4
        .value_kind:     by_value
      - .offset:         44
        .size:           4
        .value_kind:     by_value
      - .offset:         48
        .size:           4
        .value_kind:     by_value
      - .offset:         52
        .size:           4
        .value_kind:     by_value
      - .offset:         56
        .size:           4
        .value_kind:     by_value
      - .offset:         60
        .size:           4
        .value_kind:     by_value
      - .offset:         64
        .size:           4
        .value_kind:     by_value
      - .offset:         68
        .size:           4
        .value_kind:     by_value
      - .offset:         72
        .size:           4
        .value_kind:     by_value
      - .offset:         76
        .size:           4
        .value_kind:     by_value
      - .offset:         80
        .size:           4
        .value_kind:     by_value
      - .offset:         84
        .size:           4
        .value_kind:     by_value
      - .offset:         88
        .size:           4
        .value_kind:     by_value
      - .offset:         92
        .size:           4
        .value_kind:     by_value
      - .offset:         96
        .size:           4
        .value_kind:     hidden_block_count_x
      - .offset:         100
        .size:           4
        .value_kind:     hidden_block_count_y
      - .offset:         104
        .size:           4
        .value_kind:     hidden_block_count_z
      - .offset:         108
        .size:           2
        .value_kind:     hidden_group_size_x
      - .offset:         110
        .size:           2
        .value_kind:     hidden_group_size_y
      - .offset:         112
        .size:           2
        .value_kind:     hidden_group_size_z
      - .offset:         114
        .size:           2
        .value_kind:     hidden_remainder_x
      - .offset:         116
        .size:           2
        .value_kind:     hidden_remainder_y
      - .offset:         118
        .size:           2
        .value_kind:     hidden_remainder_z
      - .offset:         136
        .size:           8
        .value_kind:     hidden_global_offset_x
      - .offset:         144
        .size:           8
        .value_kind:     hidden_global_offset_y
      - .offset:         152
        .size:           8
        .value_kind:     hidden_global_offset_z
      - .offset:         160
        .size:           2
        .value_kind:     hidden_grid_dims
      - .offset:         176
        .size:           8
        .value_kind:     hidden_hostcall_buffer
    .group_segment_fixed_size: 0
    .kernarg_segment_align: 8
    .kernarg_segment_size: 352
    .language:       OpenCL C
    .language_version:
      - 2
      - 0
    .max_flat_workgroup_size: 256
    .name:           _ZL9mul_mat_fI15__hip_bfloat162Li32ELi13ELi4ELb0EEvPKT_PKfPKiPfiiiiiiiiiiiiiiii
    .private_segment_fixed_size: 16
    .sgpr_count:     40
    .sgpr_spill_count: 0
    .symbol:         _ZL9mul_mat_fI15__hip_bfloat162Li32ELi13ELi4ELb0EEvPKT_PKfPKiPfiiiiiiiiiiiiiiii.kd
    .uniform_work_group_size: 1
    .uses_dynamic_stack: false
    .vgpr_count:     38
    .vgpr_spill_count: 0
    .wavefront_size: 64
  - .agpr_count:     0
    .args:
      - .actual_access:  read_only
        .address_space:  global
        .offset:         0
        .size:           8
        .value_kind:     global_buffer
      - .actual_access:  read_only
        .address_space:  global
        .offset:         8
        .size:           8
        .value_kind:     global_buffer
      - .actual_access:  read_only
        .address_space:  global
        .offset:         16
        .size:           8
        .value_kind:     global_buffer
      - .actual_access:  read_only
        .address_space:  global
        .offset:         24
        .size:           8
        .value_kind:     global_buffer
      - .actual_access:  read_only
        .address_space:  global
        .offset:         32
        .size:           8
        .value_kind:     global_buffer
      - .actual_access:  read_only
        .address_space:  global
        .offset:         40
        .size:           8
        .value_kind:     global_buffer
      - .offset:         48
        .size:           4
        .value_kind:     by_value
      - .offset:         52
        .size:           4
        .value_kind:     by_value
      - .offset:         56
        .size:           4
        .value_kind:     by_value
      - .offset:         60
        .size:           4
        .value_kind:     by_value
      - .offset:         64
        .size:           4
        .value_kind:     by_value
      - .offset:         68
        .size:           4
        .value_kind:     by_value
      - .offset:         72
        .size:           4
        .value_kind:     by_value
      - .offset:         76
        .size:           4
        .value_kind:     by_value
      - .offset:         80
        .size:           4
        .value_kind:     by_value
      - .offset:         84
        .size:           4
        .value_kind:     by_value
      - .offset:         88
        .size:           4
        .value_kind:     by_value
      - .offset:         92
        .size:           4
        .value_kind:     by_value
      - .offset:         96
        .size:           4
        .value_kind:     by_value
      - .offset:         100
        .size:           4
        .value_kind:     by_value
      - .offset:         104
        .size:           12
        .value_kind:     by_value
      - .offset:         116
        .size:           12
        .value_kind:     by_value
      - .offset:         128
        .size:           4
        .value_kind:     hidden_block_count_x
      - .offset:         132
        .size:           4
        .value_kind:     hidden_block_count_y
      - .offset:         136
        .size:           4
        .value_kind:     hidden_block_count_z
      - .offset:         140
        .size:           2
        .value_kind:     hidden_group_size_x
      - .offset:         142
        .size:           2
        .value_kind:     hidden_group_size_y
      - .offset:         144
        .size:           2
        .value_kind:     hidden_group_size_z
      - .offset:         146
        .size:           2
        .value_kind:     hidden_remainder_x
      - .offset:         148
        .size:           2
        .value_kind:     hidden_remainder_y
      - .offset:         150
        .size:           2
        .value_kind:     hidden_remainder_z
      - .offset:         168
        .size:           8
        .value_kind:     hidden_global_offset_x
      - .offset:         176
        .size:           8
        .value_kind:     hidden_global_offset_y
      - .offset:         184
        .size:           8
        .value_kind:     hidden_global_offset_z
      - .offset:         192
        .size:           2
        .value_kind:     hidden_grid_dims
      - .offset:         208
        .size:           8
        .value_kind:     hidden_hostcall_buffer
    .group_segment_fixed_size: 0
    .kernarg_segment_align: 8
    .kernarg_segment_size: 384
    .language:       OpenCL C
    .language_version:
      - 2
      - 0
    .max_flat_workgroup_size: 320
    .name:           _ZL13mul_mat_f_idsI15__hip_bfloat162Li32ELi13ELi5EEvPKT_PKfPKiS7_S7_Pfiiiiiiiiiiiiii15HIP_vector_typeIjLj3EESA_
    .private_segment_fixed_size: 16
    .sgpr_count:     40
    .sgpr_spill_count: 0
    .symbol:         _ZL13mul_mat_f_idsI15__hip_bfloat162Li32ELi13ELi5EEvPKT_PKfPKiS7_S7_Pfiiiiiiiiiiiiii15HIP_vector_typeIjLj3EESA_.kd
    .uniform_work_group_size: 1
    .uses_dynamic_stack: false
    .vgpr_count:     38
    .vgpr_spill_count: 0
    .wavefront_size: 64
  - .agpr_count:     0
    .args:
      - .actual_access:  read_only
        .address_space:  global
        .offset:         0
        .size:           8
        .value_kind:     global_buffer
      - .actual_access:  read_only
        .address_space:  global
        .offset:         8
        .size:           8
        .value_kind:     global_buffer
      - .actual_access:  read_only
        .address_space:  global
        .offset:         16
        .size:           8
        .value_kind:     global_buffer
      - .actual_access:  read_only
        .address_space:  global
        .offset:         24
        .size:           8
        .value_kind:     global_buffer
      - .offset:         32
        .size:           4
        .value_kind:     by_value
      - .offset:         36
        .size:           4
        .value_kind:     by_value
      - .offset:         40
        .size:           4
        .value_kind:     by_value
      - .offset:         44
        .size:           4
        .value_kind:     by_value
      - .offset:         48
        .size:           4
        .value_kind:     by_value
      - .offset:         52
        .size:           4
        .value_kind:     by_value
      - .offset:         56
        .size:           4
        .value_kind:     by_value
      - .offset:         60
        .size:           4
        .value_kind:     by_value
      - .offset:         64
        .size:           4
        .value_kind:     by_value
      - .offset:         68
        .size:           4
        .value_kind:     by_value
      - .offset:         72
        .size:           4
        .value_kind:     by_value
      - .offset:         76
        .size:           4
        .value_kind:     by_value
      - .offset:         80
        .size:           4
        .value_kind:     by_value
      - .offset:         84
        .size:           4
        .value_kind:     by_value
      - .offset:         88
        .size:           4
        .value_kind:     by_value
      - .offset:         92
        .size:           4
        .value_kind:     by_value
      - .offset:         96
        .size:           4
        .value_kind:     hidden_block_count_x
      - .offset:         100
        .size:           4
        .value_kind:     hidden_block_count_y
      - .offset:         104
        .size:           4
        .value_kind:     hidden_block_count_z
      - .offset:         108
        .size:           2
        .value_kind:     hidden_group_size_x
      - .offset:         110
        .size:           2
        .value_kind:     hidden_group_size_y
      - .offset:         112
        .size:           2
        .value_kind:     hidden_group_size_z
      - .offset:         114
        .size:           2
        .value_kind:     hidden_remainder_x
      - .offset:         116
        .size:           2
        .value_kind:     hidden_remainder_y
      - .offset:         118
        .size:           2
        .value_kind:     hidden_remainder_z
      - .offset:         136
        .size:           8
        .value_kind:     hidden_global_offset_x
      - .offset:         144
        .size:           8
        .value_kind:     hidden_global_offset_y
      - .offset:         152
        .size:           8
        .value_kind:     hidden_global_offset_z
      - .offset:         160
        .size:           2
        .value_kind:     hidden_grid_dims
      - .offset:         176
        .size:           8
        .value_kind:     hidden_hostcall_buffer
    .group_segment_fixed_size: 0
    .kernarg_segment_align: 8
    .kernarg_segment_size: 352
    .language:       OpenCL C
    .language_version:
      - 2
      - 0
    .max_flat_workgroup_size: 320
    .name:           _ZL9mul_mat_fI15__hip_bfloat162Li32ELi13ELi5ELb1EEvPKT_PKfPKiPfiiiiiiiiiiiiiiii
    .private_segment_fixed_size: 16
    .sgpr_count:     40
    .sgpr_spill_count: 0
    .symbol:         _ZL9mul_mat_fI15__hip_bfloat162Li32ELi13ELi5ELb1EEvPKT_PKfPKiPfiiiiiiiiiiiiiiii.kd
    .uniform_work_group_size: 1
    .uses_dynamic_stack: false
    .vgpr_count:     38
    .vgpr_spill_count: 0
    .wavefront_size: 64
  - .agpr_count:     0
    .args:
      - .actual_access:  read_only
        .address_space:  global
        .offset:         0
        .size:           8
        .value_kind:     global_buffer
      - .actual_access:  read_only
        .address_space:  global
        .offset:         8
        .size:           8
        .value_kind:     global_buffer
      - .actual_access:  read_only
        .address_space:  global
        .offset:         16
        .size:           8
        .value_kind:     global_buffer
      - .actual_access:  read_only
        .address_space:  global
        .offset:         24
        .size:           8
        .value_kind:     global_buffer
      - .offset:         32
        .size:           4
        .value_kind:     by_value
      - .offset:         36
        .size:           4
        .value_kind:     by_value
      - .offset:         40
        .size:           4
        .value_kind:     by_value
      - .offset:         44
        .size:           4
        .value_kind:     by_value
      - .offset:         48
        .size:           4
        .value_kind:     by_value
      - .offset:         52
        .size:           4
        .value_kind:     by_value
      - .offset:         56
        .size:           4
        .value_kind:     by_value
      - .offset:         60
        .size:           4
        .value_kind:     by_value
      - .offset:         64
        .size:           4
        .value_kind:     by_value
      - .offset:         68
        .size:           4
        .value_kind:     by_value
      - .offset:         72
        .size:           4
        .value_kind:     by_value
      - .offset:         76
        .size:           4
        .value_kind:     by_value
      - .offset:         80
        .size:           4
        .value_kind:     by_value
      - .offset:         84
        .size:           4
        .value_kind:     by_value
      - .offset:         88
        .size:           4
        .value_kind:     by_value
      - .offset:         92
        .size:           4
        .value_kind:     by_value
      - .offset:         96
        .size:           4
        .value_kind:     hidden_block_count_x
      - .offset:         100
        .size:           4
        .value_kind:     hidden_block_count_y
      - .offset:         104
        .size:           4
        .value_kind:     hidden_block_count_z
      - .offset:         108
        .size:           2
        .value_kind:     hidden_group_size_x
      - .offset:         110
        .size:           2
        .value_kind:     hidden_group_size_y
      - .offset:         112
        .size:           2
        .value_kind:     hidden_group_size_z
      - .offset:         114
        .size:           2
        .value_kind:     hidden_remainder_x
      - .offset:         116
        .size:           2
        .value_kind:     hidden_remainder_y
      - .offset:         118
        .size:           2
        .value_kind:     hidden_remainder_z
      - .offset:         136
        .size:           8
        .value_kind:     hidden_global_offset_x
      - .offset:         144
        .size:           8
        .value_kind:     hidden_global_offset_y
      - .offset:         152
        .size:           8
        .value_kind:     hidden_global_offset_z
      - .offset:         160
        .size:           2
        .value_kind:     hidden_grid_dims
      - .offset:         176
        .size:           8
        .value_kind:     hidden_hostcall_buffer
    .group_segment_fixed_size: 0
    .kernarg_segment_align: 8
    .kernarg_segment_size: 352
    .language:       OpenCL C
    .language_version:
      - 2
      - 0
    .max_flat_workgroup_size: 320
    .name:           _ZL9mul_mat_fI15__hip_bfloat162Li32ELi13ELi5ELb0EEvPKT_PKfPKiPfiiiiiiiiiiiiiiii
    .private_segment_fixed_size: 16
    .sgpr_count:     40
    .sgpr_spill_count: 0
    .symbol:         _ZL9mul_mat_fI15__hip_bfloat162Li32ELi13ELi5ELb0EEvPKT_PKfPKiPfiiiiiiiiiiiiiiii.kd
    .uniform_work_group_size: 1
    .uses_dynamic_stack: false
    .vgpr_count:     38
    .vgpr_spill_count: 0
    .wavefront_size: 64
  - .agpr_count:     0
    .args:
      - .actual_access:  read_only
        .address_space:  global
        .offset:         0
        .size:           8
        .value_kind:     global_buffer
      - .actual_access:  read_only
        .address_space:  global
        .offset:         8
        .size:           8
        .value_kind:     global_buffer
      - .actual_access:  read_only
        .address_space:  global
        .offset:         16
        .size:           8
        .value_kind:     global_buffer
      - .actual_access:  read_only
        .address_space:  global
        .offset:         24
        .size:           8
        .value_kind:     global_buffer
      - .actual_access:  read_only
        .address_space:  global
        .offset:         32
        .size:           8
        .value_kind:     global_buffer
      - .actual_access:  read_only
        .address_space:  global
        .offset:         40
        .size:           8
        .value_kind:     global_buffer
      - .offset:         48
        .size:           4
        .value_kind:     by_value
      - .offset:         52
        .size:           4
        .value_kind:     by_value
      - .offset:         56
        .size:           4
        .value_kind:     by_value
      - .offset:         60
        .size:           4
        .value_kind:     by_value
      - .offset:         64
        .size:           4
        .value_kind:     by_value
      - .offset:         68
        .size:           4
        .value_kind:     by_value
      - .offset:         72
        .size:           4
        .value_kind:     by_value
      - .offset:         76
        .size:           4
        .value_kind:     by_value
      - .offset:         80
        .size:           4
        .value_kind:     by_value
      - .offset:         84
        .size:           4
        .value_kind:     by_value
      - .offset:         88
        .size:           4
        .value_kind:     by_value
      - .offset:         92
        .size:           4
        .value_kind:     by_value
      - .offset:         96
        .size:           4
        .value_kind:     by_value
      - .offset:         100
        .size:           4
        .value_kind:     by_value
      - .offset:         104
        .size:           12
        .value_kind:     by_value
      - .offset:         116
        .size:           12
        .value_kind:     by_value
      - .offset:         128
        .size:           4
        .value_kind:     hidden_block_count_x
      - .offset:         132
        .size:           4
        .value_kind:     hidden_block_count_y
      - .offset:         136
        .size:           4
        .value_kind:     hidden_block_count_z
      - .offset:         140
        .size:           2
        .value_kind:     hidden_group_size_x
      - .offset:         142
        .size:           2
        .value_kind:     hidden_group_size_y
      - .offset:         144
        .size:           2
        .value_kind:     hidden_group_size_z
      - .offset:         146
        .size:           2
        .value_kind:     hidden_remainder_x
      - .offset:         148
        .size:           2
        .value_kind:     hidden_remainder_y
      - .offset:         150
        .size:           2
        .value_kind:     hidden_remainder_z
      - .offset:         168
        .size:           8
        .value_kind:     hidden_global_offset_x
      - .offset:         176
        .size:           8
        .value_kind:     hidden_global_offset_y
      - .offset:         184
        .size:           8
        .value_kind:     hidden_global_offset_z
      - .offset:         192
        .size:           2
        .value_kind:     hidden_grid_dims
      - .offset:         208
        .size:           8
        .value_kind:     hidden_hostcall_buffer
    .group_segment_fixed_size: 0
    .kernarg_segment_align: 8
    .kernarg_segment_size: 384
    .language:       OpenCL C
    .language_version:
      - 2
      - 0
    .max_flat_workgroup_size: 384
    .name:           _ZL13mul_mat_f_idsI15__hip_bfloat162Li32ELi13ELi6EEvPKT_PKfPKiS7_S7_Pfiiiiiiiiiiiiii15HIP_vector_typeIjLj3EESA_
    .private_segment_fixed_size: 16
    .sgpr_count:     40
    .sgpr_spill_count: 0
    .symbol:         _ZL13mul_mat_f_idsI15__hip_bfloat162Li32ELi13ELi6EEvPKT_PKfPKiS7_S7_Pfiiiiiiiiiiiiii15HIP_vector_typeIjLj3EESA_.kd
    .uniform_work_group_size: 1
    .uses_dynamic_stack: false
    .vgpr_count:     38
    .vgpr_spill_count: 0
    .wavefront_size: 64
  - .agpr_count:     0
    .args:
      - .actual_access:  read_only
        .address_space:  global
        .offset:         0
        .size:           8
        .value_kind:     global_buffer
      - .actual_access:  read_only
        .address_space:  global
        .offset:         8
        .size:           8
        .value_kind:     global_buffer
      - .actual_access:  read_only
        .address_space:  global
        .offset:         16
        .size:           8
        .value_kind:     global_buffer
      - .actual_access:  read_only
        .address_space:  global
        .offset:         24
        .size:           8
        .value_kind:     global_buffer
      - .offset:         32
        .size:           4
        .value_kind:     by_value
      - .offset:         36
        .size:           4
        .value_kind:     by_value
      - .offset:         40
        .size:           4
        .value_kind:     by_value
      - .offset:         44
        .size:           4
        .value_kind:     by_value
      - .offset:         48
        .size:           4
        .value_kind:     by_value
      - .offset:         52
        .size:           4
        .value_kind:     by_value
      - .offset:         56
        .size:           4
        .value_kind:     by_value
      - .offset:         60
        .size:           4
        .value_kind:     by_value
      - .offset:         64
        .size:           4
        .value_kind:     by_value
      - .offset:         68
        .size:           4
        .value_kind:     by_value
      - .offset:         72
        .size:           4
        .value_kind:     by_value
      - .offset:         76
        .size:           4
        .value_kind:     by_value
      - .offset:         80
        .size:           4
        .value_kind:     by_value
      - .offset:         84
        .size:           4
        .value_kind:     by_value
      - .offset:         88
        .size:           4
        .value_kind:     by_value
      - .offset:         92
        .size:           4
        .value_kind:     by_value
      - .offset:         96
        .size:           4
        .value_kind:     hidden_block_count_x
      - .offset:         100
        .size:           4
        .value_kind:     hidden_block_count_y
      - .offset:         104
        .size:           4
        .value_kind:     hidden_block_count_z
      - .offset:         108
        .size:           2
        .value_kind:     hidden_group_size_x
      - .offset:         110
        .size:           2
        .value_kind:     hidden_group_size_y
      - .offset:         112
        .size:           2
        .value_kind:     hidden_group_size_z
      - .offset:         114
        .size:           2
        .value_kind:     hidden_remainder_x
      - .offset:         116
        .size:           2
        .value_kind:     hidden_remainder_y
      - .offset:         118
        .size:           2
        .value_kind:     hidden_remainder_z
      - .offset:         136
        .size:           8
        .value_kind:     hidden_global_offset_x
      - .offset:         144
        .size:           8
        .value_kind:     hidden_global_offset_y
      - .offset:         152
        .size:           8
        .value_kind:     hidden_global_offset_z
      - .offset:         160
        .size:           2
        .value_kind:     hidden_grid_dims
      - .offset:         176
        .size:           8
        .value_kind:     hidden_hostcall_buffer
    .group_segment_fixed_size: 0
    .kernarg_segment_align: 8
    .kernarg_segment_size: 352
    .language:       OpenCL C
    .language_version:
      - 2
      - 0
    .max_flat_workgroup_size: 384
    .name:           _ZL9mul_mat_fI15__hip_bfloat162Li32ELi13ELi6ELb1EEvPKT_PKfPKiPfiiiiiiiiiiiiiiii
    .private_segment_fixed_size: 16
    .sgpr_count:     40
    .sgpr_spill_count: 0
    .symbol:         _ZL9mul_mat_fI15__hip_bfloat162Li32ELi13ELi6ELb1EEvPKT_PKfPKiPfiiiiiiiiiiiiiiii.kd
    .uniform_work_group_size: 1
    .uses_dynamic_stack: false
    .vgpr_count:     38
    .vgpr_spill_count: 0
    .wavefront_size: 64
  - .agpr_count:     0
    .args:
      - .actual_access:  read_only
        .address_space:  global
        .offset:         0
        .size:           8
        .value_kind:     global_buffer
      - .actual_access:  read_only
        .address_space:  global
        .offset:         8
        .size:           8
        .value_kind:     global_buffer
      - .actual_access:  read_only
        .address_space:  global
        .offset:         16
        .size:           8
        .value_kind:     global_buffer
      - .actual_access:  read_only
        .address_space:  global
        .offset:         24
        .size:           8
        .value_kind:     global_buffer
      - .offset:         32
        .size:           4
        .value_kind:     by_value
      - .offset:         36
        .size:           4
        .value_kind:     by_value
      - .offset:         40
        .size:           4
        .value_kind:     by_value
      - .offset:         44
        .size:           4
        .value_kind:     by_value
      - .offset:         48
        .size:           4
        .value_kind:     by_value
      - .offset:         52
        .size:           4
        .value_kind:     by_value
      - .offset:         56
        .size:           4
        .value_kind:     by_value
      - .offset:         60
        .size:           4
        .value_kind:     by_value
      - .offset:         64
        .size:           4
        .value_kind:     by_value
      - .offset:         68
        .size:           4
        .value_kind:     by_value
      - .offset:         72
        .size:           4
        .value_kind:     by_value
      - .offset:         76
        .size:           4
        .value_kind:     by_value
      - .offset:         80
        .size:           4
        .value_kind:     by_value
      - .offset:         84
        .size:           4
        .value_kind:     by_value
      - .offset:         88
        .size:           4
        .value_kind:     by_value
      - .offset:         92
        .size:           4
        .value_kind:     by_value
      - .offset:         96
        .size:           4
        .value_kind:     hidden_block_count_x
      - .offset:         100
        .size:           4
        .value_kind:     hidden_block_count_y
      - .offset:         104
        .size:           4
        .value_kind:     hidden_block_count_z
      - .offset:         108
        .size:           2
        .value_kind:     hidden_group_size_x
      - .offset:         110
        .size:           2
        .value_kind:     hidden_group_size_y
      - .offset:         112
        .size:           2
        .value_kind:     hidden_group_size_z
      - .offset:         114
        .size:           2
        .value_kind:     hidden_remainder_x
      - .offset:         116
        .size:           2
        .value_kind:     hidden_remainder_y
      - .offset:         118
        .size:           2
        .value_kind:     hidden_remainder_z
      - .offset:         136
        .size:           8
        .value_kind:     hidden_global_offset_x
      - .offset:         144
        .size:           8
        .value_kind:     hidden_global_offset_y
      - .offset:         152
        .size:           8
        .value_kind:     hidden_global_offset_z
      - .offset:         160
        .size:           2
        .value_kind:     hidden_grid_dims
      - .offset:         176
        .size:           8
        .value_kind:     hidden_hostcall_buffer
    .group_segment_fixed_size: 0
    .kernarg_segment_align: 8
    .kernarg_segment_size: 352
    .language:       OpenCL C
    .language_version:
      - 2
      - 0
    .max_flat_workgroup_size: 384
    .name:           _ZL9mul_mat_fI15__hip_bfloat162Li32ELi13ELi6ELb0EEvPKT_PKfPKiPfiiiiiiiiiiiiiiii
    .private_segment_fixed_size: 16
    .sgpr_count:     40
    .sgpr_spill_count: 0
    .symbol:         _ZL9mul_mat_fI15__hip_bfloat162Li32ELi13ELi6ELb0EEvPKT_PKfPKiPfiiiiiiiiiiiiiiii.kd
    .uniform_work_group_size: 1
    .uses_dynamic_stack: false
    .vgpr_count:     38
    .vgpr_spill_count: 0
    .wavefront_size: 64
  - .agpr_count:     0
    .args:
      - .actual_access:  read_only
        .address_space:  global
        .offset:         0
        .size:           8
        .value_kind:     global_buffer
      - .actual_access:  read_only
        .address_space:  global
        .offset:         8
        .size:           8
        .value_kind:     global_buffer
      - .actual_access:  read_only
        .address_space:  global
        .offset:         16
        .size:           8
        .value_kind:     global_buffer
      - .actual_access:  read_only
        .address_space:  global
        .offset:         24
        .size:           8
        .value_kind:     global_buffer
      - .actual_access:  read_only
        .address_space:  global
        .offset:         32
        .size:           8
        .value_kind:     global_buffer
      - .actual_access:  read_only
        .address_space:  global
        .offset:         40
        .size:           8
        .value_kind:     global_buffer
      - .offset:         48
        .size:           4
        .value_kind:     by_value
      - .offset:         52
        .size:           4
        .value_kind:     by_value
      - .offset:         56
        .size:           4
        .value_kind:     by_value
      - .offset:         60
        .size:           4
        .value_kind:     by_value
      - .offset:         64
        .size:           4
        .value_kind:     by_value
      - .offset:         68
        .size:           4
        .value_kind:     by_value
      - .offset:         72
        .size:           4
        .value_kind:     by_value
      - .offset:         76
        .size:           4
        .value_kind:     by_value
      - .offset:         80
        .size:           4
        .value_kind:     by_value
      - .offset:         84
        .size:           4
        .value_kind:     by_value
      - .offset:         88
        .size:           4
        .value_kind:     by_value
      - .offset:         92
        .size:           4
        .value_kind:     by_value
      - .offset:         96
        .size:           4
        .value_kind:     by_value
      - .offset:         100
        .size:           4
        .value_kind:     by_value
      - .offset:         104
        .size:           12
        .value_kind:     by_value
      - .offset:         116
        .size:           12
        .value_kind:     by_value
      - .offset:         128
        .size:           4
        .value_kind:     hidden_block_count_x
      - .offset:         132
        .size:           4
        .value_kind:     hidden_block_count_y
      - .offset:         136
        .size:           4
        .value_kind:     hidden_block_count_z
      - .offset:         140
        .size:           2
        .value_kind:     hidden_group_size_x
      - .offset:         142
        .size:           2
        .value_kind:     hidden_group_size_y
      - .offset:         144
        .size:           2
        .value_kind:     hidden_group_size_z
      - .offset:         146
        .size:           2
        .value_kind:     hidden_remainder_x
      - .offset:         148
        .size:           2
        .value_kind:     hidden_remainder_y
      - .offset:         150
        .size:           2
        .value_kind:     hidden_remainder_z
      - .offset:         168
        .size:           8
        .value_kind:     hidden_global_offset_x
      - .offset:         176
        .size:           8
        .value_kind:     hidden_global_offset_y
      - .offset:         184
        .size:           8
        .value_kind:     hidden_global_offset_z
      - .offset:         192
        .size:           2
        .value_kind:     hidden_grid_dims
      - .offset:         208
        .size:           8
        .value_kind:     hidden_hostcall_buffer
    .group_segment_fixed_size: 0
    .kernarg_segment_align: 8
    .kernarg_segment_size: 384
    .language:       OpenCL C
    .language_version:
      - 2
      - 0
    .max_flat_workgroup_size: 448
    .name:           _ZL13mul_mat_f_idsI15__hip_bfloat162Li32ELi13ELi7EEvPKT_PKfPKiS7_S7_Pfiiiiiiiiiiiiii15HIP_vector_typeIjLj3EESA_
    .private_segment_fixed_size: 16
    .sgpr_count:     40
    .sgpr_spill_count: 0
    .symbol:         _ZL13mul_mat_f_idsI15__hip_bfloat162Li32ELi13ELi7EEvPKT_PKfPKiS7_S7_Pfiiiiiiiiiiiiii15HIP_vector_typeIjLj3EESA_.kd
    .uniform_work_group_size: 1
    .uses_dynamic_stack: false
    .vgpr_count:     38
    .vgpr_spill_count: 0
    .wavefront_size: 64
  - .agpr_count:     0
    .args:
      - .actual_access:  read_only
        .address_space:  global
        .offset:         0
        .size:           8
        .value_kind:     global_buffer
      - .actual_access:  read_only
        .address_space:  global
        .offset:         8
        .size:           8
        .value_kind:     global_buffer
      - .actual_access:  read_only
        .address_space:  global
        .offset:         16
        .size:           8
        .value_kind:     global_buffer
      - .actual_access:  read_only
        .address_space:  global
        .offset:         24
        .size:           8
        .value_kind:     global_buffer
      - .offset:         32
        .size:           4
        .value_kind:     by_value
      - .offset:         36
        .size:           4
        .value_kind:     by_value
      - .offset:         40
        .size:           4
        .value_kind:     by_value
      - .offset:         44
        .size:           4
        .value_kind:     by_value
      - .offset:         48
        .size:           4
        .value_kind:     by_value
      - .offset:         52
        .size:           4
        .value_kind:     by_value
      - .offset:         56
        .size:           4
        .value_kind:     by_value
      - .offset:         60
        .size:           4
        .value_kind:     by_value
      - .offset:         64
        .size:           4
        .value_kind:     by_value
      - .offset:         68
        .size:           4
        .value_kind:     by_value
      - .offset:         72
        .size:           4
        .value_kind:     by_value
      - .offset:         76
        .size:           4
        .value_kind:     by_value
      - .offset:         80
        .size:           4
        .value_kind:     by_value
      - .offset:         84
        .size:           4
        .value_kind:     by_value
      - .offset:         88
        .size:           4
        .value_kind:     by_value
      - .offset:         92
        .size:           4
        .value_kind:     by_value
      - .offset:         96
        .size:           4
        .value_kind:     hidden_block_count_x
      - .offset:         100
        .size:           4
        .value_kind:     hidden_block_count_y
      - .offset:         104
        .size:           4
        .value_kind:     hidden_block_count_z
      - .offset:         108
        .size:           2
        .value_kind:     hidden_group_size_x
      - .offset:         110
        .size:           2
        .value_kind:     hidden_group_size_y
      - .offset:         112
        .size:           2
        .value_kind:     hidden_group_size_z
      - .offset:         114
        .size:           2
        .value_kind:     hidden_remainder_x
      - .offset:         116
        .size:           2
        .value_kind:     hidden_remainder_y
      - .offset:         118
        .size:           2
        .value_kind:     hidden_remainder_z
      - .offset:         136
        .size:           8
        .value_kind:     hidden_global_offset_x
      - .offset:         144
        .size:           8
        .value_kind:     hidden_global_offset_y
      - .offset:         152
        .size:           8
        .value_kind:     hidden_global_offset_z
      - .offset:         160
        .size:           2
        .value_kind:     hidden_grid_dims
      - .offset:         176
        .size:           8
        .value_kind:     hidden_hostcall_buffer
    .group_segment_fixed_size: 0
    .kernarg_segment_align: 8
    .kernarg_segment_size: 352
    .language:       OpenCL C
    .language_version:
      - 2
      - 0
    .max_flat_workgroup_size: 448
    .name:           _ZL9mul_mat_fI15__hip_bfloat162Li32ELi13ELi7ELb1EEvPKT_PKfPKiPfiiiiiiiiiiiiiiii
    .private_segment_fixed_size: 16
    .sgpr_count:     40
    .sgpr_spill_count: 0
    .symbol:         _ZL9mul_mat_fI15__hip_bfloat162Li32ELi13ELi7ELb1EEvPKT_PKfPKiPfiiiiiiiiiiiiiiii.kd
    .uniform_work_group_size: 1
    .uses_dynamic_stack: false
    .vgpr_count:     38
    .vgpr_spill_count: 0
    .wavefront_size: 64
  - .agpr_count:     0
    .args:
      - .actual_access:  read_only
        .address_space:  global
        .offset:         0
        .size:           8
        .value_kind:     global_buffer
      - .actual_access:  read_only
        .address_space:  global
        .offset:         8
        .size:           8
        .value_kind:     global_buffer
      - .actual_access:  read_only
        .address_space:  global
        .offset:         16
        .size:           8
        .value_kind:     global_buffer
      - .actual_access:  read_only
        .address_space:  global
        .offset:         24
        .size:           8
        .value_kind:     global_buffer
      - .offset:         32
        .size:           4
        .value_kind:     by_value
      - .offset:         36
        .size:           4
        .value_kind:     by_value
      - .offset:         40
        .size:           4
        .value_kind:     by_value
      - .offset:         44
        .size:           4
        .value_kind:     by_value
      - .offset:         48
        .size:           4
        .value_kind:     by_value
      - .offset:         52
        .size:           4
        .value_kind:     by_value
      - .offset:         56
        .size:           4
        .value_kind:     by_value
      - .offset:         60
        .size:           4
        .value_kind:     by_value
      - .offset:         64
        .size:           4
        .value_kind:     by_value
      - .offset:         68
        .size:           4
        .value_kind:     by_value
      - .offset:         72
        .size:           4
        .value_kind:     by_value
      - .offset:         76
        .size:           4
        .value_kind:     by_value
      - .offset:         80
        .size:           4
        .value_kind:     by_value
      - .offset:         84
        .size:           4
        .value_kind:     by_value
      - .offset:         88
        .size:           4
        .value_kind:     by_value
      - .offset:         92
        .size:           4
        .value_kind:     by_value
      - .offset:         96
        .size:           4
        .value_kind:     hidden_block_count_x
      - .offset:         100
        .size:           4
        .value_kind:     hidden_block_count_y
      - .offset:         104
        .size:           4
        .value_kind:     hidden_block_count_z
      - .offset:         108
        .size:           2
        .value_kind:     hidden_group_size_x
      - .offset:         110
        .size:           2
        .value_kind:     hidden_group_size_y
      - .offset:         112
        .size:           2
        .value_kind:     hidden_group_size_z
      - .offset:         114
        .size:           2
        .value_kind:     hidden_remainder_x
      - .offset:         116
        .size:           2
        .value_kind:     hidden_remainder_y
      - .offset:         118
        .size:           2
        .value_kind:     hidden_remainder_z
      - .offset:         136
        .size:           8
        .value_kind:     hidden_global_offset_x
      - .offset:         144
        .size:           8
        .value_kind:     hidden_global_offset_y
      - .offset:         152
        .size:           8
        .value_kind:     hidden_global_offset_z
      - .offset:         160
        .size:           2
        .value_kind:     hidden_grid_dims
      - .offset:         176
        .size:           8
        .value_kind:     hidden_hostcall_buffer
    .group_segment_fixed_size: 0
    .kernarg_segment_align: 8
    .kernarg_segment_size: 352
    .language:       OpenCL C
    .language_version:
      - 2
      - 0
    .max_flat_workgroup_size: 448
    .name:           _ZL9mul_mat_fI15__hip_bfloat162Li32ELi13ELi7ELb0EEvPKT_PKfPKiPfiiiiiiiiiiiiiiii
    .private_segment_fixed_size: 16
    .sgpr_count:     40
    .sgpr_spill_count: 0
    .symbol:         _ZL9mul_mat_fI15__hip_bfloat162Li32ELi13ELi7ELb0EEvPKT_PKfPKiPfiiiiiiiiiiiiiiii.kd
    .uniform_work_group_size: 1
    .uses_dynamic_stack: false
    .vgpr_count:     38
    .vgpr_spill_count: 0
    .wavefront_size: 64
  - .agpr_count:     0
    .args:
      - .actual_access:  read_only
        .address_space:  global
        .offset:         0
        .size:           8
        .value_kind:     global_buffer
      - .actual_access:  read_only
        .address_space:  global
        .offset:         8
        .size:           8
        .value_kind:     global_buffer
      - .actual_access:  read_only
        .address_space:  global
        .offset:         16
        .size:           8
        .value_kind:     global_buffer
      - .actual_access:  read_only
        .address_space:  global
        .offset:         24
        .size:           8
        .value_kind:     global_buffer
      - .actual_access:  read_only
        .address_space:  global
        .offset:         32
        .size:           8
        .value_kind:     global_buffer
      - .actual_access:  read_only
        .address_space:  global
        .offset:         40
        .size:           8
        .value_kind:     global_buffer
      - .offset:         48
        .size:           4
        .value_kind:     by_value
      - .offset:         52
        .size:           4
        .value_kind:     by_value
      - .offset:         56
        .size:           4
        .value_kind:     by_value
      - .offset:         60
        .size:           4
        .value_kind:     by_value
      - .offset:         64
        .size:           4
        .value_kind:     by_value
      - .offset:         68
        .size:           4
        .value_kind:     by_value
      - .offset:         72
        .size:           4
        .value_kind:     by_value
      - .offset:         76
        .size:           4
        .value_kind:     by_value
      - .offset:         80
        .size:           4
        .value_kind:     by_value
      - .offset:         84
        .size:           4
        .value_kind:     by_value
      - .offset:         88
        .size:           4
        .value_kind:     by_value
      - .offset:         92
        .size:           4
        .value_kind:     by_value
      - .offset:         96
        .size:           4
        .value_kind:     by_value
      - .offset:         100
        .size:           4
        .value_kind:     by_value
      - .offset:         104
        .size:           12
        .value_kind:     by_value
      - .offset:         116
        .size:           12
        .value_kind:     by_value
      - .offset:         128
        .size:           4
        .value_kind:     hidden_block_count_x
      - .offset:         132
        .size:           4
        .value_kind:     hidden_block_count_y
      - .offset:         136
        .size:           4
        .value_kind:     hidden_block_count_z
      - .offset:         140
        .size:           2
        .value_kind:     hidden_group_size_x
      - .offset:         142
        .size:           2
        .value_kind:     hidden_group_size_y
      - .offset:         144
        .size:           2
        .value_kind:     hidden_group_size_z
      - .offset:         146
        .size:           2
        .value_kind:     hidden_remainder_x
      - .offset:         148
        .size:           2
        .value_kind:     hidden_remainder_y
      - .offset:         150
        .size:           2
        .value_kind:     hidden_remainder_z
      - .offset:         168
        .size:           8
        .value_kind:     hidden_global_offset_x
      - .offset:         176
        .size:           8
        .value_kind:     hidden_global_offset_y
      - .offset:         184
        .size:           8
        .value_kind:     hidden_global_offset_z
      - .offset:         192
        .size:           2
        .value_kind:     hidden_grid_dims
      - .offset:         208
        .size:           8
        .value_kind:     hidden_hostcall_buffer
    .group_segment_fixed_size: 0
    .kernarg_segment_align: 8
    .kernarg_segment_size: 384
    .language:       OpenCL C
    .language_version:
      - 2
      - 0
    .max_flat_workgroup_size: 512
    .name:           _ZL13mul_mat_f_idsI15__hip_bfloat162Li32ELi13ELi8EEvPKT_PKfPKiS7_S7_Pfiiiiiiiiiiiiii15HIP_vector_typeIjLj3EESA_
    .private_segment_fixed_size: 16
    .sgpr_count:     40
    .sgpr_spill_count: 0
    .symbol:         _ZL13mul_mat_f_idsI15__hip_bfloat162Li32ELi13ELi8EEvPKT_PKfPKiS7_S7_Pfiiiiiiiiiiiiii15HIP_vector_typeIjLj3EESA_.kd
    .uniform_work_group_size: 1
    .uses_dynamic_stack: false
    .vgpr_count:     38
    .vgpr_spill_count: 0
    .wavefront_size: 64
  - .agpr_count:     0
    .args:
      - .actual_access:  read_only
        .address_space:  global
        .offset:         0
        .size:           8
        .value_kind:     global_buffer
      - .actual_access:  read_only
        .address_space:  global
        .offset:         8
        .size:           8
        .value_kind:     global_buffer
      - .actual_access:  read_only
        .address_space:  global
        .offset:         16
        .size:           8
        .value_kind:     global_buffer
      - .actual_access:  read_only
        .address_space:  global
        .offset:         24
        .size:           8
        .value_kind:     global_buffer
      - .offset:         32
        .size:           4
        .value_kind:     by_value
      - .offset:         36
        .size:           4
        .value_kind:     by_value
      - .offset:         40
        .size:           4
        .value_kind:     by_value
      - .offset:         44
        .size:           4
        .value_kind:     by_value
      - .offset:         48
        .size:           4
        .value_kind:     by_value
      - .offset:         52
        .size:           4
        .value_kind:     by_value
      - .offset:         56
        .size:           4
        .value_kind:     by_value
      - .offset:         60
        .size:           4
        .value_kind:     by_value
      - .offset:         64
        .size:           4
        .value_kind:     by_value
      - .offset:         68
        .size:           4
        .value_kind:     by_value
      - .offset:         72
        .size:           4
        .value_kind:     by_value
      - .offset:         76
        .size:           4
        .value_kind:     by_value
      - .offset:         80
        .size:           4
        .value_kind:     by_value
      - .offset:         84
        .size:           4
        .value_kind:     by_value
      - .offset:         88
        .size:           4
        .value_kind:     by_value
      - .offset:         92
        .size:           4
        .value_kind:     by_value
      - .offset:         96
        .size:           4
        .value_kind:     hidden_block_count_x
      - .offset:         100
        .size:           4
        .value_kind:     hidden_block_count_y
      - .offset:         104
        .size:           4
        .value_kind:     hidden_block_count_z
      - .offset:         108
        .size:           2
        .value_kind:     hidden_group_size_x
      - .offset:         110
        .size:           2
        .value_kind:     hidden_group_size_y
      - .offset:         112
        .size:           2
        .value_kind:     hidden_group_size_z
      - .offset:         114
        .size:           2
        .value_kind:     hidden_remainder_x
      - .offset:         116
        .size:           2
        .value_kind:     hidden_remainder_y
      - .offset:         118
        .size:           2
        .value_kind:     hidden_remainder_z
      - .offset:         136
        .size:           8
        .value_kind:     hidden_global_offset_x
      - .offset:         144
        .size:           8
        .value_kind:     hidden_global_offset_y
      - .offset:         152
        .size:           8
        .value_kind:     hidden_global_offset_z
      - .offset:         160
        .size:           2
        .value_kind:     hidden_grid_dims
      - .offset:         176
        .size:           8
        .value_kind:     hidden_hostcall_buffer
    .group_segment_fixed_size: 0
    .kernarg_segment_align: 8
    .kernarg_segment_size: 352
    .language:       OpenCL C
    .language_version:
      - 2
      - 0
    .max_flat_workgroup_size: 512
    .name:           _ZL9mul_mat_fI15__hip_bfloat162Li32ELi13ELi8ELb1EEvPKT_PKfPKiPfiiiiiiiiiiiiiiii
    .private_segment_fixed_size: 16
    .sgpr_count:     40
    .sgpr_spill_count: 0
    .symbol:         _ZL9mul_mat_fI15__hip_bfloat162Li32ELi13ELi8ELb1EEvPKT_PKfPKiPfiiiiiiiiiiiiiiii.kd
    .uniform_work_group_size: 1
    .uses_dynamic_stack: false
    .vgpr_count:     38
    .vgpr_spill_count: 0
    .wavefront_size: 64
  - .agpr_count:     0
    .args:
      - .actual_access:  read_only
        .address_space:  global
        .offset:         0
        .size:           8
        .value_kind:     global_buffer
      - .actual_access:  read_only
        .address_space:  global
        .offset:         8
        .size:           8
        .value_kind:     global_buffer
      - .actual_access:  read_only
        .address_space:  global
        .offset:         16
        .size:           8
        .value_kind:     global_buffer
      - .actual_access:  read_only
        .address_space:  global
        .offset:         24
        .size:           8
        .value_kind:     global_buffer
      - .offset:         32
        .size:           4
        .value_kind:     by_value
      - .offset:         36
        .size:           4
        .value_kind:     by_value
      - .offset:         40
        .size:           4
        .value_kind:     by_value
      - .offset:         44
        .size:           4
        .value_kind:     by_value
      - .offset:         48
        .size:           4
        .value_kind:     by_value
      - .offset:         52
        .size:           4
        .value_kind:     by_value
      - .offset:         56
        .size:           4
        .value_kind:     by_value
      - .offset:         60
        .size:           4
        .value_kind:     by_value
      - .offset:         64
        .size:           4
        .value_kind:     by_value
      - .offset:         68
        .size:           4
        .value_kind:     by_value
      - .offset:         72
        .size:           4
        .value_kind:     by_value
      - .offset:         76
        .size:           4
        .value_kind:     by_value
      - .offset:         80
        .size:           4
        .value_kind:     by_value
      - .offset:         84
        .size:           4
        .value_kind:     by_value
      - .offset:         88
        .size:           4
        .value_kind:     by_value
      - .offset:         92
        .size:           4
        .value_kind:     by_value
      - .offset:         96
        .size:           4
        .value_kind:     hidden_block_count_x
      - .offset:         100
        .size:           4
        .value_kind:     hidden_block_count_y
      - .offset:         104
        .size:           4
        .value_kind:     hidden_block_count_z
      - .offset:         108
        .size:           2
        .value_kind:     hidden_group_size_x
      - .offset:         110
        .size:           2
        .value_kind:     hidden_group_size_y
      - .offset:         112
        .size:           2
        .value_kind:     hidden_group_size_z
      - .offset:         114
        .size:           2
        .value_kind:     hidden_remainder_x
      - .offset:         116
        .size:           2
        .value_kind:     hidden_remainder_y
      - .offset:         118
        .size:           2
        .value_kind:     hidden_remainder_z
      - .offset:         136
        .size:           8
        .value_kind:     hidden_global_offset_x
      - .offset:         144
        .size:           8
        .value_kind:     hidden_global_offset_y
      - .offset:         152
        .size:           8
        .value_kind:     hidden_global_offset_z
      - .offset:         160
        .size:           2
        .value_kind:     hidden_grid_dims
      - .offset:         176
        .size:           8
        .value_kind:     hidden_hostcall_buffer
    .group_segment_fixed_size: 0
    .kernarg_segment_align: 8
    .kernarg_segment_size: 352
    .language:       OpenCL C
    .language_version:
      - 2
      - 0
    .max_flat_workgroup_size: 512
    .name:           _ZL9mul_mat_fI15__hip_bfloat162Li32ELi13ELi8ELb0EEvPKT_PKfPKiPfiiiiiiiiiiiiiiii
    .private_segment_fixed_size: 16
    .sgpr_count:     40
    .sgpr_spill_count: 0
    .symbol:         _ZL9mul_mat_fI15__hip_bfloat162Li32ELi13ELi8ELb0EEvPKT_PKfPKiPfiiiiiiiiiiiiiiii.kd
    .uniform_work_group_size: 1
    .uses_dynamic_stack: false
    .vgpr_count:     38
    .vgpr_spill_count: 0
    .wavefront_size: 64
  - .agpr_count:     16
    .args:
      - .actual_access:  read_only
        .address_space:  global
        .offset:         0
        .size:           8
        .value_kind:     global_buffer
      - .actual_access:  read_only
        .address_space:  global
        .offset:         8
        .size:           8
        .value_kind:     global_buffer
      - .actual_access:  read_only
        .address_space:  global
        .offset:         16
        .size:           8
        .value_kind:     global_buffer
      - .actual_access:  read_only
        .address_space:  global
        .offset:         24
        .size:           8
        .value_kind:     global_buffer
      - .actual_access:  read_only
        .address_space:  global
        .offset:         32
        .size:           8
        .value_kind:     global_buffer
      - .actual_access:  write_only
        .address_space:  global
        .offset:         40
        .size:           8
        .value_kind:     global_buffer
      - .offset:         48
        .size:           4
        .value_kind:     by_value
      - .offset:         52
        .size:           4
        .value_kind:     by_value
      - .offset:         56
        .size:           4
        .value_kind:     by_value
      - .offset:         60
        .size:           4
        .value_kind:     by_value
      - .offset:         64
        .size:           4
        .value_kind:     by_value
      - .offset:         68
        .size:           4
        .value_kind:     by_value
      - .offset:         72
        .size:           4
        .value_kind:     by_value
      - .offset:         76
        .size:           4
        .value_kind:     by_value
      - .offset:         80
        .size:           4
        .value_kind:     by_value
      - .offset:         84
        .size:           4
        .value_kind:     by_value
      - .offset:         88
        .size:           4
        .value_kind:     by_value
      - .offset:         92
        .size:           4
        .value_kind:     by_value
      - .offset:         96
        .size:           4
        .value_kind:     by_value
      - .offset:         100
        .size:           4
        .value_kind:     by_value
      - .offset:         104
        .size:           12
        .value_kind:     by_value
      - .offset:         116
        .size:           12
        .value_kind:     by_value
    .group_segment_fixed_size: 0
    .kernarg_segment_align: 8
    .kernarg_segment_size: 128
    .language:       OpenCL C
    .language_version:
      - 2
      - 0
    .max_flat_workgroup_size: 64
    .name:           _ZL13mul_mat_f_idsIfLi64ELi13ELi1EEvPKT_PKfPKiS6_S6_Pfiiiiiiiiiiiiii15HIP_vector_typeIjLj3EES9_
    .private_segment_fixed_size: 0
    .sgpr_count:     106
    .sgpr_spill_count: 24
    .symbol:         _ZL13mul_mat_f_idsIfLi64ELi13ELi1EEvPKT_PKfPKiS6_S6_Pfiiiiiiiiiiiiii15HIP_vector_typeIjLj3EES9_.kd
    .uniform_work_group_size: 1
    .uses_dynamic_stack: false
    .vgpr_count:     108
    .vgpr_spill_count: 0
    .wavefront_size: 64
  - .agpr_count:     16
    .args:
      - .actual_access:  read_only
        .address_space:  global
        .offset:         0
        .size:           8
        .value_kind:     global_buffer
      - .actual_access:  read_only
        .address_space:  global
        .offset:         8
        .size:           8
        .value_kind:     global_buffer
      - .actual_access:  read_only
        .address_space:  global
        .offset:         16
        .size:           8
        .value_kind:     global_buffer
      - .actual_access:  write_only
        .address_space:  global
        .offset:         24
        .size:           8
        .value_kind:     global_buffer
      - .offset:         32
        .size:           4
        .value_kind:     by_value
      - .offset:         36
        .size:           4
        .value_kind:     by_value
      - .offset:         40
        .size:           4
        .value_kind:     by_value
      - .offset:         44
        .size:           4
        .value_kind:     by_value
      - .offset:         48
        .size:           4
        .value_kind:     by_value
      - .offset:         52
        .size:           4
        .value_kind:     by_value
      - .offset:         56
        .size:           4
        .value_kind:     by_value
      - .offset:         60
        .size:           4
        .value_kind:     by_value
      - .offset:         64
        .size:           4
        .value_kind:     by_value
      - .offset:         68
        .size:           4
        .value_kind:     by_value
      - .offset:         72
        .size:           4
        .value_kind:     by_value
      - .offset:         76
        .size:           4
        .value_kind:     by_value
      - .offset:         80
        .size:           4
        .value_kind:     by_value
      - .offset:         84
        .size:           4
        .value_kind:     by_value
      - .offset:         88
        .size:           4
        .value_kind:     by_value
      - .offset:         92
        .size:           4
        .value_kind:     by_value
      - .offset:         96
        .size:           4
        .value_kind:     hidden_block_count_x
      - .offset:         100
        .size:           4
        .value_kind:     hidden_block_count_y
      - .offset:         104
        .size:           4
        .value_kind:     hidden_block_count_z
      - .offset:         108
        .size:           2
        .value_kind:     hidden_group_size_x
      - .offset:         110
        .size:           2
        .value_kind:     hidden_group_size_y
      - .offset:         112
        .size:           2
        .value_kind:     hidden_group_size_z
      - .offset:         114
        .size:           2
        .value_kind:     hidden_remainder_x
      - .offset:         116
        .size:           2
        .value_kind:     hidden_remainder_y
      - .offset:         118
        .size:           2
        .value_kind:     hidden_remainder_z
      - .offset:         136
        .size:           8
        .value_kind:     hidden_global_offset_x
      - .offset:         144
        .size:           8
        .value_kind:     hidden_global_offset_y
      - .offset:         152
        .size:           8
        .value_kind:     hidden_global_offset_z
      - .offset:         160
        .size:           2
        .value_kind:     hidden_grid_dims
      - .offset:         216
        .size:           4
        .value_kind:     hidden_dynamic_lds_size
    .group_segment_fixed_size: 256
    .kernarg_segment_align: 8
    .kernarg_segment_size: 352
    .language:       OpenCL C
    .language_version:
      - 2
      - 0
    .max_flat_workgroup_size: 64
    .name:           _ZL9mul_mat_fIfLi64ELi13ELi1ELb1EEvPKT_PKfPKiPfiiiiiiiiiiiiiiii
    .private_segment_fixed_size: 0
    .sgpr_count:     106
    .sgpr_spill_count: 38
    .symbol:         _ZL9mul_mat_fIfLi64ELi13ELi1ELb1EEvPKT_PKfPKiPfiiiiiiiiiiiiiiii.kd
    .uniform_work_group_size: 1
    .uses_dynamic_stack: false
    .vgpr_count:     120
    .vgpr_spill_count: 0
    .wavefront_size: 64
  - .agpr_count:     16
    .args:
      - .actual_access:  read_only
        .address_space:  global
        .offset:         0
        .size:           8
        .value_kind:     global_buffer
      - .actual_access:  read_only
        .address_space:  global
        .offset:         8
        .size:           8
        .value_kind:     global_buffer
      - .actual_access:  read_only
        .address_space:  global
        .offset:         16
        .size:           8
        .value_kind:     global_buffer
      - .actual_access:  write_only
        .address_space:  global
        .offset:         24
        .size:           8
        .value_kind:     global_buffer
      - .offset:         32
        .size:           4
        .value_kind:     by_value
      - .offset:         36
        .size:           4
        .value_kind:     by_value
      - .offset:         40
        .size:           4
        .value_kind:     by_value
      - .offset:         44
        .size:           4
        .value_kind:     by_value
      - .offset:         48
        .size:           4
        .value_kind:     by_value
      - .offset:         52
        .size:           4
        .value_kind:     by_value
      - .offset:         56
        .size:           4
        .value_kind:     by_value
      - .offset:         60
        .size:           4
        .value_kind:     by_value
      - .offset:         64
        .size:           4
        .value_kind:     by_value
      - .offset:         68
        .size:           4
        .value_kind:     by_value
      - .offset:         72
        .size:           4
        .value_kind:     by_value
      - .offset:         76
        .size:           4
        .value_kind:     by_value
      - .offset:         80
        .size:           4
        .value_kind:     by_value
      - .offset:         84
        .size:           4
        .value_kind:     by_value
      - .offset:         88
        .size:           4
        .value_kind:     by_value
      - .offset:         92
        .size:           4
        .value_kind:     by_value
    .group_segment_fixed_size: 0
    .kernarg_segment_align: 8
    .kernarg_segment_size: 96
    .language:       OpenCL C
    .language_version:
      - 2
      - 0
    .max_flat_workgroup_size: 64
    .name:           _ZL9mul_mat_fIfLi64ELi13ELi1ELb0EEvPKT_PKfPKiPfiiiiiiiiiiiiiiii
    .private_segment_fixed_size: 0
    .sgpr_count:     97
    .sgpr_spill_count: 0
    .symbol:         _ZL9mul_mat_fIfLi64ELi13ELi1ELb0EEvPKT_PKfPKiPfiiiiiiiiiiiiiiii.kd
    .uniform_work_group_size: 1
    .uses_dynamic_stack: false
    .vgpr_count:     132
    .vgpr_spill_count: 0
    .wavefront_size: 64
  - .agpr_count:     16
    .args:
      - .actual_access:  read_only
        .address_space:  global
        .offset:         0
        .size:           8
        .value_kind:     global_buffer
      - .actual_access:  read_only
        .address_space:  global
        .offset:         8
        .size:           8
        .value_kind:     global_buffer
      - .actual_access:  read_only
        .address_space:  global
        .offset:         16
        .size:           8
        .value_kind:     global_buffer
      - .actual_access:  read_only
        .address_space:  global
        .offset:         24
        .size:           8
        .value_kind:     global_buffer
      - .actual_access:  read_only
        .address_space:  global
        .offset:         32
        .size:           8
        .value_kind:     global_buffer
      - .actual_access:  write_only
        .address_space:  global
        .offset:         40
        .size:           8
        .value_kind:     global_buffer
      - .offset:         48
        .size:           4
        .value_kind:     by_value
      - .offset:         52
        .size:           4
        .value_kind:     by_value
      - .offset:         56
        .size:           4
        .value_kind:     by_value
      - .offset:         60
        .size:           4
        .value_kind:     by_value
      - .offset:         64
        .size:           4
        .value_kind:     by_value
      - .offset:         68
        .size:           4
        .value_kind:     by_value
      - .offset:         72
        .size:           4
        .value_kind:     by_value
      - .offset:         76
        .size:           4
        .value_kind:     by_value
      - .offset:         80
        .size:           4
        .value_kind:     by_value
      - .offset:         84
        .size:           4
        .value_kind:     by_value
      - .offset:         88
        .size:           4
        .value_kind:     by_value
      - .offset:         92
        .size:           4
        .value_kind:     by_value
      - .offset:         96
        .size:           4
        .value_kind:     by_value
      - .offset:         100
        .size:           4
        .value_kind:     by_value
      - .offset:         104
        .size:           12
        .value_kind:     by_value
      - .offset:         116
        .size:           12
        .value_kind:     by_value
    .group_segment_fixed_size: 0
    .kernarg_segment_align: 8
    .kernarg_segment_size: 128
    .language:       OpenCL C
    .language_version:
      - 2
      - 0
    .max_flat_workgroup_size: 128
    .name:           _ZL13mul_mat_f_idsIfLi64ELi13ELi2EEvPKT_PKfPKiS6_S6_Pfiiiiiiiiiiiiii15HIP_vector_typeIjLj3EES9_
    .private_segment_fixed_size: 0
    .sgpr_count:     106
    .sgpr_spill_count: 26
    .symbol:         _ZL13mul_mat_f_idsIfLi64ELi13ELi2EEvPKT_PKfPKiS6_S6_Pfiiiiiiiiiiiiii15HIP_vector_typeIjLj3EES9_.kd
    .uniform_work_group_size: 1
    .uses_dynamic_stack: false
    .vgpr_count:     108
    .vgpr_spill_count: 0
    .wavefront_size: 64
  - .agpr_count:     16
    .args:
      - .actual_access:  read_only
        .address_space:  global
        .offset:         0
        .size:           8
        .value_kind:     global_buffer
      - .actual_access:  read_only
        .address_space:  global
        .offset:         8
        .size:           8
        .value_kind:     global_buffer
      - .actual_access:  read_only
        .address_space:  global
        .offset:         16
        .size:           8
        .value_kind:     global_buffer
      - .actual_access:  write_only
        .address_space:  global
        .offset:         24
        .size:           8
        .value_kind:     global_buffer
      - .offset:         32
        .size:           4
        .value_kind:     by_value
      - .offset:         36
        .size:           4
        .value_kind:     by_value
      - .offset:         40
        .size:           4
        .value_kind:     by_value
      - .offset:         44
        .size:           4
        .value_kind:     by_value
      - .offset:         48
        .size:           4
        .value_kind:     by_value
      - .offset:         52
        .size:           4
        .value_kind:     by_value
      - .offset:         56
        .size:           4
        .value_kind:     by_value
      - .offset:         60
        .size:           4
        .value_kind:     by_value
      - .offset:         64
        .size:           4
        .value_kind:     by_value
      - .offset:         68
        .size:           4
        .value_kind:     by_value
      - .offset:         72
        .size:           4
        .value_kind:     by_value
      - .offset:         76
        .size:           4
        .value_kind:     by_value
      - .offset:         80
        .size:           4
        .value_kind:     by_value
      - .offset:         84
        .size:           4
        .value_kind:     by_value
      - .offset:         88
        .size:           4
        .value_kind:     by_value
      - .offset:         92
        .size:           4
        .value_kind:     by_value
      - .offset:         96
        .size:           4
        .value_kind:     hidden_block_count_x
      - .offset:         100
        .size:           4
        .value_kind:     hidden_block_count_y
      - .offset:         104
        .size:           4
        .value_kind:     hidden_block_count_z
      - .offset:         108
        .size:           2
        .value_kind:     hidden_group_size_x
      - .offset:         110
        .size:           2
        .value_kind:     hidden_group_size_y
      - .offset:         112
        .size:           2
        .value_kind:     hidden_group_size_z
      - .offset:         114
        .size:           2
        .value_kind:     hidden_remainder_x
      - .offset:         116
        .size:           2
        .value_kind:     hidden_remainder_y
      - .offset:         118
        .size:           2
        .value_kind:     hidden_remainder_z
      - .offset:         136
        .size:           8
        .value_kind:     hidden_global_offset_x
      - .offset:         144
        .size:           8
        .value_kind:     hidden_global_offset_y
      - .offset:         152
        .size:           8
        .value_kind:     hidden_global_offset_z
      - .offset:         160
        .size:           2
        .value_kind:     hidden_grid_dims
      - .offset:         216
        .size:           4
        .value_kind:     hidden_dynamic_lds_size
    .group_segment_fixed_size: 256
    .kernarg_segment_align: 8
    .kernarg_segment_size: 352
    .language:       OpenCL C
    .language_version:
      - 2
      - 0
    .max_flat_workgroup_size: 128
    .name:           _ZL9mul_mat_fIfLi64ELi13ELi2ELb1EEvPKT_PKfPKiPfiiiiiiiiiiiiiiii
    .private_segment_fixed_size: 0
    .sgpr_count:     106
    .sgpr_spill_count: 26
    .symbol:         _ZL9mul_mat_fIfLi64ELi13ELi2ELb1EEvPKT_PKfPKiPfiiiiiiiiiiiiiiii.kd
    .uniform_work_group_size: 1
    .uses_dynamic_stack: false
    .vgpr_count:     112
    .vgpr_spill_count: 0
    .wavefront_size: 64
  - .agpr_count:     16
    .args:
      - .actual_access:  read_only
        .address_space:  global
        .offset:         0
        .size:           8
        .value_kind:     global_buffer
      - .actual_access:  read_only
        .address_space:  global
        .offset:         8
        .size:           8
        .value_kind:     global_buffer
      - .actual_access:  read_only
        .address_space:  global
        .offset:         16
        .size:           8
        .value_kind:     global_buffer
      - .actual_access:  write_only
        .address_space:  global
        .offset:         24
        .size:           8
        .value_kind:     global_buffer
      - .offset:         32
        .size:           4
        .value_kind:     by_value
      - .offset:         36
        .size:           4
        .value_kind:     by_value
      - .offset:         40
        .size:           4
        .value_kind:     by_value
      - .offset:         44
        .size:           4
        .value_kind:     by_value
      - .offset:         48
        .size:           4
        .value_kind:     by_value
      - .offset:         52
        .size:           4
        .value_kind:     by_value
      - .offset:         56
        .size:           4
        .value_kind:     by_value
      - .offset:         60
        .size:           4
        .value_kind:     by_value
      - .offset:         64
        .size:           4
        .value_kind:     by_value
      - .offset:         68
        .size:           4
        .value_kind:     by_value
      - .offset:         72
        .size:           4
        .value_kind:     by_value
      - .offset:         76
        .size:           4
        .value_kind:     by_value
      - .offset:         80
        .size:           4
        .value_kind:     by_value
      - .offset:         84
        .size:           4
        .value_kind:     by_value
      - .offset:         88
        .size:           4
        .value_kind:     by_value
      - .offset:         92
        .size:           4
        .value_kind:     by_value
    .group_segment_fixed_size: 0
    .kernarg_segment_align: 8
    .kernarg_segment_size: 96
    .language:       OpenCL C
    .language_version:
      - 2
      - 0
    .max_flat_workgroup_size: 128
    .name:           _ZL9mul_mat_fIfLi64ELi13ELi2ELb0EEvPKT_PKfPKiPfiiiiiiiiiiiiiiii
    .private_segment_fixed_size: 0
    .sgpr_count:     97
    .sgpr_spill_count: 0
    .symbol:         _ZL9mul_mat_fIfLi64ELi13ELi2ELb0EEvPKT_PKfPKiPfiiiiiiiiiiiiiiii.kd
    .uniform_work_group_size: 1
    .uses_dynamic_stack: false
    .vgpr_count:     132
    .vgpr_spill_count: 0
    .wavefront_size: 64
  - .agpr_count:     16
    .args:
      - .actual_access:  read_only
        .address_space:  global
        .offset:         0
        .size:           8
        .value_kind:     global_buffer
      - .actual_access:  read_only
        .address_space:  global
        .offset:         8
        .size:           8
        .value_kind:     global_buffer
      - .actual_access:  read_only
        .address_space:  global
        .offset:         16
        .size:           8
        .value_kind:     global_buffer
      - .actual_access:  read_only
        .address_space:  global
        .offset:         24
        .size:           8
        .value_kind:     global_buffer
      - .actual_access:  read_only
        .address_space:  global
        .offset:         32
        .size:           8
        .value_kind:     global_buffer
      - .actual_access:  write_only
        .address_space:  global
        .offset:         40
        .size:           8
        .value_kind:     global_buffer
      - .offset:         48
        .size:           4
        .value_kind:     by_value
      - .offset:         52
        .size:           4
        .value_kind:     by_value
      - .offset:         56
        .size:           4
        .value_kind:     by_value
      - .offset:         60
        .size:           4
        .value_kind:     by_value
      - .offset:         64
        .size:           4
        .value_kind:     by_value
      - .offset:         68
        .size:           4
        .value_kind:     by_value
      - .offset:         72
        .size:           4
        .value_kind:     by_value
      - .offset:         76
        .size:           4
        .value_kind:     by_value
      - .offset:         80
        .size:           4
        .value_kind:     by_value
      - .offset:         84
        .size:           4
        .value_kind:     by_value
      - .offset:         88
        .size:           4
        .value_kind:     by_value
      - .offset:         92
        .size:           4
        .value_kind:     by_value
      - .offset:         96
        .size:           4
        .value_kind:     by_value
      - .offset:         100
        .size:           4
        .value_kind:     by_value
      - .offset:         104
        .size:           12
        .value_kind:     by_value
      - .offset:         116
        .size:           12
        .value_kind:     by_value
    .group_segment_fixed_size: 0
    .kernarg_segment_align: 8
    .kernarg_segment_size: 128
    .language:       OpenCL C
    .language_version:
      - 2
      - 0
    .max_flat_workgroup_size: 192
    .name:           _ZL13mul_mat_f_idsIfLi64ELi13ELi3EEvPKT_PKfPKiS6_S6_Pfiiiiiiiiiiiiii15HIP_vector_typeIjLj3EES9_
    .private_segment_fixed_size: 0
    .sgpr_count:     106
    .sgpr_spill_count: 26
    .symbol:         _ZL13mul_mat_f_idsIfLi64ELi13ELi3EEvPKT_PKfPKiS6_S6_Pfiiiiiiiiiiiiii15HIP_vector_typeIjLj3EES9_.kd
    .uniform_work_group_size: 1
    .uses_dynamic_stack: false
    .vgpr_count:     108
    .vgpr_spill_count: 0
    .wavefront_size: 64
  - .agpr_count:     16
    .args:
      - .actual_access:  read_only
        .address_space:  global
        .offset:         0
        .size:           8
        .value_kind:     global_buffer
      - .actual_access:  read_only
        .address_space:  global
        .offset:         8
        .size:           8
        .value_kind:     global_buffer
      - .actual_access:  read_only
        .address_space:  global
        .offset:         16
        .size:           8
        .value_kind:     global_buffer
      - .actual_access:  write_only
        .address_space:  global
        .offset:         24
        .size:           8
        .value_kind:     global_buffer
      - .offset:         32
        .size:           4
        .value_kind:     by_value
      - .offset:         36
        .size:           4
        .value_kind:     by_value
      - .offset:         40
        .size:           4
        .value_kind:     by_value
      - .offset:         44
        .size:           4
        .value_kind:     by_value
      - .offset:         48
        .size:           4
        .value_kind:     by_value
      - .offset:         52
        .size:           4
        .value_kind:     by_value
      - .offset:         56
        .size:           4
        .value_kind:     by_value
      - .offset:         60
        .size:           4
        .value_kind:     by_value
      - .offset:         64
        .size:           4
        .value_kind:     by_value
      - .offset:         68
        .size:           4
        .value_kind:     by_value
      - .offset:         72
        .size:           4
        .value_kind:     by_value
      - .offset:         76
        .size:           4
        .value_kind:     by_value
      - .offset:         80
        .size:           4
        .value_kind:     by_value
      - .offset:         84
        .size:           4
        .value_kind:     by_value
      - .offset:         88
        .size:           4
        .value_kind:     by_value
      - .offset:         92
        .size:           4
        .value_kind:     by_value
      - .offset:         96
        .size:           4
        .value_kind:     hidden_block_count_x
      - .offset:         100
        .size:           4
        .value_kind:     hidden_block_count_y
      - .offset:         104
        .size:           4
        .value_kind:     hidden_block_count_z
      - .offset:         108
        .size:           2
        .value_kind:     hidden_group_size_x
      - .offset:         110
        .size:           2
        .value_kind:     hidden_group_size_y
      - .offset:         112
        .size:           2
        .value_kind:     hidden_group_size_z
      - .offset:         114
        .size:           2
        .value_kind:     hidden_remainder_x
      - .offset:         116
        .size:           2
        .value_kind:     hidden_remainder_y
      - .offset:         118
        .size:           2
        .value_kind:     hidden_remainder_z
      - .offset:         136
        .size:           8
        .value_kind:     hidden_global_offset_x
      - .offset:         144
        .size:           8
        .value_kind:     hidden_global_offset_y
      - .offset:         152
        .size:           8
        .value_kind:     hidden_global_offset_z
      - .offset:         160
        .size:           2
        .value_kind:     hidden_grid_dims
      - .offset:         216
        .size:           4
        .value_kind:     hidden_dynamic_lds_size
    .group_segment_fixed_size: 256
    .kernarg_segment_align: 8
    .kernarg_segment_size: 352
    .language:       OpenCL C
    .language_version:
      - 2
      - 0
    .max_flat_workgroup_size: 192
    .name:           _ZL9mul_mat_fIfLi64ELi13ELi3ELb1EEvPKT_PKfPKiPfiiiiiiiiiiiiiiii
    .private_segment_fixed_size: 0
    .sgpr_count:     106
    .sgpr_spill_count: 22
    .symbol:         _ZL9mul_mat_fIfLi64ELi13ELi3ELb1EEvPKT_PKfPKiPfiiiiiiiiiiiiiiii.kd
    .uniform_work_group_size: 1
    .uses_dynamic_stack: false
    .vgpr_count:     112
    .vgpr_spill_count: 0
    .wavefront_size: 64
  - .agpr_count:     16
    .args:
      - .actual_access:  read_only
        .address_space:  global
        .offset:         0
        .size:           8
        .value_kind:     global_buffer
      - .actual_access:  read_only
        .address_space:  global
        .offset:         8
        .size:           8
        .value_kind:     global_buffer
      - .actual_access:  read_only
        .address_space:  global
        .offset:         16
        .size:           8
        .value_kind:     global_buffer
      - .actual_access:  write_only
        .address_space:  global
        .offset:         24
        .size:           8
        .value_kind:     global_buffer
      - .offset:         32
        .size:           4
        .value_kind:     by_value
      - .offset:         36
        .size:           4
        .value_kind:     by_value
      - .offset:         40
        .size:           4
        .value_kind:     by_value
      - .offset:         44
        .size:           4
        .value_kind:     by_value
      - .offset:         48
        .size:           4
        .value_kind:     by_value
      - .offset:         52
        .size:           4
        .value_kind:     by_value
      - .offset:         56
        .size:           4
        .value_kind:     by_value
      - .offset:         60
        .size:           4
        .value_kind:     by_value
      - .offset:         64
        .size:           4
        .value_kind:     by_value
      - .offset:         68
        .size:           4
        .value_kind:     by_value
      - .offset:         72
        .size:           4
        .value_kind:     by_value
      - .offset:         76
        .size:           4
        .value_kind:     by_value
      - .offset:         80
        .size:           4
        .value_kind:     by_value
      - .offset:         84
        .size:           4
        .value_kind:     by_value
      - .offset:         88
        .size:           4
        .value_kind:     by_value
      - .offset:         92
        .size:           4
        .value_kind:     by_value
    .group_segment_fixed_size: 0
    .kernarg_segment_align: 8
    .kernarg_segment_size: 96
    .language:       OpenCL C
    .language_version:
      - 2
      - 0
    .max_flat_workgroup_size: 192
    .name:           _ZL9mul_mat_fIfLi64ELi13ELi3ELb0EEvPKT_PKfPKiPfiiiiiiiiiiiiiiii
    .private_segment_fixed_size: 0
    .sgpr_count:     97
    .sgpr_spill_count: 0
    .symbol:         _ZL9mul_mat_fIfLi64ELi13ELi3ELb0EEvPKT_PKfPKiPfiiiiiiiiiiiiiiii.kd
    .uniform_work_group_size: 1
    .uses_dynamic_stack: false
    .vgpr_count:     132
    .vgpr_spill_count: 0
    .wavefront_size: 64
  - .agpr_count:     16
    .args:
      - .actual_access:  read_only
        .address_space:  global
        .offset:         0
        .size:           8
        .value_kind:     global_buffer
      - .actual_access:  read_only
        .address_space:  global
        .offset:         8
        .size:           8
        .value_kind:     global_buffer
      - .actual_access:  read_only
        .address_space:  global
        .offset:         16
        .size:           8
        .value_kind:     global_buffer
      - .actual_access:  read_only
        .address_space:  global
        .offset:         24
        .size:           8
        .value_kind:     global_buffer
      - .actual_access:  read_only
        .address_space:  global
        .offset:         32
        .size:           8
        .value_kind:     global_buffer
      - .actual_access:  write_only
        .address_space:  global
        .offset:         40
        .size:           8
        .value_kind:     global_buffer
      - .offset:         48
        .size:           4
        .value_kind:     by_value
      - .offset:         52
        .size:           4
        .value_kind:     by_value
      - .offset:         56
        .size:           4
        .value_kind:     by_value
      - .offset:         60
        .size:           4
        .value_kind:     by_value
      - .offset:         64
        .size:           4
        .value_kind:     by_value
      - .offset:         68
        .size:           4
        .value_kind:     by_value
      - .offset:         72
        .size:           4
        .value_kind:     by_value
      - .offset:         76
        .size:           4
        .value_kind:     by_value
      - .offset:         80
        .size:           4
        .value_kind:     by_value
      - .offset:         84
        .size:           4
        .value_kind:     by_value
      - .offset:         88
        .size:           4
        .value_kind:     by_value
      - .offset:         92
        .size:           4
        .value_kind:     by_value
      - .offset:         96
        .size:           4
        .value_kind:     by_value
      - .offset:         100
        .size:           4
        .value_kind:     by_value
      - .offset:         104
        .size:           12
        .value_kind:     by_value
      - .offset:         116
        .size:           12
        .value_kind:     by_value
    .group_segment_fixed_size: 0
    .kernarg_segment_align: 8
    .kernarg_segment_size: 128
    .language:       OpenCL C
    .language_version:
      - 2
      - 0
    .max_flat_workgroup_size: 256
    .name:           _ZL13mul_mat_f_idsIfLi64ELi13ELi4EEvPKT_PKfPKiS6_S6_Pfiiiiiiiiiiiiii15HIP_vector_typeIjLj3EES9_
    .private_segment_fixed_size: 0
    .sgpr_count:     106
    .sgpr_spill_count: 26
    .symbol:         _ZL13mul_mat_f_idsIfLi64ELi13ELi4EEvPKT_PKfPKiS6_S6_Pfiiiiiiiiiiiiii15HIP_vector_typeIjLj3EES9_.kd
    .uniform_work_group_size: 1
    .uses_dynamic_stack: false
    .vgpr_count:     108
    .vgpr_spill_count: 0
    .wavefront_size: 64
  - .agpr_count:     16
    .args:
      - .actual_access:  read_only
        .address_space:  global
        .offset:         0
        .size:           8
        .value_kind:     global_buffer
      - .actual_access:  read_only
        .address_space:  global
        .offset:         8
        .size:           8
        .value_kind:     global_buffer
      - .actual_access:  read_only
        .address_space:  global
        .offset:         16
        .size:           8
        .value_kind:     global_buffer
      - .actual_access:  write_only
        .address_space:  global
        .offset:         24
        .size:           8
        .value_kind:     global_buffer
      - .offset:         32
        .size:           4
        .value_kind:     by_value
      - .offset:         36
        .size:           4
        .value_kind:     by_value
      - .offset:         40
        .size:           4
        .value_kind:     by_value
      - .offset:         44
        .size:           4
        .value_kind:     by_value
      - .offset:         48
        .size:           4
        .value_kind:     by_value
      - .offset:         52
        .size:           4
        .value_kind:     by_value
      - .offset:         56
        .size:           4
        .value_kind:     by_value
      - .offset:         60
        .size:           4
        .value_kind:     by_value
      - .offset:         64
        .size:           4
        .value_kind:     by_value
      - .offset:         68
        .size:           4
        .value_kind:     by_value
      - .offset:         72
        .size:           4
        .value_kind:     by_value
      - .offset:         76
        .size:           4
        .value_kind:     by_value
      - .offset:         80
        .size:           4
        .value_kind:     by_value
      - .offset:         84
        .size:           4
        .value_kind:     by_value
      - .offset:         88
        .size:           4
        .value_kind:     by_value
      - .offset:         92
        .size:           4
        .value_kind:     by_value
      - .offset:         96
        .size:           4
        .value_kind:     hidden_block_count_x
      - .offset:         100
        .size:           4
        .value_kind:     hidden_block_count_y
      - .offset:         104
        .size:           4
        .value_kind:     hidden_block_count_z
      - .offset:         108
        .size:           2
        .value_kind:     hidden_group_size_x
      - .offset:         110
        .size:           2
        .value_kind:     hidden_group_size_y
      - .offset:         112
        .size:           2
        .value_kind:     hidden_group_size_z
      - .offset:         114
        .size:           2
        .value_kind:     hidden_remainder_x
      - .offset:         116
        .size:           2
        .value_kind:     hidden_remainder_y
      - .offset:         118
        .size:           2
        .value_kind:     hidden_remainder_z
      - .offset:         136
        .size:           8
        .value_kind:     hidden_global_offset_x
      - .offset:         144
        .size:           8
        .value_kind:     hidden_global_offset_y
      - .offset:         152
        .size:           8
        .value_kind:     hidden_global_offset_z
      - .offset:         160
        .size:           2
        .value_kind:     hidden_grid_dims
      - .offset:         216
        .size:           4
        .value_kind:     hidden_dynamic_lds_size
    .group_segment_fixed_size: 256
    .kernarg_segment_align: 8
    .kernarg_segment_size: 352
    .language:       OpenCL C
    .language_version:
      - 2
      - 0
    .max_flat_workgroup_size: 256
    .name:           _ZL9mul_mat_fIfLi64ELi13ELi4ELb1EEvPKT_PKfPKiPfiiiiiiiiiiiiiiii
    .private_segment_fixed_size: 0
    .sgpr_count:     106
    .sgpr_spill_count: 20
    .symbol:         _ZL9mul_mat_fIfLi64ELi13ELi4ELb1EEvPKT_PKfPKiPfiiiiiiiiiiiiiiii.kd
    .uniform_work_group_size: 1
    .uses_dynamic_stack: false
    .vgpr_count:     112
    .vgpr_spill_count: 0
    .wavefront_size: 64
  - .agpr_count:     16
    .args:
      - .actual_access:  read_only
        .address_space:  global
        .offset:         0
        .size:           8
        .value_kind:     global_buffer
      - .actual_access:  read_only
        .address_space:  global
        .offset:         8
        .size:           8
        .value_kind:     global_buffer
      - .actual_access:  read_only
        .address_space:  global
        .offset:         16
        .size:           8
        .value_kind:     global_buffer
      - .actual_access:  write_only
        .address_space:  global
        .offset:         24
        .size:           8
        .value_kind:     global_buffer
      - .offset:         32
        .size:           4
        .value_kind:     by_value
      - .offset:         36
        .size:           4
        .value_kind:     by_value
      - .offset:         40
        .size:           4
        .value_kind:     by_value
      - .offset:         44
        .size:           4
        .value_kind:     by_value
      - .offset:         48
        .size:           4
        .value_kind:     by_value
      - .offset:         52
        .size:           4
        .value_kind:     by_value
      - .offset:         56
        .size:           4
        .value_kind:     by_value
      - .offset:         60
        .size:           4
        .value_kind:     by_value
      - .offset:         64
        .size:           4
        .value_kind:     by_value
      - .offset:         68
        .size:           4
        .value_kind:     by_value
      - .offset:         72
        .size:           4
        .value_kind:     by_value
      - .offset:         76
        .size:           4
        .value_kind:     by_value
      - .offset:         80
        .size:           4
        .value_kind:     by_value
      - .offset:         84
        .size:           4
        .value_kind:     by_value
      - .offset:         88
        .size:           4
        .value_kind:     by_value
      - .offset:         92
        .size:           4
        .value_kind:     by_value
    .group_segment_fixed_size: 0
    .kernarg_segment_align: 8
    .kernarg_segment_size: 96
    .language:       OpenCL C
    .language_version:
      - 2
      - 0
    .max_flat_workgroup_size: 256
    .name:           _ZL9mul_mat_fIfLi64ELi13ELi4ELb0EEvPKT_PKfPKiPfiiiiiiiiiiiiiiii
    .private_segment_fixed_size: 0
    .sgpr_count:     97
    .sgpr_spill_count: 0
    .symbol:         _ZL9mul_mat_fIfLi64ELi13ELi4ELb0EEvPKT_PKfPKiPfiiiiiiiiiiiiiiii.kd
    .uniform_work_group_size: 1
    .uses_dynamic_stack: false
    .vgpr_count:     132
    .vgpr_spill_count: 0
    .wavefront_size: 64
  - .agpr_count:     0
    .args:
      - .actual_access:  read_only
        .address_space:  global
        .offset:         0
        .size:           8
        .value_kind:     global_buffer
      - .actual_access:  read_only
        .address_space:  global
        .offset:         8
        .size:           8
        .value_kind:     global_buffer
      - .actual_access:  read_only
        .address_space:  global
        .offset:         16
        .size:           8
        .value_kind:     global_buffer
      - .actual_access:  read_only
        .address_space:  global
        .offset:         24
        .size:           8
        .value_kind:     global_buffer
      - .actual_access:  read_only
        .address_space:  global
        .offset:         32
        .size:           8
        .value_kind:     global_buffer
      - .actual_access:  write_only
        .address_space:  global
        .offset:         40
        .size:           8
        .value_kind:     global_buffer
      - .offset:         48
        .size:           4
        .value_kind:     by_value
      - .offset:         52
        .size:           4
        .value_kind:     by_value
      - .offset:         56
        .size:           4
        .value_kind:     by_value
      - .offset:         60
        .size:           4
        .value_kind:     by_value
      - .offset:         64
        .size:           4
        .value_kind:     by_value
      - .offset:         68
        .size:           4
        .value_kind:     by_value
      - .offset:         72
        .size:           4
        .value_kind:     by_value
      - .offset:         76
        .size:           4
        .value_kind:     by_value
      - .offset:         80
        .size:           4
        .value_kind:     by_value
      - .offset:         84
        .size:           4
        .value_kind:     by_value
      - .offset:         88
        .size:           4
        .value_kind:     by_value
      - .offset:         92
        .size:           4
        .value_kind:     by_value
      - .offset:         96
        .size:           4
        .value_kind:     by_value
      - .offset:         100
        .size:           4
        .value_kind:     by_value
      - .offset:         104
        .size:           12
        .value_kind:     by_value
      - .offset:         116
        .size:           12
        .value_kind:     by_value
    .group_segment_fixed_size: 0
    .kernarg_segment_align: 8
    .kernarg_segment_size: 128
    .language:       OpenCL C
    .language_version:
      - 2
      - 0
    .max_flat_workgroup_size: 320
    .name:           _ZL13mul_mat_f_idsIfLi64ELi13ELi5EEvPKT_PKfPKiS6_S6_Pfiiiiiiiiiiiiii15HIP_vector_typeIjLj3EES9_
    .private_segment_fixed_size: 0
    .sgpr_count:     106
    .sgpr_spill_count: 26
    .symbol:         _ZL13mul_mat_f_idsIfLi64ELi13ELi5EEvPKT_PKfPKiS6_S6_Pfiiiiiiiiiiiiii15HIP_vector_typeIjLj3EES9_.kd
    .uniform_work_group_size: 1
    .uses_dynamic_stack: false
    .vgpr_count:     107
    .vgpr_spill_count: 0
    .wavefront_size: 64
  - .agpr_count:     0
    .args:
      - .actual_access:  read_only
        .address_space:  global
        .offset:         0
        .size:           8
        .value_kind:     global_buffer
      - .actual_access:  read_only
        .address_space:  global
        .offset:         8
        .size:           8
        .value_kind:     global_buffer
      - .actual_access:  read_only
        .address_space:  global
        .offset:         16
        .size:           8
        .value_kind:     global_buffer
      - .actual_access:  write_only
        .address_space:  global
        .offset:         24
        .size:           8
        .value_kind:     global_buffer
      - .offset:         32
        .size:           4
        .value_kind:     by_value
      - .offset:         36
        .size:           4
        .value_kind:     by_value
      - .offset:         40
        .size:           4
        .value_kind:     by_value
      - .offset:         44
        .size:           4
        .value_kind:     by_value
      - .offset:         48
        .size:           4
        .value_kind:     by_value
      - .offset:         52
        .size:           4
        .value_kind:     by_value
      - .offset:         56
        .size:           4
        .value_kind:     by_value
      - .offset:         60
        .size:           4
        .value_kind:     by_value
      - .offset:         64
        .size:           4
        .value_kind:     by_value
      - .offset:         68
        .size:           4
        .value_kind:     by_value
      - .offset:         72
        .size:           4
        .value_kind:     by_value
      - .offset:         76
        .size:           4
        .value_kind:     by_value
      - .offset:         80
        .size:           4
        .value_kind:     by_value
      - .offset:         84
        .size:           4
        .value_kind:     by_value
      - .offset:         88
        .size:           4
        .value_kind:     by_value
      - .offset:         92
        .size:           4
        .value_kind:     by_value
      - .offset:         96
        .size:           4
        .value_kind:     hidden_block_count_x
      - .offset:         100
        .size:           4
        .value_kind:     hidden_block_count_y
      - .offset:         104
        .size:           4
        .value_kind:     hidden_block_count_z
      - .offset:         108
        .size:           2
        .value_kind:     hidden_group_size_x
      - .offset:         110
        .size:           2
        .value_kind:     hidden_group_size_y
      - .offset:         112
        .size:           2
        .value_kind:     hidden_group_size_z
      - .offset:         114
        .size:           2
        .value_kind:     hidden_remainder_x
      - .offset:         116
        .size:           2
        .value_kind:     hidden_remainder_y
      - .offset:         118
        .size:           2
        .value_kind:     hidden_remainder_z
      - .offset:         136
        .size:           8
        .value_kind:     hidden_global_offset_x
      - .offset:         144
        .size:           8
        .value_kind:     hidden_global_offset_y
      - .offset:         152
        .size:           8
        .value_kind:     hidden_global_offset_z
      - .offset:         160
        .size:           2
        .value_kind:     hidden_grid_dims
      - .offset:         216
        .size:           4
        .value_kind:     hidden_dynamic_lds_size
    .group_segment_fixed_size: 256
    .kernarg_segment_align: 8
    .kernarg_segment_size: 352
    .language:       OpenCL C
    .language_version:
      - 2
      - 0
    .max_flat_workgroup_size: 320
    .name:           _ZL9mul_mat_fIfLi64ELi13ELi5ELb1EEvPKT_PKfPKiPfiiiiiiiiiiiiiiii
    .private_segment_fixed_size: 0
    .sgpr_count:     106
    .sgpr_spill_count: 18
    .symbol:         _ZL9mul_mat_fIfLi64ELi13ELi5ELb1EEvPKT_PKfPKiPfiiiiiiiiiiiiiiii.kd
    .uniform_work_group_size: 1
    .uses_dynamic_stack: false
    .vgpr_count:     113
    .vgpr_spill_count: 0
    .wavefront_size: 64
  - .agpr_count:     0
    .args:
      - .actual_access:  read_only
        .address_space:  global
        .offset:         0
        .size:           8
        .value_kind:     global_buffer
      - .actual_access:  read_only
        .address_space:  global
        .offset:         8
        .size:           8
        .value_kind:     global_buffer
      - .actual_access:  read_only
        .address_space:  global
        .offset:         16
        .size:           8
        .value_kind:     global_buffer
      - .actual_access:  write_only
        .address_space:  global
        .offset:         24
        .size:           8
        .value_kind:     global_buffer
      - .offset:         32
        .size:           4
        .value_kind:     by_value
      - .offset:         36
        .size:           4
        .value_kind:     by_value
      - .offset:         40
        .size:           4
        .value_kind:     by_value
      - .offset:         44
        .size:           4
        .value_kind:     by_value
      - .offset:         48
        .size:           4
        .value_kind:     by_value
      - .offset:         52
        .size:           4
        .value_kind:     by_value
      - .offset:         56
        .size:           4
        .value_kind:     by_value
      - .offset:         60
        .size:           4
        .value_kind:     by_value
      - .offset:         64
        .size:           4
        .value_kind:     by_value
      - .offset:         68
        .size:           4
        .value_kind:     by_value
      - .offset:         72
        .size:           4
        .value_kind:     by_value
      - .offset:         76
        .size:           4
        .value_kind:     by_value
      - .offset:         80
        .size:           4
        .value_kind:     by_value
      - .offset:         84
        .size:           4
        .value_kind:     by_value
      - .offset:         88
        .size:           4
        .value_kind:     by_value
      - .offset:         92
        .size:           4
        .value_kind:     by_value
    .group_segment_fixed_size: 0
    .kernarg_segment_align: 8
    .kernarg_segment_size: 96
    .language:       OpenCL C
    .language_version:
      - 2
      - 0
    .max_flat_workgroup_size: 320
    .name:           _ZL9mul_mat_fIfLi64ELi13ELi5ELb0EEvPKT_PKfPKiPfiiiiiiiiiiiiiiii
    .private_segment_fixed_size: 0
    .sgpr_count:     97
    .sgpr_spill_count: 0
    .symbol:         _ZL9mul_mat_fIfLi64ELi13ELi5ELb0EEvPKT_PKfPKiPfiiiiiiiiiiiiiiii.kd
    .uniform_work_group_size: 1
    .uses_dynamic_stack: false
    .vgpr_count:     118
    .vgpr_spill_count: 0
    .wavefront_size: 64
  - .agpr_count:     0
    .args:
      - .actual_access:  read_only
        .address_space:  global
        .offset:         0
        .size:           8
        .value_kind:     global_buffer
      - .actual_access:  read_only
        .address_space:  global
        .offset:         8
        .size:           8
        .value_kind:     global_buffer
      - .actual_access:  read_only
        .address_space:  global
        .offset:         16
        .size:           8
        .value_kind:     global_buffer
      - .actual_access:  read_only
        .address_space:  global
        .offset:         24
        .size:           8
        .value_kind:     global_buffer
      - .actual_access:  read_only
        .address_space:  global
        .offset:         32
        .size:           8
        .value_kind:     global_buffer
      - .actual_access:  write_only
        .address_space:  global
        .offset:         40
        .size:           8
        .value_kind:     global_buffer
      - .offset:         48
        .size:           4
        .value_kind:     by_value
      - .offset:         52
        .size:           4
        .value_kind:     by_value
      - .offset:         56
        .size:           4
        .value_kind:     by_value
      - .offset:         60
        .size:           4
        .value_kind:     by_value
      - .offset:         64
        .size:           4
        .value_kind:     by_value
      - .offset:         68
        .size:           4
        .value_kind:     by_value
      - .offset:         72
        .size:           4
        .value_kind:     by_value
      - .offset:         76
        .size:           4
        .value_kind:     by_value
      - .offset:         80
        .size:           4
        .value_kind:     by_value
      - .offset:         84
        .size:           4
        .value_kind:     by_value
      - .offset:         88
        .size:           4
        .value_kind:     by_value
      - .offset:         92
        .size:           4
        .value_kind:     by_value
      - .offset:         96
        .size:           4
        .value_kind:     by_value
      - .offset:         100
        .size:           4
        .value_kind:     by_value
      - .offset:         104
        .size:           12
        .value_kind:     by_value
      - .offset:         116
        .size:           12
        .value_kind:     by_value
    .group_segment_fixed_size: 0
    .kernarg_segment_align: 8
    .kernarg_segment_size: 128
    .language:       OpenCL C
    .language_version:
      - 2
      - 0
    .max_flat_workgroup_size: 384
    .name:           _ZL13mul_mat_f_idsIfLi64ELi13ELi6EEvPKT_PKfPKiS6_S6_Pfiiiiiiiiiiiiii15HIP_vector_typeIjLj3EES9_
    .private_segment_fixed_size: 0
    .sgpr_count:     106
    .sgpr_spill_count: 26
    .symbol:         _ZL13mul_mat_f_idsIfLi64ELi13ELi6EEvPKT_PKfPKiS6_S6_Pfiiiiiiiiiiiiii15HIP_vector_typeIjLj3EES9_.kd
    .uniform_work_group_size: 1
    .uses_dynamic_stack: false
    .vgpr_count:     107
    .vgpr_spill_count: 0
    .wavefront_size: 64
  - .agpr_count:     0
    .args:
      - .actual_access:  read_only
        .address_space:  global
        .offset:         0
        .size:           8
        .value_kind:     global_buffer
      - .actual_access:  read_only
        .address_space:  global
        .offset:         8
        .size:           8
        .value_kind:     global_buffer
      - .actual_access:  read_only
        .address_space:  global
        .offset:         16
        .size:           8
        .value_kind:     global_buffer
      - .actual_access:  write_only
        .address_space:  global
        .offset:         24
        .size:           8
        .value_kind:     global_buffer
      - .offset:         32
        .size:           4
        .value_kind:     by_value
      - .offset:         36
        .size:           4
        .value_kind:     by_value
      - .offset:         40
        .size:           4
        .value_kind:     by_value
      - .offset:         44
        .size:           4
        .value_kind:     by_value
      - .offset:         48
        .size:           4
        .value_kind:     by_value
      - .offset:         52
        .size:           4
        .value_kind:     by_value
      - .offset:         56
        .size:           4
        .value_kind:     by_value
      - .offset:         60
        .size:           4
        .value_kind:     by_value
      - .offset:         64
        .size:           4
        .value_kind:     by_value
      - .offset:         68
        .size:           4
        .value_kind:     by_value
      - .offset:         72
        .size:           4
        .value_kind:     by_value
      - .offset:         76
        .size:           4
        .value_kind:     by_value
      - .offset:         80
        .size:           4
        .value_kind:     by_value
      - .offset:         84
        .size:           4
        .value_kind:     by_value
      - .offset:         88
        .size:           4
        .value_kind:     by_value
      - .offset:         92
        .size:           4
        .value_kind:     by_value
      - .offset:         96
        .size:           4
        .value_kind:     hidden_block_count_x
      - .offset:         100
        .size:           4
        .value_kind:     hidden_block_count_y
      - .offset:         104
        .size:           4
        .value_kind:     hidden_block_count_z
      - .offset:         108
        .size:           2
        .value_kind:     hidden_group_size_x
      - .offset:         110
        .size:           2
        .value_kind:     hidden_group_size_y
      - .offset:         112
        .size:           2
        .value_kind:     hidden_group_size_z
      - .offset:         114
        .size:           2
        .value_kind:     hidden_remainder_x
      - .offset:         116
        .size:           2
        .value_kind:     hidden_remainder_y
      - .offset:         118
        .size:           2
        .value_kind:     hidden_remainder_z
      - .offset:         136
        .size:           8
        .value_kind:     hidden_global_offset_x
      - .offset:         144
        .size:           8
        .value_kind:     hidden_global_offset_y
      - .offset:         152
        .size:           8
        .value_kind:     hidden_global_offset_z
      - .offset:         160
        .size:           2
        .value_kind:     hidden_grid_dims
      - .offset:         216
        .size:           4
        .value_kind:     hidden_dynamic_lds_size
    .group_segment_fixed_size: 256
    .kernarg_segment_align: 8
    .kernarg_segment_size: 352
    .language:       OpenCL C
    .language_version:
      - 2
      - 0
    .max_flat_workgroup_size: 384
    .name:           _ZL9mul_mat_fIfLi64ELi13ELi6ELb1EEvPKT_PKfPKiPfiiiiiiiiiiiiiiii
    .private_segment_fixed_size: 0
    .sgpr_count:     106
    .sgpr_spill_count: 18
    .symbol:         _ZL9mul_mat_fIfLi64ELi13ELi6ELb1EEvPKT_PKfPKiPfiiiiiiiiiiiiiiii.kd
    .uniform_work_group_size: 1
    .uses_dynamic_stack: false
    .vgpr_count:     112
    .vgpr_spill_count: 0
    .wavefront_size: 64
  - .agpr_count:     0
    .args:
      - .actual_access:  read_only
        .address_space:  global
        .offset:         0
        .size:           8
        .value_kind:     global_buffer
      - .actual_access:  read_only
        .address_space:  global
        .offset:         8
        .size:           8
        .value_kind:     global_buffer
      - .actual_access:  read_only
        .address_space:  global
        .offset:         16
        .size:           8
        .value_kind:     global_buffer
      - .actual_access:  write_only
        .address_space:  global
        .offset:         24
        .size:           8
        .value_kind:     global_buffer
      - .offset:         32
        .size:           4
        .value_kind:     by_value
      - .offset:         36
        .size:           4
        .value_kind:     by_value
      - .offset:         40
        .size:           4
        .value_kind:     by_value
      - .offset:         44
        .size:           4
        .value_kind:     by_value
      - .offset:         48
        .size:           4
        .value_kind:     by_value
      - .offset:         52
        .size:           4
        .value_kind:     by_value
      - .offset:         56
        .size:           4
        .value_kind:     by_value
      - .offset:         60
        .size:           4
        .value_kind:     by_value
      - .offset:         64
        .size:           4
        .value_kind:     by_value
      - .offset:         68
        .size:           4
        .value_kind:     by_value
      - .offset:         72
        .size:           4
        .value_kind:     by_value
      - .offset:         76
        .size:           4
        .value_kind:     by_value
      - .offset:         80
        .size:           4
        .value_kind:     by_value
      - .offset:         84
        .size:           4
        .value_kind:     by_value
      - .offset:         88
        .size:           4
        .value_kind:     by_value
      - .offset:         92
        .size:           4
        .value_kind:     by_value
    .group_segment_fixed_size: 0
    .kernarg_segment_align: 8
    .kernarg_segment_size: 96
    .language:       OpenCL C
    .language_version:
      - 2
      - 0
    .max_flat_workgroup_size: 384
    .name:           _ZL9mul_mat_fIfLi64ELi13ELi6ELb0EEvPKT_PKfPKiPfiiiiiiiiiiiiiiii
    .private_segment_fixed_size: 0
    .sgpr_count:     97
    .sgpr_spill_count: 0
    .symbol:         _ZL9mul_mat_fIfLi64ELi13ELi6ELb0EEvPKT_PKfPKiPfiiiiiiiiiiiiiiii.kd
    .uniform_work_group_size: 1
    .uses_dynamic_stack: false
    .vgpr_count:     118
    .vgpr_spill_count: 0
    .wavefront_size: 64
  - .agpr_count:     0
    .args:
      - .actual_access:  read_only
        .address_space:  global
        .offset:         0
        .size:           8
        .value_kind:     global_buffer
      - .actual_access:  read_only
        .address_space:  global
        .offset:         8
        .size:           8
        .value_kind:     global_buffer
      - .actual_access:  read_only
        .address_space:  global
        .offset:         16
        .size:           8
        .value_kind:     global_buffer
      - .actual_access:  read_only
        .address_space:  global
        .offset:         24
        .size:           8
        .value_kind:     global_buffer
      - .actual_access:  read_only
        .address_space:  global
        .offset:         32
        .size:           8
        .value_kind:     global_buffer
      - .actual_access:  write_only
        .address_space:  global
        .offset:         40
        .size:           8
        .value_kind:     global_buffer
      - .offset:         48
        .size:           4
        .value_kind:     by_value
      - .offset:         52
        .size:           4
        .value_kind:     by_value
      - .offset:         56
        .size:           4
        .value_kind:     by_value
      - .offset:         60
        .size:           4
        .value_kind:     by_value
      - .offset:         64
        .size:           4
        .value_kind:     by_value
      - .offset:         68
        .size:           4
        .value_kind:     by_value
      - .offset:         72
        .size:           4
        .value_kind:     by_value
      - .offset:         76
        .size:           4
        .value_kind:     by_value
      - .offset:         80
        .size:           4
        .value_kind:     by_value
      - .offset:         84
        .size:           4
        .value_kind:     by_value
      - .offset:         88
        .size:           4
        .value_kind:     by_value
      - .offset:         92
        .size:           4
        .value_kind:     by_value
      - .offset:         96
        .size:           4
        .value_kind:     by_value
      - .offset:         100
        .size:           4
        .value_kind:     by_value
      - .offset:         104
        .size:           12
        .value_kind:     by_value
      - .offset:         116
        .size:           12
        .value_kind:     by_value
    .group_segment_fixed_size: 0
    .kernarg_segment_align: 8
    .kernarg_segment_size: 128
    .language:       OpenCL C
    .language_version:
      - 2
      - 0
    .max_flat_workgroup_size: 448
    .name:           _ZL13mul_mat_f_idsIfLi64ELi13ELi7EEvPKT_PKfPKiS6_S6_Pfiiiiiiiiiiiiii15HIP_vector_typeIjLj3EES9_
    .private_segment_fixed_size: 0
    .sgpr_count:     106
    .sgpr_spill_count: 26
    .symbol:         _ZL13mul_mat_f_idsIfLi64ELi13ELi7EEvPKT_PKfPKiS6_S6_Pfiiiiiiiiiiiiii15HIP_vector_typeIjLj3EES9_.kd
    .uniform_work_group_size: 1
    .uses_dynamic_stack: false
    .vgpr_count:     107
    .vgpr_spill_count: 0
    .wavefront_size: 64
  - .agpr_count:     0
    .args:
      - .actual_access:  read_only
        .address_space:  global
        .offset:         0
        .size:           8
        .value_kind:     global_buffer
      - .actual_access:  read_only
        .address_space:  global
        .offset:         8
        .size:           8
        .value_kind:     global_buffer
      - .actual_access:  read_only
        .address_space:  global
        .offset:         16
        .size:           8
        .value_kind:     global_buffer
      - .actual_access:  write_only
        .address_space:  global
        .offset:         24
        .size:           8
        .value_kind:     global_buffer
      - .offset:         32
        .size:           4
        .value_kind:     by_value
      - .offset:         36
        .size:           4
        .value_kind:     by_value
      - .offset:         40
        .size:           4
        .value_kind:     by_value
      - .offset:         44
        .size:           4
        .value_kind:     by_value
      - .offset:         48
        .size:           4
        .value_kind:     by_value
      - .offset:         52
        .size:           4
        .value_kind:     by_value
      - .offset:         56
        .size:           4
        .value_kind:     by_value
      - .offset:         60
        .size:           4
        .value_kind:     by_value
      - .offset:         64
        .size:           4
        .value_kind:     by_value
      - .offset:         68
        .size:           4
        .value_kind:     by_value
      - .offset:         72
        .size:           4
        .value_kind:     by_value
      - .offset:         76
        .size:           4
        .value_kind:     by_value
      - .offset:         80
        .size:           4
        .value_kind:     by_value
      - .offset:         84
        .size:           4
        .value_kind:     by_value
      - .offset:         88
        .size:           4
        .value_kind:     by_value
      - .offset:         92
        .size:           4
        .value_kind:     by_value
      - .offset:         96
        .size:           4
        .value_kind:     hidden_block_count_x
      - .offset:         100
        .size:           4
        .value_kind:     hidden_block_count_y
      - .offset:         104
        .size:           4
        .value_kind:     hidden_block_count_z
      - .offset:         108
        .size:           2
        .value_kind:     hidden_group_size_x
      - .offset:         110
        .size:           2
        .value_kind:     hidden_group_size_y
      - .offset:         112
        .size:           2
        .value_kind:     hidden_group_size_z
      - .offset:         114
        .size:           2
        .value_kind:     hidden_remainder_x
      - .offset:         116
        .size:           2
        .value_kind:     hidden_remainder_y
      - .offset:         118
        .size:           2
        .value_kind:     hidden_remainder_z
      - .offset:         136
        .size:           8
        .value_kind:     hidden_global_offset_x
      - .offset:         144
        .size:           8
        .value_kind:     hidden_global_offset_y
      - .offset:         152
        .size:           8
        .value_kind:     hidden_global_offset_z
      - .offset:         160
        .size:           2
        .value_kind:     hidden_grid_dims
      - .offset:         216
        .size:           4
        .value_kind:     hidden_dynamic_lds_size
    .group_segment_fixed_size: 256
    .kernarg_segment_align: 8
    .kernarg_segment_size: 352
    .language:       OpenCL C
    .language_version:
      - 2
      - 0
    .max_flat_workgroup_size: 448
    .name:           _ZL9mul_mat_fIfLi64ELi13ELi7ELb1EEvPKT_PKfPKiPfiiiiiiiiiiiiiiii
    .private_segment_fixed_size: 0
    .sgpr_count:     106
    .sgpr_spill_count: 16
    .symbol:         _ZL9mul_mat_fIfLi64ELi13ELi7ELb1EEvPKT_PKfPKiPfiiiiiiiiiiiiiiii.kd
    .uniform_work_group_size: 1
    .uses_dynamic_stack: false
    .vgpr_count:     112
    .vgpr_spill_count: 0
    .wavefront_size: 64
  - .agpr_count:     0
    .args:
      - .actual_access:  read_only
        .address_space:  global
        .offset:         0
        .size:           8
        .value_kind:     global_buffer
      - .actual_access:  read_only
        .address_space:  global
        .offset:         8
        .size:           8
        .value_kind:     global_buffer
      - .actual_access:  read_only
        .address_space:  global
        .offset:         16
        .size:           8
        .value_kind:     global_buffer
      - .actual_access:  write_only
        .address_space:  global
        .offset:         24
        .size:           8
        .value_kind:     global_buffer
      - .offset:         32
        .size:           4
        .value_kind:     by_value
      - .offset:         36
        .size:           4
        .value_kind:     by_value
      - .offset:         40
        .size:           4
        .value_kind:     by_value
      - .offset:         44
        .size:           4
        .value_kind:     by_value
      - .offset:         48
        .size:           4
        .value_kind:     by_value
      - .offset:         52
        .size:           4
        .value_kind:     by_value
      - .offset:         56
        .size:           4
        .value_kind:     by_value
      - .offset:         60
        .size:           4
        .value_kind:     by_value
      - .offset:         64
        .size:           4
        .value_kind:     by_value
      - .offset:         68
        .size:           4
        .value_kind:     by_value
      - .offset:         72
        .size:           4
        .value_kind:     by_value
      - .offset:         76
        .size:           4
        .value_kind:     by_value
      - .offset:         80
        .size:           4
        .value_kind:     by_value
      - .offset:         84
        .size:           4
        .value_kind:     by_value
      - .offset:         88
        .size:           4
        .value_kind:     by_value
      - .offset:         92
        .size:           4
        .value_kind:     by_value
    .group_segment_fixed_size: 0
    .kernarg_segment_align: 8
    .kernarg_segment_size: 96
    .language:       OpenCL C
    .language_version:
      - 2
      - 0
    .max_flat_workgroup_size: 448
    .name:           _ZL9mul_mat_fIfLi64ELi13ELi7ELb0EEvPKT_PKfPKiPfiiiiiiiiiiiiiiii
    .private_segment_fixed_size: 0
    .sgpr_count:     97
    .sgpr_spill_count: 0
    .symbol:         _ZL9mul_mat_fIfLi64ELi13ELi7ELb0EEvPKT_PKfPKiPfiiiiiiiiiiiiiiii.kd
    .uniform_work_group_size: 1
    .uses_dynamic_stack: false
    .vgpr_count:     118
    .vgpr_spill_count: 0
    .wavefront_size: 64
  - .agpr_count:     0
    .args:
      - .actual_access:  read_only
        .address_space:  global
        .offset:         0
        .size:           8
        .value_kind:     global_buffer
      - .actual_access:  read_only
        .address_space:  global
        .offset:         8
        .size:           8
        .value_kind:     global_buffer
      - .actual_access:  read_only
        .address_space:  global
        .offset:         16
        .size:           8
        .value_kind:     global_buffer
      - .actual_access:  read_only
        .address_space:  global
        .offset:         24
        .size:           8
        .value_kind:     global_buffer
      - .actual_access:  read_only
        .address_space:  global
        .offset:         32
        .size:           8
        .value_kind:     global_buffer
      - .actual_access:  write_only
        .address_space:  global
        .offset:         40
        .size:           8
        .value_kind:     global_buffer
      - .offset:         48
        .size:           4
        .value_kind:     by_value
      - .offset:         52
        .size:           4
        .value_kind:     by_value
      - .offset:         56
        .size:           4
        .value_kind:     by_value
      - .offset:         60
        .size:           4
        .value_kind:     by_value
      - .offset:         64
        .size:           4
        .value_kind:     by_value
      - .offset:         68
        .size:           4
        .value_kind:     by_value
      - .offset:         72
        .size:           4
        .value_kind:     by_value
      - .offset:         76
        .size:           4
        .value_kind:     by_value
      - .offset:         80
        .size:           4
        .value_kind:     by_value
      - .offset:         84
        .size:           4
        .value_kind:     by_value
      - .offset:         88
        .size:           4
        .value_kind:     by_value
      - .offset:         92
        .size:           4
        .value_kind:     by_value
      - .offset:         96
        .size:           4
        .value_kind:     by_value
      - .offset:         100
        .size:           4
        .value_kind:     by_value
      - .offset:         104
        .size:           12
        .value_kind:     by_value
      - .offset:         116
        .size:           12
        .value_kind:     by_value
    .group_segment_fixed_size: 0
    .kernarg_segment_align: 8
    .kernarg_segment_size: 128
    .language:       OpenCL C
    .language_version:
      - 2
      - 0
    .max_flat_workgroup_size: 512
    .name:           _ZL13mul_mat_f_idsIfLi64ELi13ELi8EEvPKT_PKfPKiS6_S6_Pfiiiiiiiiiiiiii15HIP_vector_typeIjLj3EES9_
    .private_segment_fixed_size: 0
    .sgpr_count:     106
    .sgpr_spill_count: 26
    .symbol:         _ZL13mul_mat_f_idsIfLi64ELi13ELi8EEvPKT_PKfPKiS6_S6_Pfiiiiiiiiiiiiii15HIP_vector_typeIjLj3EES9_.kd
    .uniform_work_group_size: 1
    .uses_dynamic_stack: false
    .vgpr_count:     107
    .vgpr_spill_count: 0
    .wavefront_size: 64
  - .agpr_count:     0
    .args:
      - .actual_access:  read_only
        .address_space:  global
        .offset:         0
        .size:           8
        .value_kind:     global_buffer
      - .actual_access:  read_only
        .address_space:  global
        .offset:         8
        .size:           8
        .value_kind:     global_buffer
      - .actual_access:  read_only
        .address_space:  global
        .offset:         16
        .size:           8
        .value_kind:     global_buffer
      - .actual_access:  write_only
        .address_space:  global
        .offset:         24
        .size:           8
        .value_kind:     global_buffer
      - .offset:         32
        .size:           4
        .value_kind:     by_value
      - .offset:         36
        .size:           4
        .value_kind:     by_value
      - .offset:         40
        .size:           4
        .value_kind:     by_value
      - .offset:         44
        .size:           4
        .value_kind:     by_value
      - .offset:         48
        .size:           4
        .value_kind:     by_value
      - .offset:         52
        .size:           4
        .value_kind:     by_value
      - .offset:         56
        .size:           4
        .value_kind:     by_value
      - .offset:         60
        .size:           4
        .value_kind:     by_value
      - .offset:         64
        .size:           4
        .value_kind:     by_value
      - .offset:         68
        .size:           4
        .value_kind:     by_value
      - .offset:         72
        .size:           4
        .value_kind:     by_value
      - .offset:         76
        .size:           4
        .value_kind:     by_value
      - .offset:         80
        .size:           4
        .value_kind:     by_value
      - .offset:         84
        .size:           4
        .value_kind:     by_value
      - .offset:         88
        .size:           4
        .value_kind:     by_value
      - .offset:         92
        .size:           4
        .value_kind:     by_value
      - .offset:         96
        .size:           4
        .value_kind:     hidden_block_count_x
      - .offset:         100
        .size:           4
        .value_kind:     hidden_block_count_y
      - .offset:         104
        .size:           4
        .value_kind:     hidden_block_count_z
      - .offset:         108
        .size:           2
        .value_kind:     hidden_group_size_x
      - .offset:         110
        .size:           2
        .value_kind:     hidden_group_size_y
      - .offset:         112
        .size:           2
        .value_kind:     hidden_group_size_z
      - .offset:         114
        .size:           2
        .value_kind:     hidden_remainder_x
      - .offset:         116
        .size:           2
        .value_kind:     hidden_remainder_y
      - .offset:         118
        .size:           2
        .value_kind:     hidden_remainder_z
      - .offset:         136
        .size:           8
        .value_kind:     hidden_global_offset_x
      - .offset:         144
        .size:           8
        .value_kind:     hidden_global_offset_y
      - .offset:         152
        .size:           8
        .value_kind:     hidden_global_offset_z
      - .offset:         160
        .size:           2
        .value_kind:     hidden_grid_dims
      - .offset:         216
        .size:           4
        .value_kind:     hidden_dynamic_lds_size
    .group_segment_fixed_size: 256
    .kernarg_segment_align: 8
    .kernarg_segment_size: 352
    .language:       OpenCL C
    .language_version:
      - 2
      - 0
    .max_flat_workgroup_size: 512
    .name:           _ZL9mul_mat_fIfLi64ELi13ELi8ELb1EEvPKT_PKfPKiPfiiiiiiiiiiiiiiii
    .private_segment_fixed_size: 0
    .sgpr_count:     106
    .sgpr_spill_count: 16
    .symbol:         _ZL9mul_mat_fIfLi64ELi13ELi8ELb1EEvPKT_PKfPKiPfiiiiiiiiiiiiiiii.kd
    .uniform_work_group_size: 1
    .uses_dynamic_stack: false
    .vgpr_count:     112
    .vgpr_spill_count: 0
    .wavefront_size: 64
  - .agpr_count:     0
    .args:
      - .actual_access:  read_only
        .address_space:  global
        .offset:         0
        .size:           8
        .value_kind:     global_buffer
      - .actual_access:  read_only
        .address_space:  global
        .offset:         8
        .size:           8
        .value_kind:     global_buffer
      - .actual_access:  read_only
        .address_space:  global
        .offset:         16
        .size:           8
        .value_kind:     global_buffer
      - .actual_access:  write_only
        .address_space:  global
        .offset:         24
        .size:           8
        .value_kind:     global_buffer
      - .offset:         32
        .size:           4
        .value_kind:     by_value
      - .offset:         36
        .size:           4
        .value_kind:     by_value
      - .offset:         40
        .size:           4
        .value_kind:     by_value
      - .offset:         44
        .size:           4
        .value_kind:     by_value
      - .offset:         48
        .size:           4
        .value_kind:     by_value
      - .offset:         52
        .size:           4
        .value_kind:     by_value
      - .offset:         56
        .size:           4
        .value_kind:     by_value
      - .offset:         60
        .size:           4
        .value_kind:     by_value
      - .offset:         64
        .size:           4
        .value_kind:     by_value
      - .offset:         68
        .size:           4
        .value_kind:     by_value
      - .offset:         72
        .size:           4
        .value_kind:     by_value
      - .offset:         76
        .size:           4
        .value_kind:     by_value
      - .offset:         80
        .size:           4
        .value_kind:     by_value
      - .offset:         84
        .size:           4
        .value_kind:     by_value
      - .offset:         88
        .size:           4
        .value_kind:     by_value
      - .offset:         92
        .size:           4
        .value_kind:     by_value
    .group_segment_fixed_size: 0
    .kernarg_segment_align: 8
    .kernarg_segment_size: 96
    .language:       OpenCL C
    .language_version:
      - 2
      - 0
    .max_flat_workgroup_size: 512
    .name:           _ZL9mul_mat_fIfLi64ELi13ELi8ELb0EEvPKT_PKfPKiPfiiiiiiiiiiiiiiii
    .private_segment_fixed_size: 0
    .sgpr_count:     97
    .sgpr_spill_count: 0
    .symbol:         _ZL9mul_mat_fIfLi64ELi13ELi8ELb0EEvPKT_PKfPKiPfiiiiiiiiiiiiiiii.kd
    .uniform_work_group_size: 1
    .uses_dynamic_stack: false
    .vgpr_count:     118
    .vgpr_spill_count: 0
    .wavefront_size: 64
  - .agpr_count:     16
    .args:
      - .actual_access:  read_only
        .address_space:  global
        .offset:         0
        .size:           8
        .value_kind:     global_buffer
      - .actual_access:  read_only
        .address_space:  global
        .offset:         8
        .size:           8
        .value_kind:     global_buffer
      - .actual_access:  read_only
        .address_space:  global
        .offset:         16
        .size:           8
        .value_kind:     global_buffer
      - .actual_access:  read_only
        .address_space:  global
        .offset:         24
        .size:           8
        .value_kind:     global_buffer
      - .actual_access:  read_only
        .address_space:  global
        .offset:         32
        .size:           8
        .value_kind:     global_buffer
      - .actual_access:  write_only
        .address_space:  global
        .offset:         40
        .size:           8
        .value_kind:     global_buffer
      - .offset:         48
        .size:           4
        .value_kind:     by_value
      - .offset:         52
        .size:           4
        .value_kind:     by_value
      - .offset:         56
        .size:           4
        .value_kind:     by_value
      - .offset:         60
        .size:           4
        .value_kind:     by_value
      - .offset:         64
        .size:           4
        .value_kind:     by_value
      - .offset:         68
        .size:           4
        .value_kind:     by_value
      - .offset:         72
        .size:           4
        .value_kind:     by_value
      - .offset:         76
        .size:           4
        .value_kind:     by_value
      - .offset:         80
        .size:           4
        .value_kind:     by_value
      - .offset:         84
        .size:           4
        .value_kind:     by_value
      - .offset:         88
        .size:           4
        .value_kind:     by_value
      - .offset:         92
        .size:           4
        .value_kind:     by_value
      - .offset:         96
        .size:           4
        .value_kind:     by_value
      - .offset:         100
        .size:           4
        .value_kind:     by_value
      - .offset:         104
        .size:           12
        .value_kind:     by_value
      - .offset:         116
        .size:           12
        .value_kind:     by_value
    .group_segment_fixed_size: 0
    .kernarg_segment_align: 8
    .kernarg_segment_size: 128
    .language:       OpenCL C
    .language_version:
      - 2
      - 0
    .max_flat_workgroup_size: 64
    .name:           _ZL13mul_mat_f_idsI7__half2Li64ELi13ELi1EEvPKT_PKfPKiS7_S7_Pfiiiiiiiiiiiiii15HIP_vector_typeIjLj3EESA_
    .private_segment_fixed_size: 0
    .sgpr_count:     106
    .sgpr_spill_count: 26
    .symbol:         _ZL13mul_mat_f_idsI7__half2Li64ELi13ELi1EEvPKT_PKfPKiS7_S7_Pfiiiiiiiiiiiiii15HIP_vector_typeIjLj3EESA_.kd
    .uniform_work_group_size: 1
    .uses_dynamic_stack: false
    .vgpr_count:     120
    .vgpr_spill_count: 0
    .wavefront_size: 64
  - .agpr_count:     16
    .args:
      - .actual_access:  read_only
        .address_space:  global
        .offset:         0
        .size:           8
        .value_kind:     global_buffer
      - .actual_access:  read_only
        .address_space:  global
        .offset:         8
        .size:           8
        .value_kind:     global_buffer
      - .actual_access:  read_only
        .address_space:  global
        .offset:         16
        .size:           8
        .value_kind:     global_buffer
      - .actual_access:  write_only
        .address_space:  global
        .offset:         24
        .size:           8
        .value_kind:     global_buffer
      - .offset:         32
        .size:           4
        .value_kind:     by_value
      - .offset:         36
        .size:           4
        .value_kind:     by_value
      - .offset:         40
        .size:           4
        .value_kind:     by_value
      - .offset:         44
        .size:           4
        .value_kind:     by_value
      - .offset:         48
        .size:           4
        .value_kind:     by_value
      - .offset:         52
        .size:           4
        .value_kind:     by_value
      - .offset:         56
        .size:           4
        .value_kind:     by_value
      - .offset:         60
        .size:           4
        .value_kind:     by_value
      - .offset:         64
        .size:           4
        .value_kind:     by_value
      - .offset:         68
        .size:           4
        .value_kind:     by_value
      - .offset:         72
        .size:           4
        .value_kind:     by_value
      - .offset:         76
        .size:           4
        .value_kind:     by_value
      - .offset:         80
        .size:           4
        .value_kind:     by_value
      - .offset:         84
        .size:           4
        .value_kind:     by_value
      - .offset:         88
        .size:           4
        .value_kind:     by_value
      - .offset:         92
        .size:           4
        .value_kind:     by_value
      - .offset:         96
        .size:           4
        .value_kind:     hidden_block_count_x
      - .offset:         100
        .size:           4
        .value_kind:     hidden_block_count_y
      - .offset:         104
        .size:           4
        .value_kind:     hidden_block_count_z
      - .offset:         108
        .size:           2
        .value_kind:     hidden_group_size_x
      - .offset:         110
        .size:           2
        .value_kind:     hidden_group_size_y
      - .offset:         112
        .size:           2
        .value_kind:     hidden_group_size_z
      - .offset:         114
        .size:           2
        .value_kind:     hidden_remainder_x
      - .offset:         116
        .size:           2
        .value_kind:     hidden_remainder_y
      - .offset:         118
        .size:           2
        .value_kind:     hidden_remainder_z
      - .offset:         136
        .size:           8
        .value_kind:     hidden_global_offset_x
      - .offset:         144
        .size:           8
        .value_kind:     hidden_global_offset_y
      - .offset:         152
        .size:           8
        .value_kind:     hidden_global_offset_z
      - .offset:         160
        .size:           2
        .value_kind:     hidden_grid_dims
      - .offset:         216
        .size:           4
        .value_kind:     hidden_dynamic_lds_size
    .group_segment_fixed_size: 256
    .kernarg_segment_align: 8
    .kernarg_segment_size: 352
    .language:       OpenCL C
    .language_version:
      - 2
      - 0
    .max_flat_workgroup_size: 64
    .name:           _ZL9mul_mat_fI7__half2Li64ELi13ELi1ELb1EEvPKT_PKfPKiPfiiiiiiiiiiiiiiii
    .private_segment_fixed_size: 0
    .sgpr_count:     106
    .sgpr_spill_count: 45
    .symbol:         _ZL9mul_mat_fI7__half2Li64ELi13ELi1ELb1EEvPKT_PKfPKiPfiiiiiiiiiiiiiiii.kd
    .uniform_work_group_size: 1
    .uses_dynamic_stack: false
    .vgpr_count:     120
    .vgpr_spill_count: 0
    .wavefront_size: 64
  - .agpr_count:     20
    .args:
      - .actual_access:  read_only
        .address_space:  global
        .offset:         0
        .size:           8
        .value_kind:     global_buffer
      - .actual_access:  read_only
        .address_space:  global
        .offset:         8
        .size:           8
        .value_kind:     global_buffer
      - .actual_access:  read_only
        .address_space:  global
        .offset:         16
        .size:           8
        .value_kind:     global_buffer
      - .actual_access:  write_only
        .address_space:  global
        .offset:         24
        .size:           8
        .value_kind:     global_buffer
      - .offset:         32
        .size:           4
        .value_kind:     by_value
      - .offset:         36
        .size:           4
        .value_kind:     by_value
      - .offset:         40
        .size:           4
        .value_kind:     by_value
      - .offset:         44
        .size:           4
        .value_kind:     by_value
      - .offset:         48
        .size:           4
        .value_kind:     by_value
      - .offset:         52
        .size:           4
        .value_kind:     by_value
      - .offset:         56
        .size:           4
        .value_kind:     by_value
      - .offset:         60
        .size:           4
        .value_kind:     by_value
      - .offset:         64
        .size:           4
        .value_kind:     by_value
      - .offset:         68
        .size:           4
        .value_kind:     by_value
      - .offset:         72
        .size:           4
        .value_kind:     by_value
      - .offset:         76
        .size:           4
        .value_kind:     by_value
      - .offset:         80
        .size:           4
        .value_kind:     by_value
      - .offset:         84
        .size:           4
        .value_kind:     by_value
      - .offset:         88
        .size:           4
        .value_kind:     by_value
      - .offset:         92
        .size:           4
        .value_kind:     by_value
    .group_segment_fixed_size: 0
    .kernarg_segment_align: 8
    .kernarg_segment_size: 96
    .language:       OpenCL C
    .language_version:
      - 2
      - 0
    .max_flat_workgroup_size: 64
    .name:           _ZL9mul_mat_fI7__half2Li64ELi13ELi1ELb0EEvPKT_PKfPKiPfiiiiiiiiiiiiiiii
    .private_segment_fixed_size: 0
    .sgpr_count:     103
    .sgpr_spill_count: 0
    .symbol:         _ZL9mul_mat_fI7__half2Li64ELi13ELi1ELb0EEvPKT_PKfPKiPfiiiiiiiiiiiiiiii.kd
    .uniform_work_group_size: 1
    .uses_dynamic_stack: false
    .vgpr_count:     136
    .vgpr_spill_count: 0
    .wavefront_size: 64
  - .agpr_count:     16
    .args:
      - .actual_access:  read_only
        .address_space:  global
        .offset:         0
        .size:           8
        .value_kind:     global_buffer
      - .actual_access:  read_only
        .address_space:  global
        .offset:         8
        .size:           8
        .value_kind:     global_buffer
      - .actual_access:  read_only
        .address_space:  global
        .offset:         16
        .size:           8
        .value_kind:     global_buffer
      - .actual_access:  read_only
        .address_space:  global
        .offset:         24
        .size:           8
        .value_kind:     global_buffer
      - .actual_access:  read_only
        .address_space:  global
        .offset:         32
        .size:           8
        .value_kind:     global_buffer
      - .actual_access:  write_only
        .address_space:  global
        .offset:         40
        .size:           8
        .value_kind:     global_buffer
      - .offset:         48
        .size:           4
        .value_kind:     by_value
      - .offset:         52
        .size:           4
        .value_kind:     by_value
      - .offset:         56
        .size:           4
        .value_kind:     by_value
      - .offset:         60
        .size:           4
        .value_kind:     by_value
      - .offset:         64
        .size:           4
        .value_kind:     by_value
      - .offset:         68
        .size:           4
        .value_kind:     by_value
      - .offset:         72
        .size:           4
        .value_kind:     by_value
      - .offset:         76
        .size:           4
        .value_kind:     by_value
      - .offset:         80
        .size:           4
        .value_kind:     by_value
      - .offset:         84
        .size:           4
        .value_kind:     by_value
      - .offset:         88
        .size:           4
        .value_kind:     by_value
      - .offset:         92
        .size:           4
        .value_kind:     by_value
      - .offset:         96
        .size:           4
        .value_kind:     by_value
      - .offset:         100
        .size:           4
        .value_kind:     by_value
      - .offset:         104
        .size:           12
        .value_kind:     by_value
      - .offset:         116
        .size:           12
        .value_kind:     by_value
    .group_segment_fixed_size: 0
    .kernarg_segment_align: 8
    .kernarg_segment_size: 128
    .language:       OpenCL C
    .language_version:
      - 2
      - 0
    .max_flat_workgroup_size: 128
    .name:           _ZL13mul_mat_f_idsI7__half2Li64ELi13ELi2EEvPKT_PKfPKiS7_S7_Pfiiiiiiiiiiiiii15HIP_vector_typeIjLj3EESA_
    .private_segment_fixed_size: 0
    .sgpr_count:     106
    .sgpr_spill_count: 26
    .symbol:         _ZL13mul_mat_f_idsI7__half2Li64ELi13ELi2EEvPKT_PKfPKiS7_S7_Pfiiiiiiiiiiiiii15HIP_vector_typeIjLj3EESA_.kd
    .uniform_work_group_size: 1
    .uses_dynamic_stack: false
    .vgpr_count:     120
    .vgpr_spill_count: 0
    .wavefront_size: 64
  - .agpr_count:     16
    .args:
      - .actual_access:  read_only
        .address_space:  global
        .offset:         0
        .size:           8
        .value_kind:     global_buffer
      - .actual_access:  read_only
        .address_space:  global
        .offset:         8
        .size:           8
        .value_kind:     global_buffer
      - .actual_access:  read_only
        .address_space:  global
        .offset:         16
        .size:           8
        .value_kind:     global_buffer
      - .actual_access:  write_only
        .address_space:  global
        .offset:         24
        .size:           8
        .value_kind:     global_buffer
      - .offset:         32
        .size:           4
        .value_kind:     by_value
      - .offset:         36
        .size:           4
        .value_kind:     by_value
      - .offset:         40
        .size:           4
        .value_kind:     by_value
      - .offset:         44
        .size:           4
        .value_kind:     by_value
      - .offset:         48
        .size:           4
        .value_kind:     by_value
      - .offset:         52
        .size:           4
        .value_kind:     by_value
      - .offset:         56
        .size:           4
        .value_kind:     by_value
      - .offset:         60
        .size:           4
        .value_kind:     by_value
      - .offset:         64
        .size:           4
        .value_kind:     by_value
      - .offset:         68
        .size:           4
        .value_kind:     by_value
      - .offset:         72
        .size:           4
        .value_kind:     by_value
      - .offset:         76
        .size:           4
        .value_kind:     by_value
      - .offset:         80
        .size:           4
        .value_kind:     by_value
      - .offset:         84
        .size:           4
        .value_kind:     by_value
      - .offset:         88
        .size:           4
        .value_kind:     by_value
      - .offset:         92
        .size:           4
        .value_kind:     by_value
      - .offset:         96
        .size:           4
        .value_kind:     hidden_block_count_x
      - .offset:         100
        .size:           4
        .value_kind:     hidden_block_count_y
      - .offset:         104
        .size:           4
        .value_kind:     hidden_block_count_z
      - .offset:         108
        .size:           2
        .value_kind:     hidden_group_size_x
      - .offset:         110
        .size:           2
        .value_kind:     hidden_group_size_y
      - .offset:         112
        .size:           2
        .value_kind:     hidden_group_size_z
      - .offset:         114
        .size:           2
        .value_kind:     hidden_remainder_x
      - .offset:         116
        .size:           2
        .value_kind:     hidden_remainder_y
      - .offset:         118
        .size:           2
        .value_kind:     hidden_remainder_z
      - .offset:         136
        .size:           8
        .value_kind:     hidden_global_offset_x
      - .offset:         144
        .size:           8
        .value_kind:     hidden_global_offset_y
      - .offset:         152
        .size:           8
        .value_kind:     hidden_global_offset_z
      - .offset:         160
        .size:           2
        .value_kind:     hidden_grid_dims
      - .offset:         216
        .size:           4
        .value_kind:     hidden_dynamic_lds_size
    .group_segment_fixed_size: 256
    .kernarg_segment_align: 8
    .kernarg_segment_size: 352
    .language:       OpenCL C
    .language_version:
      - 2
      - 0
    .max_flat_workgroup_size: 128
    .name:           _ZL9mul_mat_fI7__half2Li64ELi13ELi2ELb1EEvPKT_PKfPKiPfiiiiiiiiiiiiiiii
    .private_segment_fixed_size: 0
    .sgpr_count:     106
    .sgpr_spill_count: 33
    .symbol:         _ZL9mul_mat_fI7__half2Li64ELi13ELi2ELb1EEvPKT_PKfPKiPfiiiiiiiiiiiiiiii.kd
    .uniform_work_group_size: 1
    .uses_dynamic_stack: false
    .vgpr_count:     112
    .vgpr_spill_count: 0
    .wavefront_size: 64
  - .agpr_count:     20
    .args:
      - .actual_access:  read_only
        .address_space:  global
        .offset:         0
        .size:           8
        .value_kind:     global_buffer
      - .actual_access:  read_only
        .address_space:  global
        .offset:         8
        .size:           8
        .value_kind:     global_buffer
      - .actual_access:  read_only
        .address_space:  global
        .offset:         16
        .size:           8
        .value_kind:     global_buffer
      - .actual_access:  write_only
        .address_space:  global
        .offset:         24
        .size:           8
        .value_kind:     global_buffer
      - .offset:         32
        .size:           4
        .value_kind:     by_value
      - .offset:         36
        .size:           4
        .value_kind:     by_value
      - .offset:         40
        .size:           4
        .value_kind:     by_value
      - .offset:         44
        .size:           4
        .value_kind:     by_value
      - .offset:         48
        .size:           4
        .value_kind:     by_value
      - .offset:         52
        .size:           4
        .value_kind:     by_value
      - .offset:         56
        .size:           4
        .value_kind:     by_value
      - .offset:         60
        .size:           4
        .value_kind:     by_value
      - .offset:         64
        .size:           4
        .value_kind:     by_value
      - .offset:         68
        .size:           4
        .value_kind:     by_value
      - .offset:         72
        .size:           4
        .value_kind:     by_value
      - .offset:         76
        .size:           4
        .value_kind:     by_value
      - .offset:         80
        .size:           4
        .value_kind:     by_value
      - .offset:         84
        .size:           4
        .value_kind:     by_value
      - .offset:         88
        .size:           4
        .value_kind:     by_value
      - .offset:         92
        .size:           4
        .value_kind:     by_value
    .group_segment_fixed_size: 0
    .kernarg_segment_align: 8
    .kernarg_segment_size: 96
    .language:       OpenCL C
    .language_version:
      - 2
      - 0
    .max_flat_workgroup_size: 128
    .name:           _ZL9mul_mat_fI7__half2Li64ELi13ELi2ELb0EEvPKT_PKfPKiPfiiiiiiiiiiiiiiii
    .private_segment_fixed_size: 0
    .sgpr_count:     103
    .sgpr_spill_count: 0
    .symbol:         _ZL9mul_mat_fI7__half2Li64ELi13ELi2ELb0EEvPKT_PKfPKiPfiiiiiiiiiiiiiiii.kd
    .uniform_work_group_size: 1
    .uses_dynamic_stack: false
    .vgpr_count:     132
    .vgpr_spill_count: 0
    .wavefront_size: 64
  - .agpr_count:     16
    .args:
      - .actual_access:  read_only
        .address_space:  global
        .offset:         0
        .size:           8
        .value_kind:     global_buffer
      - .actual_access:  read_only
        .address_space:  global
        .offset:         8
        .size:           8
        .value_kind:     global_buffer
      - .actual_access:  read_only
        .address_space:  global
        .offset:         16
        .size:           8
        .value_kind:     global_buffer
      - .actual_access:  read_only
        .address_space:  global
        .offset:         24
        .size:           8
        .value_kind:     global_buffer
      - .actual_access:  read_only
        .address_space:  global
        .offset:         32
        .size:           8
        .value_kind:     global_buffer
      - .actual_access:  write_only
        .address_space:  global
        .offset:         40
        .size:           8
        .value_kind:     global_buffer
      - .offset:         48
        .size:           4
        .value_kind:     by_value
      - .offset:         52
        .size:           4
        .value_kind:     by_value
      - .offset:         56
        .size:           4
        .value_kind:     by_value
      - .offset:         60
        .size:           4
        .value_kind:     by_value
      - .offset:         64
        .size:           4
        .value_kind:     by_value
      - .offset:         68
        .size:           4
        .value_kind:     by_value
      - .offset:         72
        .size:           4
        .value_kind:     by_value
      - .offset:         76
        .size:           4
        .value_kind:     by_value
      - .offset:         80
        .size:           4
        .value_kind:     by_value
      - .offset:         84
        .size:           4
        .value_kind:     by_value
      - .offset:         88
        .size:           4
        .value_kind:     by_value
      - .offset:         92
        .size:           4
        .value_kind:     by_value
      - .offset:         96
        .size:           4
        .value_kind:     by_value
      - .offset:         100
        .size:           4
        .value_kind:     by_value
      - .offset:         104
        .size:           12
        .value_kind:     by_value
      - .offset:         116
        .size:           12
        .value_kind:     by_value
    .group_segment_fixed_size: 0
    .kernarg_segment_align: 8
    .kernarg_segment_size: 128
    .language:       OpenCL C
    .language_version:
      - 2
      - 0
    .max_flat_workgroup_size: 192
    .name:           _ZL13mul_mat_f_idsI7__half2Li64ELi13ELi3EEvPKT_PKfPKiS7_S7_Pfiiiiiiiiiiiiii15HIP_vector_typeIjLj3EESA_
    .private_segment_fixed_size: 0
    .sgpr_count:     106
    .sgpr_spill_count: 26
    .symbol:         _ZL13mul_mat_f_idsI7__half2Li64ELi13ELi3EEvPKT_PKfPKiS7_S7_Pfiiiiiiiiiiiiii15HIP_vector_typeIjLj3EESA_.kd
    .uniform_work_group_size: 1
    .uses_dynamic_stack: false
    .vgpr_count:     120
    .vgpr_spill_count: 0
    .wavefront_size: 64
  - .agpr_count:     16
    .args:
      - .actual_access:  read_only
        .address_space:  global
        .offset:         0
        .size:           8
        .value_kind:     global_buffer
      - .actual_access:  read_only
        .address_space:  global
        .offset:         8
        .size:           8
        .value_kind:     global_buffer
      - .actual_access:  read_only
        .address_space:  global
        .offset:         16
        .size:           8
        .value_kind:     global_buffer
      - .actual_access:  write_only
        .address_space:  global
        .offset:         24
        .size:           8
        .value_kind:     global_buffer
      - .offset:         32
        .size:           4
        .value_kind:     by_value
      - .offset:         36
        .size:           4
        .value_kind:     by_value
      - .offset:         40
        .size:           4
        .value_kind:     by_value
      - .offset:         44
        .size:           4
        .value_kind:     by_value
      - .offset:         48
        .size:           4
        .value_kind:     by_value
      - .offset:         52
        .size:           4
        .value_kind:     by_value
      - .offset:         56
        .size:           4
        .value_kind:     by_value
      - .offset:         60
        .size:           4
        .value_kind:     by_value
      - .offset:         64
        .size:           4
        .value_kind:     by_value
      - .offset:         68
        .size:           4
        .value_kind:     by_value
      - .offset:         72
        .size:           4
        .value_kind:     by_value
      - .offset:         76
        .size:           4
        .value_kind:     by_value
      - .offset:         80
        .size:           4
        .value_kind:     by_value
      - .offset:         84
        .size:           4
        .value_kind:     by_value
      - .offset:         88
        .size:           4
        .value_kind:     by_value
      - .offset:         92
        .size:           4
        .value_kind:     by_value
      - .offset:         96
        .size:           4
        .value_kind:     hidden_block_count_x
      - .offset:         100
        .size:           4
        .value_kind:     hidden_block_count_y
      - .offset:         104
        .size:           4
        .value_kind:     hidden_block_count_z
      - .offset:         108
        .size:           2
        .value_kind:     hidden_group_size_x
      - .offset:         110
        .size:           2
        .value_kind:     hidden_group_size_y
      - .offset:         112
        .size:           2
        .value_kind:     hidden_group_size_z
      - .offset:         114
        .size:           2
        .value_kind:     hidden_remainder_x
      - .offset:         116
        .size:           2
        .value_kind:     hidden_remainder_y
      - .offset:         118
        .size:           2
        .value_kind:     hidden_remainder_z
      - .offset:         136
        .size:           8
        .value_kind:     hidden_global_offset_x
      - .offset:         144
        .size:           8
        .value_kind:     hidden_global_offset_y
      - .offset:         152
        .size:           8
        .value_kind:     hidden_global_offset_z
      - .offset:         160
        .size:           2
        .value_kind:     hidden_grid_dims
      - .offset:         216
        .size:           4
        .value_kind:     hidden_dynamic_lds_size
    .group_segment_fixed_size: 256
    .kernarg_segment_align: 8
    .kernarg_segment_size: 352
    .language:       OpenCL C
    .language_version:
      - 2
      - 0
    .max_flat_workgroup_size: 192
    .name:           _ZL9mul_mat_fI7__half2Li64ELi13ELi3ELb1EEvPKT_PKfPKiPfiiiiiiiiiiiiiiii
    .private_segment_fixed_size: 0
    .sgpr_count:     106
    .sgpr_spill_count: 29
    .symbol:         _ZL9mul_mat_fI7__half2Li64ELi13ELi3ELb1EEvPKT_PKfPKiPfiiiiiiiiiiiiiiii.kd
    .uniform_work_group_size: 1
    .uses_dynamic_stack: false
    .vgpr_count:     112
    .vgpr_spill_count: 0
    .wavefront_size: 64
  - .agpr_count:     20
    .args:
      - .actual_access:  read_only
        .address_space:  global
        .offset:         0
        .size:           8
        .value_kind:     global_buffer
      - .actual_access:  read_only
        .address_space:  global
        .offset:         8
        .size:           8
        .value_kind:     global_buffer
      - .actual_access:  read_only
        .address_space:  global
        .offset:         16
        .size:           8
        .value_kind:     global_buffer
      - .actual_access:  write_only
        .address_space:  global
        .offset:         24
        .size:           8
        .value_kind:     global_buffer
      - .offset:         32
        .size:           4
        .value_kind:     by_value
      - .offset:         36
        .size:           4
        .value_kind:     by_value
      - .offset:         40
        .size:           4
        .value_kind:     by_value
      - .offset:         44
        .size:           4
        .value_kind:     by_value
      - .offset:         48
        .size:           4
        .value_kind:     by_value
      - .offset:         52
        .size:           4
        .value_kind:     by_value
      - .offset:         56
        .size:           4
        .value_kind:     by_value
      - .offset:         60
        .size:           4
        .value_kind:     by_value
      - .offset:         64
        .size:           4
        .value_kind:     by_value
      - .offset:         68
        .size:           4
        .value_kind:     by_value
      - .offset:         72
        .size:           4
        .value_kind:     by_value
      - .offset:         76
        .size:           4
        .value_kind:     by_value
      - .offset:         80
        .size:           4
        .value_kind:     by_value
      - .offset:         84
        .size:           4
        .value_kind:     by_value
      - .offset:         88
        .size:           4
        .value_kind:     by_value
      - .offset:         92
        .size:           4
        .value_kind:     by_value
    .group_segment_fixed_size: 0
    .kernarg_segment_align: 8
    .kernarg_segment_size: 96
    .language:       OpenCL C
    .language_version:
      - 2
      - 0
    .max_flat_workgroup_size: 192
    .name:           _ZL9mul_mat_fI7__half2Li64ELi13ELi3ELb0EEvPKT_PKfPKiPfiiiiiiiiiiiiiiii
    .private_segment_fixed_size: 0
    .sgpr_count:     103
    .sgpr_spill_count: 0
    .symbol:         _ZL9mul_mat_fI7__half2Li64ELi13ELi3ELb0EEvPKT_PKfPKiPfiiiiiiiiiiiiiiii.kd
    .uniform_work_group_size: 1
    .uses_dynamic_stack: false
    .vgpr_count:     132
    .vgpr_spill_count: 0
    .wavefront_size: 64
  - .agpr_count:     16
    .args:
      - .actual_access:  read_only
        .address_space:  global
        .offset:         0
        .size:           8
        .value_kind:     global_buffer
      - .actual_access:  read_only
        .address_space:  global
        .offset:         8
        .size:           8
        .value_kind:     global_buffer
      - .actual_access:  read_only
        .address_space:  global
        .offset:         16
        .size:           8
        .value_kind:     global_buffer
      - .actual_access:  read_only
        .address_space:  global
        .offset:         24
        .size:           8
        .value_kind:     global_buffer
      - .actual_access:  read_only
        .address_space:  global
        .offset:         32
        .size:           8
        .value_kind:     global_buffer
      - .actual_access:  write_only
        .address_space:  global
        .offset:         40
        .size:           8
        .value_kind:     global_buffer
      - .offset:         48
        .size:           4
        .value_kind:     by_value
      - .offset:         52
        .size:           4
        .value_kind:     by_value
      - .offset:         56
        .size:           4
        .value_kind:     by_value
      - .offset:         60
        .size:           4
        .value_kind:     by_value
      - .offset:         64
        .size:           4
        .value_kind:     by_value
      - .offset:         68
        .size:           4
        .value_kind:     by_value
      - .offset:         72
        .size:           4
        .value_kind:     by_value
      - .offset:         76
        .size:           4
        .value_kind:     by_value
      - .offset:         80
        .size:           4
        .value_kind:     by_value
      - .offset:         84
        .size:           4
        .value_kind:     by_value
      - .offset:         88
        .size:           4
        .value_kind:     by_value
      - .offset:         92
        .size:           4
        .value_kind:     by_value
      - .offset:         96
        .size:           4
        .value_kind:     by_value
      - .offset:         100
        .size:           4
        .value_kind:     by_value
      - .offset:         104
        .size:           12
        .value_kind:     by_value
      - .offset:         116
        .size:           12
        .value_kind:     by_value
    .group_segment_fixed_size: 0
    .kernarg_segment_align: 8
    .kernarg_segment_size: 128
    .language:       OpenCL C
    .language_version:
      - 2
      - 0
    .max_flat_workgroup_size: 256
    .name:           _ZL13mul_mat_f_idsI7__half2Li64ELi13ELi4EEvPKT_PKfPKiS7_S7_Pfiiiiiiiiiiiiii15HIP_vector_typeIjLj3EESA_
    .private_segment_fixed_size: 0
    .sgpr_count:     106
    .sgpr_spill_count: 26
    .symbol:         _ZL13mul_mat_f_idsI7__half2Li64ELi13ELi4EEvPKT_PKfPKiS7_S7_Pfiiiiiiiiiiiiii15HIP_vector_typeIjLj3EESA_.kd
    .uniform_work_group_size: 1
    .uses_dynamic_stack: false
    .vgpr_count:     120
    .vgpr_spill_count: 0
    .wavefront_size: 64
  - .agpr_count:     16
    .args:
      - .actual_access:  read_only
        .address_space:  global
        .offset:         0
        .size:           8
        .value_kind:     global_buffer
      - .actual_access:  read_only
        .address_space:  global
        .offset:         8
        .size:           8
        .value_kind:     global_buffer
      - .actual_access:  read_only
        .address_space:  global
        .offset:         16
        .size:           8
        .value_kind:     global_buffer
      - .actual_access:  write_only
        .address_space:  global
        .offset:         24
        .size:           8
        .value_kind:     global_buffer
      - .offset:         32
        .size:           4
        .value_kind:     by_value
      - .offset:         36
        .size:           4
        .value_kind:     by_value
      - .offset:         40
        .size:           4
        .value_kind:     by_value
      - .offset:         44
        .size:           4
        .value_kind:     by_value
      - .offset:         48
        .size:           4
        .value_kind:     by_value
      - .offset:         52
        .size:           4
        .value_kind:     by_value
      - .offset:         56
        .size:           4
        .value_kind:     by_value
      - .offset:         60
        .size:           4
        .value_kind:     by_value
      - .offset:         64
        .size:           4
        .value_kind:     by_value
      - .offset:         68
        .size:           4
        .value_kind:     by_value
      - .offset:         72
        .size:           4
        .value_kind:     by_value
      - .offset:         76
        .size:           4
        .value_kind:     by_value
      - .offset:         80
        .size:           4
        .value_kind:     by_value
      - .offset:         84
        .size:           4
        .value_kind:     by_value
      - .offset:         88
        .size:           4
        .value_kind:     by_value
      - .offset:         92
        .size:           4
        .value_kind:     by_value
      - .offset:         96
        .size:           4
        .value_kind:     hidden_block_count_x
      - .offset:         100
        .size:           4
        .value_kind:     hidden_block_count_y
      - .offset:         104
        .size:           4
        .value_kind:     hidden_block_count_z
      - .offset:         108
        .size:           2
        .value_kind:     hidden_group_size_x
      - .offset:         110
        .size:           2
        .value_kind:     hidden_group_size_y
      - .offset:         112
        .size:           2
        .value_kind:     hidden_group_size_z
      - .offset:         114
        .size:           2
        .value_kind:     hidden_remainder_x
      - .offset:         116
        .size:           2
        .value_kind:     hidden_remainder_y
      - .offset:         118
        .size:           2
        .value_kind:     hidden_remainder_z
      - .offset:         136
        .size:           8
        .value_kind:     hidden_global_offset_x
      - .offset:         144
        .size:           8
        .value_kind:     hidden_global_offset_y
      - .offset:         152
        .size:           8
        .value_kind:     hidden_global_offset_z
      - .offset:         160
        .size:           2
        .value_kind:     hidden_grid_dims
      - .offset:         216
        .size:           4
        .value_kind:     hidden_dynamic_lds_size
    .group_segment_fixed_size: 256
    .kernarg_segment_align: 8
    .kernarg_segment_size: 352
    .language:       OpenCL C
    .language_version:
      - 2
      - 0
    .max_flat_workgroup_size: 256
    .name:           _ZL9mul_mat_fI7__half2Li64ELi13ELi4ELb1EEvPKT_PKfPKiPfiiiiiiiiiiiiiiii
    .private_segment_fixed_size: 0
    .sgpr_count:     106
    .sgpr_spill_count: 27
    .symbol:         _ZL9mul_mat_fI7__half2Li64ELi13ELi4ELb1EEvPKT_PKfPKiPfiiiiiiiiiiiiiiii.kd
    .uniform_work_group_size: 1
    .uses_dynamic_stack: false
    .vgpr_count:     108
    .vgpr_spill_count: 0
    .wavefront_size: 64
  - .agpr_count:     20
    .args:
      - .actual_access:  read_only
        .address_space:  global
        .offset:         0
        .size:           8
        .value_kind:     global_buffer
      - .actual_access:  read_only
        .address_space:  global
        .offset:         8
        .size:           8
        .value_kind:     global_buffer
      - .actual_access:  read_only
        .address_space:  global
        .offset:         16
        .size:           8
        .value_kind:     global_buffer
      - .actual_access:  write_only
        .address_space:  global
        .offset:         24
        .size:           8
        .value_kind:     global_buffer
      - .offset:         32
        .size:           4
        .value_kind:     by_value
      - .offset:         36
        .size:           4
        .value_kind:     by_value
      - .offset:         40
        .size:           4
        .value_kind:     by_value
      - .offset:         44
        .size:           4
        .value_kind:     by_value
      - .offset:         48
        .size:           4
        .value_kind:     by_value
      - .offset:         52
        .size:           4
        .value_kind:     by_value
      - .offset:         56
        .size:           4
        .value_kind:     by_value
      - .offset:         60
        .size:           4
        .value_kind:     by_value
      - .offset:         64
        .size:           4
        .value_kind:     by_value
      - .offset:         68
        .size:           4
        .value_kind:     by_value
      - .offset:         72
        .size:           4
        .value_kind:     by_value
      - .offset:         76
        .size:           4
        .value_kind:     by_value
      - .offset:         80
        .size:           4
        .value_kind:     by_value
      - .offset:         84
        .size:           4
        .value_kind:     by_value
      - .offset:         88
        .size:           4
        .value_kind:     by_value
      - .offset:         92
        .size:           4
        .value_kind:     by_value
    .group_segment_fixed_size: 0
    .kernarg_segment_align: 8
    .kernarg_segment_size: 96
    .language:       OpenCL C
    .language_version:
      - 2
      - 0
    .max_flat_workgroup_size: 256
    .name:           _ZL9mul_mat_fI7__half2Li64ELi13ELi4ELb0EEvPKT_PKfPKiPfiiiiiiiiiiiiiiii
    .private_segment_fixed_size: 0
    .sgpr_count:     103
    .sgpr_spill_count: 0
    .symbol:         _ZL9mul_mat_fI7__half2Li64ELi13ELi4ELb0EEvPKT_PKfPKiPfiiiiiiiiiiiiiiii.kd
    .uniform_work_group_size: 1
    .uses_dynamic_stack: false
    .vgpr_count:     132
    .vgpr_spill_count: 0
    .wavefront_size: 64
  - .agpr_count:     0
    .args:
      - .actual_access:  read_only
        .address_space:  global
        .offset:         0
        .size:           8
        .value_kind:     global_buffer
      - .actual_access:  read_only
        .address_space:  global
        .offset:         8
        .size:           8
        .value_kind:     global_buffer
      - .actual_access:  read_only
        .address_space:  global
        .offset:         16
        .size:           8
        .value_kind:     global_buffer
      - .actual_access:  read_only
        .address_space:  global
        .offset:         24
        .size:           8
        .value_kind:     global_buffer
      - .actual_access:  read_only
        .address_space:  global
        .offset:         32
        .size:           8
        .value_kind:     global_buffer
      - .actual_access:  write_only
        .address_space:  global
        .offset:         40
        .size:           8
        .value_kind:     global_buffer
      - .offset:         48
        .size:           4
        .value_kind:     by_value
      - .offset:         52
        .size:           4
        .value_kind:     by_value
      - .offset:         56
        .size:           4
        .value_kind:     by_value
      - .offset:         60
        .size:           4
        .value_kind:     by_value
      - .offset:         64
        .size:           4
        .value_kind:     by_value
      - .offset:         68
        .size:           4
        .value_kind:     by_value
      - .offset:         72
        .size:           4
        .value_kind:     by_value
      - .offset:         76
        .size:           4
        .value_kind:     by_value
      - .offset:         80
        .size:           4
        .value_kind:     by_value
      - .offset:         84
        .size:           4
        .value_kind:     by_value
      - .offset:         88
        .size:           4
        .value_kind:     by_value
      - .offset:         92
        .size:           4
        .value_kind:     by_value
      - .offset:         96
        .size:           4
        .value_kind:     by_value
      - .offset:         100
        .size:           4
        .value_kind:     by_value
      - .offset:         104
        .size:           12
        .value_kind:     by_value
      - .offset:         116
        .size:           12
        .value_kind:     by_value
    .group_segment_fixed_size: 0
    .kernarg_segment_align: 8
    .kernarg_segment_size: 128
    .language:       OpenCL C
    .language_version:
      - 2
      - 0
    .max_flat_workgroup_size: 320
    .name:           _ZL13mul_mat_f_idsI7__half2Li64ELi13ELi5EEvPKT_PKfPKiS7_S7_Pfiiiiiiiiiiiiii15HIP_vector_typeIjLj3EESA_
    .private_segment_fixed_size: 0
    .sgpr_count:     106
    .sgpr_spill_count: 26
    .symbol:         _ZL13mul_mat_f_idsI7__half2Li64ELi13ELi5EEvPKT_PKfPKiS7_S7_Pfiiiiiiiiiiiiii15HIP_vector_typeIjLj3EESA_.kd
    .uniform_work_group_size: 1
    .uses_dynamic_stack: false
    .vgpr_count:     119
    .vgpr_spill_count: 0
    .wavefront_size: 64
  - .agpr_count:     0
    .args:
      - .actual_access:  read_only
        .address_space:  global
        .offset:         0
        .size:           8
        .value_kind:     global_buffer
      - .actual_access:  read_only
        .address_space:  global
        .offset:         8
        .size:           8
        .value_kind:     global_buffer
      - .actual_access:  read_only
        .address_space:  global
        .offset:         16
        .size:           8
        .value_kind:     global_buffer
      - .actual_access:  write_only
        .address_space:  global
        .offset:         24
        .size:           8
        .value_kind:     global_buffer
      - .offset:         32
        .size:           4
        .value_kind:     by_value
      - .offset:         36
        .size:           4
        .value_kind:     by_value
      - .offset:         40
        .size:           4
        .value_kind:     by_value
      - .offset:         44
        .size:           4
        .value_kind:     by_value
      - .offset:         48
        .size:           4
        .value_kind:     by_value
      - .offset:         52
        .size:           4
        .value_kind:     by_value
      - .offset:         56
        .size:           4
        .value_kind:     by_value
      - .offset:         60
        .size:           4
        .value_kind:     by_value
      - .offset:         64
        .size:           4
        .value_kind:     by_value
      - .offset:         68
        .size:           4
        .value_kind:     by_value
      - .offset:         72
        .size:           4
        .value_kind:     by_value
      - .offset:         76
        .size:           4
        .value_kind:     by_value
      - .offset:         80
        .size:           4
        .value_kind:     by_value
      - .offset:         84
        .size:           4
        .value_kind:     by_value
      - .offset:         88
        .size:           4
        .value_kind:     by_value
      - .offset:         92
        .size:           4
        .value_kind:     by_value
      - .offset:         96
        .size:           4
        .value_kind:     hidden_block_count_x
      - .offset:         100
        .size:           4
        .value_kind:     hidden_block_count_y
      - .offset:         104
        .size:           4
        .value_kind:     hidden_block_count_z
      - .offset:         108
        .size:           2
        .value_kind:     hidden_group_size_x
      - .offset:         110
        .size:           2
        .value_kind:     hidden_group_size_y
      - .offset:         112
        .size:           2
        .value_kind:     hidden_group_size_z
      - .offset:         114
        .size:           2
        .value_kind:     hidden_remainder_x
      - .offset:         116
        .size:           2
        .value_kind:     hidden_remainder_y
      - .offset:         118
        .size:           2
        .value_kind:     hidden_remainder_z
      - .offset:         136
        .size:           8
        .value_kind:     hidden_global_offset_x
      - .offset:         144
        .size:           8
        .value_kind:     hidden_global_offset_y
      - .offset:         152
        .size:           8
        .value_kind:     hidden_global_offset_z
      - .offset:         160
        .size:           2
        .value_kind:     hidden_grid_dims
      - .offset:         216
        .size:           4
        .value_kind:     hidden_dynamic_lds_size
    .group_segment_fixed_size: 256
    .kernarg_segment_align: 8
    .kernarg_segment_size: 352
    .language:       OpenCL C
    .language_version:
      - 2
      - 0
    .max_flat_workgroup_size: 320
    .name:           _ZL9mul_mat_fI7__half2Li64ELi13ELi5ELb1EEvPKT_PKfPKiPfiiiiiiiiiiiiiiii
    .private_segment_fixed_size: 0
    .sgpr_count:     106
    .sgpr_spill_count: 25
    .symbol:         _ZL9mul_mat_fI7__half2Li64ELi13ELi5ELb1EEvPKT_PKfPKiPfiiiiiiiiiiiiiiii.kd
    .uniform_work_group_size: 1
    .uses_dynamic_stack: false
    .vgpr_count:     111
    .vgpr_spill_count: 0
    .wavefront_size: 64
  - .agpr_count:     0
    .args:
      - .actual_access:  read_only
        .address_space:  global
        .offset:         0
        .size:           8
        .value_kind:     global_buffer
      - .actual_access:  read_only
        .address_space:  global
        .offset:         8
        .size:           8
        .value_kind:     global_buffer
      - .actual_access:  read_only
        .address_space:  global
        .offset:         16
        .size:           8
        .value_kind:     global_buffer
      - .actual_access:  write_only
        .address_space:  global
        .offset:         24
        .size:           8
        .value_kind:     global_buffer
      - .offset:         32
        .size:           4
        .value_kind:     by_value
      - .offset:         36
        .size:           4
        .value_kind:     by_value
      - .offset:         40
        .size:           4
        .value_kind:     by_value
      - .offset:         44
        .size:           4
        .value_kind:     by_value
      - .offset:         48
        .size:           4
        .value_kind:     by_value
      - .offset:         52
        .size:           4
        .value_kind:     by_value
      - .offset:         56
        .size:           4
        .value_kind:     by_value
      - .offset:         60
        .size:           4
        .value_kind:     by_value
      - .offset:         64
        .size:           4
        .value_kind:     by_value
      - .offset:         68
        .size:           4
        .value_kind:     by_value
      - .offset:         72
        .size:           4
        .value_kind:     by_value
      - .offset:         76
        .size:           4
        .value_kind:     by_value
      - .offset:         80
        .size:           4
        .value_kind:     by_value
      - .offset:         84
        .size:           4
        .value_kind:     by_value
      - .offset:         88
        .size:           4
        .value_kind:     by_value
      - .offset:         92
        .size:           4
        .value_kind:     by_value
    .group_segment_fixed_size: 0
    .kernarg_segment_align: 8
    .kernarg_segment_size: 96
    .language:       OpenCL C
    .language_version:
      - 2
      - 0
    .max_flat_workgroup_size: 320
    .name:           _ZL9mul_mat_fI7__half2Li64ELi13ELi5ELb0EEvPKT_PKfPKiPfiiiiiiiiiiiiiiii
    .private_segment_fixed_size: 0
    .sgpr_count:     103
    .sgpr_spill_count: 0
    .symbol:         _ZL9mul_mat_fI7__half2Li64ELi13ELi5ELb0EEvPKT_PKfPKiPfiiiiiiiiiiiiiiii.kd
    .uniform_work_group_size: 1
    .uses_dynamic_stack: false
    .vgpr_count:     120
    .vgpr_spill_count: 0
    .wavefront_size: 64
  - .agpr_count:     0
    .args:
      - .actual_access:  read_only
        .address_space:  global
        .offset:         0
        .size:           8
        .value_kind:     global_buffer
      - .actual_access:  read_only
        .address_space:  global
        .offset:         8
        .size:           8
        .value_kind:     global_buffer
      - .actual_access:  read_only
        .address_space:  global
        .offset:         16
        .size:           8
        .value_kind:     global_buffer
      - .actual_access:  read_only
        .address_space:  global
        .offset:         24
        .size:           8
        .value_kind:     global_buffer
      - .actual_access:  read_only
        .address_space:  global
        .offset:         32
        .size:           8
        .value_kind:     global_buffer
      - .actual_access:  write_only
        .address_space:  global
        .offset:         40
        .size:           8
        .value_kind:     global_buffer
      - .offset:         48
        .size:           4
        .value_kind:     by_value
      - .offset:         52
        .size:           4
        .value_kind:     by_value
      - .offset:         56
        .size:           4
        .value_kind:     by_value
      - .offset:         60
        .size:           4
        .value_kind:     by_value
      - .offset:         64
        .size:           4
        .value_kind:     by_value
      - .offset:         68
        .size:           4
        .value_kind:     by_value
      - .offset:         72
        .size:           4
        .value_kind:     by_value
      - .offset:         76
        .size:           4
        .value_kind:     by_value
      - .offset:         80
        .size:           4
        .value_kind:     by_value
      - .offset:         84
        .size:           4
        .value_kind:     by_value
      - .offset:         88
        .size:           4
        .value_kind:     by_value
      - .offset:         92
        .size:           4
        .value_kind:     by_value
      - .offset:         96
        .size:           4
        .value_kind:     by_value
      - .offset:         100
        .size:           4
        .value_kind:     by_value
      - .offset:         104
        .size:           12
        .value_kind:     by_value
      - .offset:         116
        .size:           12
        .value_kind:     by_value
    .group_segment_fixed_size: 0
    .kernarg_segment_align: 8
    .kernarg_segment_size: 128
    .language:       OpenCL C
    .language_version:
      - 2
      - 0
    .max_flat_workgroup_size: 384
    .name:           _ZL13mul_mat_f_idsI7__half2Li64ELi13ELi6EEvPKT_PKfPKiS7_S7_Pfiiiiiiiiiiiiii15HIP_vector_typeIjLj3EESA_
    .private_segment_fixed_size: 0
    .sgpr_count:     106
    .sgpr_spill_count: 26
    .symbol:         _ZL13mul_mat_f_idsI7__half2Li64ELi13ELi6EEvPKT_PKfPKiS7_S7_Pfiiiiiiiiiiiiii15HIP_vector_typeIjLj3EESA_.kd
    .uniform_work_group_size: 1
    .uses_dynamic_stack: false
    .vgpr_count:     119
    .vgpr_spill_count: 0
    .wavefront_size: 64
  - .agpr_count:     0
    .args:
      - .actual_access:  read_only
        .address_space:  global
        .offset:         0
        .size:           8
        .value_kind:     global_buffer
      - .actual_access:  read_only
        .address_space:  global
        .offset:         8
        .size:           8
        .value_kind:     global_buffer
      - .actual_access:  read_only
        .address_space:  global
        .offset:         16
        .size:           8
        .value_kind:     global_buffer
      - .actual_access:  write_only
        .address_space:  global
        .offset:         24
        .size:           8
        .value_kind:     global_buffer
      - .offset:         32
        .size:           4
        .value_kind:     by_value
      - .offset:         36
        .size:           4
        .value_kind:     by_value
      - .offset:         40
        .size:           4
        .value_kind:     by_value
      - .offset:         44
        .size:           4
        .value_kind:     by_value
      - .offset:         48
        .size:           4
        .value_kind:     by_value
      - .offset:         52
        .size:           4
        .value_kind:     by_value
      - .offset:         56
        .size:           4
        .value_kind:     by_value
      - .offset:         60
        .size:           4
        .value_kind:     by_value
      - .offset:         64
        .size:           4
        .value_kind:     by_value
      - .offset:         68
        .size:           4
        .value_kind:     by_value
      - .offset:         72
        .size:           4
        .value_kind:     by_value
      - .offset:         76
        .size:           4
        .value_kind:     by_value
      - .offset:         80
        .size:           4
        .value_kind:     by_value
      - .offset:         84
        .size:           4
        .value_kind:     by_value
      - .offset:         88
        .size:           4
        .value_kind:     by_value
      - .offset:         92
        .size:           4
        .value_kind:     by_value
      - .offset:         96
        .size:           4
        .value_kind:     hidden_block_count_x
      - .offset:         100
        .size:           4
        .value_kind:     hidden_block_count_y
      - .offset:         104
        .size:           4
        .value_kind:     hidden_block_count_z
      - .offset:         108
        .size:           2
        .value_kind:     hidden_group_size_x
      - .offset:         110
        .size:           2
        .value_kind:     hidden_group_size_y
      - .offset:         112
        .size:           2
        .value_kind:     hidden_group_size_z
      - .offset:         114
        .size:           2
        .value_kind:     hidden_remainder_x
      - .offset:         116
        .size:           2
        .value_kind:     hidden_remainder_y
      - .offset:         118
        .size:           2
        .value_kind:     hidden_remainder_z
      - .offset:         136
        .size:           8
        .value_kind:     hidden_global_offset_x
      - .offset:         144
        .size:           8
        .value_kind:     hidden_global_offset_y
      - .offset:         152
        .size:           8
        .value_kind:     hidden_global_offset_z
      - .offset:         160
        .size:           2
        .value_kind:     hidden_grid_dims
      - .offset:         216
        .size:           4
        .value_kind:     hidden_dynamic_lds_size
    .group_segment_fixed_size: 256
    .kernarg_segment_align: 8
    .kernarg_segment_size: 352
    .language:       OpenCL C
    .language_version:
      - 2
      - 0
    .max_flat_workgroup_size: 384
    .name:           _ZL9mul_mat_fI7__half2Li64ELi13ELi6ELb1EEvPKT_PKfPKiPfiiiiiiiiiiiiiiii
    .private_segment_fixed_size: 0
    .sgpr_count:     106
    .sgpr_spill_count: 25
    .symbol:         _ZL9mul_mat_fI7__half2Li64ELi13ELi6ELb1EEvPKT_PKfPKiPfiiiiiiiiiiiiiiii.kd
    .uniform_work_group_size: 1
    .uses_dynamic_stack: false
    .vgpr_count:     110
    .vgpr_spill_count: 0
    .wavefront_size: 64
  - .agpr_count:     0
    .args:
      - .actual_access:  read_only
        .address_space:  global
        .offset:         0
        .size:           8
        .value_kind:     global_buffer
      - .actual_access:  read_only
        .address_space:  global
        .offset:         8
        .size:           8
        .value_kind:     global_buffer
      - .actual_access:  read_only
        .address_space:  global
        .offset:         16
        .size:           8
        .value_kind:     global_buffer
      - .actual_access:  write_only
        .address_space:  global
        .offset:         24
        .size:           8
        .value_kind:     global_buffer
      - .offset:         32
        .size:           4
        .value_kind:     by_value
      - .offset:         36
        .size:           4
        .value_kind:     by_value
      - .offset:         40
        .size:           4
        .value_kind:     by_value
      - .offset:         44
        .size:           4
        .value_kind:     by_value
      - .offset:         48
        .size:           4
        .value_kind:     by_value
      - .offset:         52
        .size:           4
        .value_kind:     by_value
      - .offset:         56
        .size:           4
        .value_kind:     by_value
      - .offset:         60
        .size:           4
        .value_kind:     by_value
      - .offset:         64
        .size:           4
        .value_kind:     by_value
      - .offset:         68
        .size:           4
        .value_kind:     by_value
      - .offset:         72
        .size:           4
        .value_kind:     by_value
      - .offset:         76
        .size:           4
        .value_kind:     by_value
      - .offset:         80
        .size:           4
        .value_kind:     by_value
      - .offset:         84
        .size:           4
        .value_kind:     by_value
      - .offset:         88
        .size:           4
        .value_kind:     by_value
      - .offset:         92
        .size:           4
        .value_kind:     by_value
    .group_segment_fixed_size: 0
    .kernarg_segment_align: 8
    .kernarg_segment_size: 96
    .language:       OpenCL C
    .language_version:
      - 2
      - 0
    .max_flat_workgroup_size: 384
    .name:           _ZL9mul_mat_fI7__half2Li64ELi13ELi6ELb0EEvPKT_PKfPKiPfiiiiiiiiiiiiiiii
    .private_segment_fixed_size: 0
    .sgpr_count:     103
    .sgpr_spill_count: 0
    .symbol:         _ZL9mul_mat_fI7__half2Li64ELi13ELi6ELb0EEvPKT_PKfPKiPfiiiiiiiiiiiiiiii.kd
    .uniform_work_group_size: 1
    .uses_dynamic_stack: false
    .vgpr_count:     120
    .vgpr_spill_count: 0
    .wavefront_size: 64
  - .agpr_count:     0
    .args:
      - .actual_access:  read_only
        .address_space:  global
        .offset:         0
        .size:           8
        .value_kind:     global_buffer
      - .actual_access:  read_only
        .address_space:  global
        .offset:         8
        .size:           8
        .value_kind:     global_buffer
      - .actual_access:  read_only
        .address_space:  global
        .offset:         16
        .size:           8
        .value_kind:     global_buffer
      - .actual_access:  read_only
        .address_space:  global
        .offset:         24
        .size:           8
        .value_kind:     global_buffer
      - .actual_access:  read_only
        .address_space:  global
        .offset:         32
        .size:           8
        .value_kind:     global_buffer
      - .actual_access:  write_only
        .address_space:  global
        .offset:         40
        .size:           8
        .value_kind:     global_buffer
      - .offset:         48
        .size:           4
        .value_kind:     by_value
      - .offset:         52
        .size:           4
        .value_kind:     by_value
      - .offset:         56
        .size:           4
        .value_kind:     by_value
      - .offset:         60
        .size:           4
        .value_kind:     by_value
      - .offset:         64
        .size:           4
        .value_kind:     by_value
      - .offset:         68
        .size:           4
        .value_kind:     by_value
      - .offset:         72
        .size:           4
        .value_kind:     by_value
      - .offset:         76
        .size:           4
        .value_kind:     by_value
      - .offset:         80
        .size:           4
        .value_kind:     by_value
      - .offset:         84
        .size:           4
        .value_kind:     by_value
      - .offset:         88
        .size:           4
        .value_kind:     by_value
      - .offset:         92
        .size:           4
        .value_kind:     by_value
      - .offset:         96
        .size:           4
        .value_kind:     by_value
      - .offset:         100
        .size:           4
        .value_kind:     by_value
      - .offset:         104
        .size:           12
        .value_kind:     by_value
      - .offset:         116
        .size:           12
        .value_kind:     by_value
    .group_segment_fixed_size: 0
    .kernarg_segment_align: 8
    .kernarg_segment_size: 128
    .language:       OpenCL C
    .language_version:
      - 2
      - 0
    .max_flat_workgroup_size: 448
    .name:           _ZL13mul_mat_f_idsI7__half2Li64ELi13ELi7EEvPKT_PKfPKiS7_S7_Pfiiiiiiiiiiiiii15HIP_vector_typeIjLj3EESA_
    .private_segment_fixed_size: 0
    .sgpr_count:     106
    .sgpr_spill_count: 26
    .symbol:         _ZL13mul_mat_f_idsI7__half2Li64ELi13ELi7EEvPKT_PKfPKiS7_S7_Pfiiiiiiiiiiiiii15HIP_vector_typeIjLj3EESA_.kd
    .uniform_work_group_size: 1
    .uses_dynamic_stack: false
    .vgpr_count:     119
    .vgpr_spill_count: 0
    .wavefront_size: 64
  - .agpr_count:     0
    .args:
      - .actual_access:  read_only
        .address_space:  global
        .offset:         0
        .size:           8
        .value_kind:     global_buffer
      - .actual_access:  read_only
        .address_space:  global
        .offset:         8
        .size:           8
        .value_kind:     global_buffer
      - .actual_access:  read_only
        .address_space:  global
        .offset:         16
        .size:           8
        .value_kind:     global_buffer
      - .actual_access:  write_only
        .address_space:  global
        .offset:         24
        .size:           8
        .value_kind:     global_buffer
      - .offset:         32
        .size:           4
        .value_kind:     by_value
      - .offset:         36
        .size:           4
        .value_kind:     by_value
      - .offset:         40
        .size:           4
        .value_kind:     by_value
      - .offset:         44
        .size:           4
        .value_kind:     by_value
      - .offset:         48
        .size:           4
        .value_kind:     by_value
      - .offset:         52
        .size:           4
        .value_kind:     by_value
      - .offset:         56
        .size:           4
        .value_kind:     by_value
      - .offset:         60
        .size:           4
        .value_kind:     by_value
      - .offset:         64
        .size:           4
        .value_kind:     by_value
      - .offset:         68
        .size:           4
        .value_kind:     by_value
      - .offset:         72
        .size:           4
        .value_kind:     by_value
      - .offset:         76
        .size:           4
        .value_kind:     by_value
      - .offset:         80
        .size:           4
        .value_kind:     by_value
      - .offset:         84
        .size:           4
        .value_kind:     by_value
      - .offset:         88
        .size:           4
        .value_kind:     by_value
      - .offset:         92
        .size:           4
        .value_kind:     by_value
      - .offset:         96
        .size:           4
        .value_kind:     hidden_block_count_x
      - .offset:         100
        .size:           4
        .value_kind:     hidden_block_count_y
      - .offset:         104
        .size:           4
        .value_kind:     hidden_block_count_z
      - .offset:         108
        .size:           2
        .value_kind:     hidden_group_size_x
      - .offset:         110
        .size:           2
        .value_kind:     hidden_group_size_y
      - .offset:         112
        .size:           2
        .value_kind:     hidden_group_size_z
      - .offset:         114
        .size:           2
        .value_kind:     hidden_remainder_x
      - .offset:         116
        .size:           2
        .value_kind:     hidden_remainder_y
      - .offset:         118
        .size:           2
        .value_kind:     hidden_remainder_z
      - .offset:         136
        .size:           8
        .value_kind:     hidden_global_offset_x
      - .offset:         144
        .size:           8
        .value_kind:     hidden_global_offset_y
      - .offset:         152
        .size:           8
        .value_kind:     hidden_global_offset_z
      - .offset:         160
        .size:           2
        .value_kind:     hidden_grid_dims
      - .offset:         216
        .size:           4
        .value_kind:     hidden_dynamic_lds_size
    .group_segment_fixed_size: 256
    .kernarg_segment_align: 8
    .kernarg_segment_size: 352
    .language:       OpenCL C
    .language_version:
      - 2
      - 0
    .max_flat_workgroup_size: 448
    .name:           _ZL9mul_mat_fI7__half2Li64ELi13ELi7ELb1EEvPKT_PKfPKiPfiiiiiiiiiiiiiiii
    .private_segment_fixed_size: 0
    .sgpr_count:     106
    .sgpr_spill_count: 23
    .symbol:         _ZL9mul_mat_fI7__half2Li64ELi13ELi7ELb1EEvPKT_PKfPKiPfiiiiiiiiiiiiiiii.kd
    .uniform_work_group_size: 1
    .uses_dynamic_stack: false
    .vgpr_count:     110
    .vgpr_spill_count: 0
    .wavefront_size: 64
  - .agpr_count:     0
    .args:
      - .actual_access:  read_only
        .address_space:  global
        .offset:         0
        .size:           8
        .value_kind:     global_buffer
      - .actual_access:  read_only
        .address_space:  global
        .offset:         8
        .size:           8
        .value_kind:     global_buffer
      - .actual_access:  read_only
        .address_space:  global
        .offset:         16
        .size:           8
        .value_kind:     global_buffer
      - .actual_access:  write_only
        .address_space:  global
        .offset:         24
        .size:           8
        .value_kind:     global_buffer
      - .offset:         32
        .size:           4
        .value_kind:     by_value
      - .offset:         36
        .size:           4
        .value_kind:     by_value
      - .offset:         40
        .size:           4
        .value_kind:     by_value
      - .offset:         44
        .size:           4
        .value_kind:     by_value
      - .offset:         48
        .size:           4
        .value_kind:     by_value
      - .offset:         52
        .size:           4
        .value_kind:     by_value
      - .offset:         56
        .size:           4
        .value_kind:     by_value
      - .offset:         60
        .size:           4
        .value_kind:     by_value
      - .offset:         64
        .size:           4
        .value_kind:     by_value
      - .offset:         68
        .size:           4
        .value_kind:     by_value
      - .offset:         72
        .size:           4
        .value_kind:     by_value
      - .offset:         76
        .size:           4
        .value_kind:     by_value
      - .offset:         80
        .size:           4
        .value_kind:     by_value
      - .offset:         84
        .size:           4
        .value_kind:     by_value
      - .offset:         88
        .size:           4
        .value_kind:     by_value
      - .offset:         92
        .size:           4
        .value_kind:     by_value
    .group_segment_fixed_size: 0
    .kernarg_segment_align: 8
    .kernarg_segment_size: 96
    .language:       OpenCL C
    .language_version:
      - 2
      - 0
    .max_flat_workgroup_size: 448
    .name:           _ZL9mul_mat_fI7__half2Li64ELi13ELi7ELb0EEvPKT_PKfPKiPfiiiiiiiiiiiiiiii
    .private_segment_fixed_size: 0
    .sgpr_count:     103
    .sgpr_spill_count: 0
    .symbol:         _ZL9mul_mat_fI7__half2Li64ELi13ELi7ELb0EEvPKT_PKfPKiPfiiiiiiiiiiiiiiii.kd
    .uniform_work_group_size: 1
    .uses_dynamic_stack: false
    .vgpr_count:     120
    .vgpr_spill_count: 0
    .wavefront_size: 64
  - .agpr_count:     0
    .args:
      - .actual_access:  read_only
        .address_space:  global
        .offset:         0
        .size:           8
        .value_kind:     global_buffer
      - .actual_access:  read_only
        .address_space:  global
        .offset:         8
        .size:           8
        .value_kind:     global_buffer
      - .actual_access:  read_only
        .address_space:  global
        .offset:         16
        .size:           8
        .value_kind:     global_buffer
      - .actual_access:  read_only
        .address_space:  global
        .offset:         24
        .size:           8
        .value_kind:     global_buffer
      - .actual_access:  read_only
        .address_space:  global
        .offset:         32
        .size:           8
        .value_kind:     global_buffer
      - .actual_access:  write_only
        .address_space:  global
        .offset:         40
        .size:           8
        .value_kind:     global_buffer
      - .offset:         48
        .size:           4
        .value_kind:     by_value
      - .offset:         52
        .size:           4
        .value_kind:     by_value
      - .offset:         56
        .size:           4
        .value_kind:     by_value
      - .offset:         60
        .size:           4
        .value_kind:     by_value
      - .offset:         64
        .size:           4
        .value_kind:     by_value
      - .offset:         68
        .size:           4
        .value_kind:     by_value
      - .offset:         72
        .size:           4
        .value_kind:     by_value
      - .offset:         76
        .size:           4
        .value_kind:     by_value
      - .offset:         80
        .size:           4
        .value_kind:     by_value
      - .offset:         84
        .size:           4
        .value_kind:     by_value
      - .offset:         88
        .size:           4
        .value_kind:     by_value
      - .offset:         92
        .size:           4
        .value_kind:     by_value
      - .offset:         96
        .size:           4
        .value_kind:     by_value
      - .offset:         100
        .size:           4
        .value_kind:     by_value
      - .offset:         104
        .size:           12
        .value_kind:     by_value
      - .offset:         116
        .size:           12
        .value_kind:     by_value
    .group_segment_fixed_size: 0
    .kernarg_segment_align: 8
    .kernarg_segment_size: 128
    .language:       OpenCL C
    .language_version:
      - 2
      - 0
    .max_flat_workgroup_size: 512
    .name:           _ZL13mul_mat_f_idsI7__half2Li64ELi13ELi8EEvPKT_PKfPKiS7_S7_Pfiiiiiiiiiiiiii15HIP_vector_typeIjLj3EESA_
    .private_segment_fixed_size: 0
    .sgpr_count:     106
    .sgpr_spill_count: 26
    .symbol:         _ZL13mul_mat_f_idsI7__half2Li64ELi13ELi8EEvPKT_PKfPKiS7_S7_Pfiiiiiiiiiiiiii15HIP_vector_typeIjLj3EESA_.kd
    .uniform_work_group_size: 1
    .uses_dynamic_stack: false
    .vgpr_count:     119
    .vgpr_spill_count: 0
    .wavefront_size: 64
  - .agpr_count:     0
    .args:
      - .actual_access:  read_only
        .address_space:  global
        .offset:         0
        .size:           8
        .value_kind:     global_buffer
      - .actual_access:  read_only
        .address_space:  global
        .offset:         8
        .size:           8
        .value_kind:     global_buffer
      - .actual_access:  read_only
        .address_space:  global
        .offset:         16
        .size:           8
        .value_kind:     global_buffer
      - .actual_access:  write_only
        .address_space:  global
        .offset:         24
        .size:           8
        .value_kind:     global_buffer
      - .offset:         32
        .size:           4
        .value_kind:     by_value
      - .offset:         36
        .size:           4
        .value_kind:     by_value
      - .offset:         40
        .size:           4
        .value_kind:     by_value
      - .offset:         44
        .size:           4
        .value_kind:     by_value
      - .offset:         48
        .size:           4
        .value_kind:     by_value
      - .offset:         52
        .size:           4
        .value_kind:     by_value
      - .offset:         56
        .size:           4
        .value_kind:     by_value
      - .offset:         60
        .size:           4
        .value_kind:     by_value
      - .offset:         64
        .size:           4
        .value_kind:     by_value
      - .offset:         68
        .size:           4
        .value_kind:     by_value
      - .offset:         72
        .size:           4
        .value_kind:     by_value
      - .offset:         76
        .size:           4
        .value_kind:     by_value
      - .offset:         80
        .size:           4
        .value_kind:     by_value
      - .offset:         84
        .size:           4
        .value_kind:     by_value
      - .offset:         88
        .size:           4
        .value_kind:     by_value
      - .offset:         92
        .size:           4
        .value_kind:     by_value
      - .offset:         96
        .size:           4
        .value_kind:     hidden_block_count_x
      - .offset:         100
        .size:           4
        .value_kind:     hidden_block_count_y
      - .offset:         104
        .size:           4
        .value_kind:     hidden_block_count_z
      - .offset:         108
        .size:           2
        .value_kind:     hidden_group_size_x
      - .offset:         110
        .size:           2
        .value_kind:     hidden_group_size_y
      - .offset:         112
        .size:           2
        .value_kind:     hidden_group_size_z
      - .offset:         114
        .size:           2
        .value_kind:     hidden_remainder_x
      - .offset:         116
        .size:           2
        .value_kind:     hidden_remainder_y
      - .offset:         118
        .size:           2
        .value_kind:     hidden_remainder_z
      - .offset:         136
        .size:           8
        .value_kind:     hidden_global_offset_x
      - .offset:         144
        .size:           8
        .value_kind:     hidden_global_offset_y
      - .offset:         152
        .size:           8
        .value_kind:     hidden_global_offset_z
      - .offset:         160
        .size:           2
        .value_kind:     hidden_grid_dims
      - .offset:         216
        .size:           4
        .value_kind:     hidden_dynamic_lds_size
    .group_segment_fixed_size: 256
    .kernarg_segment_align: 8
    .kernarg_segment_size: 352
    .language:       OpenCL C
    .language_version:
      - 2
      - 0
    .max_flat_workgroup_size: 512
    .name:           _ZL9mul_mat_fI7__half2Li64ELi13ELi8ELb1EEvPKT_PKfPKiPfiiiiiiiiiiiiiiii
    .private_segment_fixed_size: 0
    .sgpr_count:     106
    .sgpr_spill_count: 23
    .symbol:         _ZL9mul_mat_fI7__half2Li64ELi13ELi8ELb1EEvPKT_PKfPKiPfiiiiiiiiiiiiiiii.kd
    .uniform_work_group_size: 1
    .uses_dynamic_stack: false
    .vgpr_count:     110
    .vgpr_spill_count: 0
    .wavefront_size: 64
  - .agpr_count:     0
    .args:
      - .actual_access:  read_only
        .address_space:  global
        .offset:         0
        .size:           8
        .value_kind:     global_buffer
      - .actual_access:  read_only
        .address_space:  global
        .offset:         8
        .size:           8
        .value_kind:     global_buffer
      - .actual_access:  read_only
        .address_space:  global
        .offset:         16
        .size:           8
        .value_kind:     global_buffer
      - .actual_access:  write_only
        .address_space:  global
        .offset:         24
        .size:           8
        .value_kind:     global_buffer
      - .offset:         32
        .size:           4
        .value_kind:     by_value
      - .offset:         36
        .size:           4
        .value_kind:     by_value
      - .offset:         40
        .size:           4
        .value_kind:     by_value
      - .offset:         44
        .size:           4
        .value_kind:     by_value
      - .offset:         48
        .size:           4
        .value_kind:     by_value
      - .offset:         52
        .size:           4
        .value_kind:     by_value
      - .offset:         56
        .size:           4
        .value_kind:     by_value
      - .offset:         60
        .size:           4
        .value_kind:     by_value
      - .offset:         64
        .size:           4
        .value_kind:     by_value
      - .offset:         68
        .size:           4
        .value_kind:     by_value
      - .offset:         72
        .size:           4
        .value_kind:     by_value
      - .offset:         76
        .size:           4
        .value_kind:     by_value
      - .offset:         80
        .size:           4
        .value_kind:     by_value
      - .offset:         84
        .size:           4
        .value_kind:     by_value
      - .offset:         88
        .size:           4
        .value_kind:     by_value
      - .offset:         92
        .size:           4
        .value_kind:     by_value
    .group_segment_fixed_size: 0
    .kernarg_segment_align: 8
    .kernarg_segment_size: 96
    .language:       OpenCL C
    .language_version:
      - 2
      - 0
    .max_flat_workgroup_size: 512
    .name:           _ZL9mul_mat_fI7__half2Li64ELi13ELi8ELb0EEvPKT_PKfPKiPfiiiiiiiiiiiiiiii
    .private_segment_fixed_size: 0
    .sgpr_count:     103
    .sgpr_spill_count: 0
    .symbol:         _ZL9mul_mat_fI7__half2Li64ELi13ELi8ELb0EEvPKT_PKfPKiPfiiiiiiiiiiiiiiii.kd
    .uniform_work_group_size: 1
    .uses_dynamic_stack: false
    .vgpr_count:     120
    .vgpr_spill_count: 0
    .wavefront_size: 64
  - .agpr_count:     16
    .args:
      - .actual_access:  read_only
        .address_space:  global
        .offset:         0
        .size:           8
        .value_kind:     global_buffer
      - .actual_access:  read_only
        .address_space:  global
        .offset:         8
        .size:           8
        .value_kind:     global_buffer
      - .actual_access:  read_only
        .address_space:  global
        .offset:         16
        .size:           8
        .value_kind:     global_buffer
      - .actual_access:  read_only
        .address_space:  global
        .offset:         24
        .size:           8
        .value_kind:     global_buffer
      - .actual_access:  read_only
        .address_space:  global
        .offset:         32
        .size:           8
        .value_kind:     global_buffer
      - .actual_access:  write_only
        .address_space:  global
        .offset:         40
        .size:           8
        .value_kind:     global_buffer
      - .offset:         48
        .size:           4
        .value_kind:     by_value
      - .offset:         52
        .size:           4
        .value_kind:     by_value
      - .offset:         56
        .size:           4
        .value_kind:     by_value
      - .offset:         60
        .size:           4
        .value_kind:     by_value
      - .offset:         64
        .size:           4
        .value_kind:     by_value
      - .offset:         68
        .size:           4
        .value_kind:     by_value
      - .offset:         72
        .size:           4
        .value_kind:     by_value
      - .offset:         76
        .size:           4
        .value_kind:     by_value
      - .offset:         80
        .size:           4
        .value_kind:     by_value
      - .offset:         84
        .size:           4
        .value_kind:     by_value
      - .offset:         88
        .size:           4
        .value_kind:     by_value
      - .offset:         92
        .size:           4
        .value_kind:     by_value
      - .offset:         96
        .size:           4
        .value_kind:     by_value
      - .offset:         100
        .size:           4
        .value_kind:     by_value
      - .offset:         104
        .size:           12
        .value_kind:     by_value
      - .offset:         116
        .size:           12
        .value_kind:     by_value
    .group_segment_fixed_size: 0
    .kernarg_segment_align: 8
    .kernarg_segment_size: 128
    .language:       OpenCL C
    .language_version:
      - 2
      - 0
    .max_flat_workgroup_size: 64
    .name:           _ZL13mul_mat_f_idsI15__hip_bfloat162Li64ELi13ELi1EEvPKT_PKfPKiS7_S7_Pfiiiiiiiiiiiiii15HIP_vector_typeIjLj3EESA_
    .private_segment_fixed_size: 0
    .sgpr_count:     106
    .sgpr_spill_count: 26
    .symbol:         _ZL13mul_mat_f_idsI15__hip_bfloat162Li64ELi13ELi1EEvPKT_PKfPKiS7_S7_Pfiiiiiiiiiiiiii15HIP_vector_typeIjLj3EESA_.kd
    .uniform_work_group_size: 1
    .uses_dynamic_stack: false
    .vgpr_count:     120
    .vgpr_spill_count: 0
    .wavefront_size: 64
  - .agpr_count:     16
    .args:
      - .actual_access:  read_only
        .address_space:  global
        .offset:         0
        .size:           8
        .value_kind:     global_buffer
      - .actual_access:  read_only
        .address_space:  global
        .offset:         8
        .size:           8
        .value_kind:     global_buffer
      - .actual_access:  read_only
        .address_space:  global
        .offset:         16
        .size:           8
        .value_kind:     global_buffer
      - .actual_access:  write_only
        .address_space:  global
        .offset:         24
        .size:           8
        .value_kind:     global_buffer
      - .offset:         32
        .size:           4
        .value_kind:     by_value
      - .offset:         36
        .size:           4
        .value_kind:     by_value
      - .offset:         40
        .size:           4
        .value_kind:     by_value
      - .offset:         44
        .size:           4
        .value_kind:     by_value
      - .offset:         48
        .size:           4
        .value_kind:     by_value
      - .offset:         52
        .size:           4
        .value_kind:     by_value
      - .offset:         56
        .size:           4
        .value_kind:     by_value
      - .offset:         60
        .size:           4
        .value_kind:     by_value
      - .offset:         64
        .size:           4
        .value_kind:     by_value
      - .offset:         68
        .size:           4
        .value_kind:     by_value
      - .offset:         72
        .size:           4
        .value_kind:     by_value
      - .offset:         76
        .size:           4
        .value_kind:     by_value
      - .offset:         80
        .size:           4
        .value_kind:     by_value
      - .offset:         84
        .size:           4
        .value_kind:     by_value
      - .offset:         88
        .size:           4
        .value_kind:     by_value
      - .offset:         92
        .size:           4
        .value_kind:     by_value
      - .offset:         96
        .size:           4
        .value_kind:     hidden_block_count_x
      - .offset:         100
        .size:           4
        .value_kind:     hidden_block_count_y
      - .offset:         104
        .size:           4
        .value_kind:     hidden_block_count_z
      - .offset:         108
        .size:           2
        .value_kind:     hidden_group_size_x
      - .offset:         110
        .size:           2
        .value_kind:     hidden_group_size_y
      - .offset:         112
        .size:           2
        .value_kind:     hidden_group_size_z
      - .offset:         114
        .size:           2
        .value_kind:     hidden_remainder_x
      - .offset:         116
        .size:           2
        .value_kind:     hidden_remainder_y
      - .offset:         118
        .size:           2
        .value_kind:     hidden_remainder_z
      - .offset:         136
        .size:           8
        .value_kind:     hidden_global_offset_x
      - .offset:         144
        .size:           8
        .value_kind:     hidden_global_offset_y
      - .offset:         152
        .size:           8
        .value_kind:     hidden_global_offset_z
      - .offset:         160
        .size:           2
        .value_kind:     hidden_grid_dims
      - .offset:         216
        .size:           4
        .value_kind:     hidden_dynamic_lds_size
    .group_segment_fixed_size: 256
    .kernarg_segment_align: 8
    .kernarg_segment_size: 352
    .language:       OpenCL C
    .language_version:
      - 2
      - 0
    .max_flat_workgroup_size: 64
    .name:           _ZL9mul_mat_fI15__hip_bfloat162Li64ELi13ELi1ELb1EEvPKT_PKfPKiPfiiiiiiiiiiiiiiii
    .private_segment_fixed_size: 0
    .sgpr_count:     106
    .sgpr_spill_count: 45
    .symbol:         _ZL9mul_mat_fI15__hip_bfloat162Li64ELi13ELi1ELb1EEvPKT_PKfPKiPfiiiiiiiiiiiiiiii.kd
    .uniform_work_group_size: 1
    .uses_dynamic_stack: false
    .vgpr_count:     120
    .vgpr_spill_count: 0
    .wavefront_size: 64
  - .agpr_count:     20
    .args:
      - .actual_access:  read_only
        .address_space:  global
        .offset:         0
        .size:           8
        .value_kind:     global_buffer
      - .actual_access:  read_only
        .address_space:  global
        .offset:         8
        .size:           8
        .value_kind:     global_buffer
      - .actual_access:  read_only
        .address_space:  global
        .offset:         16
        .size:           8
        .value_kind:     global_buffer
      - .actual_access:  write_only
        .address_space:  global
        .offset:         24
        .size:           8
        .value_kind:     global_buffer
      - .offset:         32
        .size:           4
        .value_kind:     by_value
      - .offset:         36
        .size:           4
        .value_kind:     by_value
      - .offset:         40
        .size:           4
        .value_kind:     by_value
      - .offset:         44
        .size:           4
        .value_kind:     by_value
      - .offset:         48
        .size:           4
        .value_kind:     by_value
      - .offset:         52
        .size:           4
        .value_kind:     by_value
      - .offset:         56
        .size:           4
        .value_kind:     by_value
      - .offset:         60
        .size:           4
        .value_kind:     by_value
      - .offset:         64
        .size:           4
        .value_kind:     by_value
      - .offset:         68
        .size:           4
        .value_kind:     by_value
      - .offset:         72
        .size:           4
        .value_kind:     by_value
      - .offset:         76
        .size:           4
        .value_kind:     by_value
      - .offset:         80
        .size:           4
        .value_kind:     by_value
      - .offset:         84
        .size:           4
        .value_kind:     by_value
      - .offset:         88
        .size:           4
        .value_kind:     by_value
      - .offset:         92
        .size:           4
        .value_kind:     by_value
    .group_segment_fixed_size: 0
    .kernarg_segment_align: 8
    .kernarg_segment_size: 96
    .language:       OpenCL C
    .language_version:
      - 2
      - 0
    .max_flat_workgroup_size: 64
    .name:           _ZL9mul_mat_fI15__hip_bfloat162Li64ELi13ELi1ELb0EEvPKT_PKfPKiPfiiiiiiiiiiiiiiii
    .private_segment_fixed_size: 0
    .sgpr_count:     103
    .sgpr_spill_count: 0
    .symbol:         _ZL9mul_mat_fI15__hip_bfloat162Li64ELi13ELi1ELb0EEvPKT_PKfPKiPfiiiiiiiiiiiiiiii.kd
    .uniform_work_group_size: 1
    .uses_dynamic_stack: false
    .vgpr_count:     136
    .vgpr_spill_count: 0
    .wavefront_size: 64
  - .agpr_count:     16
    .args:
      - .actual_access:  read_only
        .address_space:  global
        .offset:         0
        .size:           8
        .value_kind:     global_buffer
      - .actual_access:  read_only
        .address_space:  global
        .offset:         8
        .size:           8
        .value_kind:     global_buffer
      - .actual_access:  read_only
        .address_space:  global
        .offset:         16
        .size:           8
        .value_kind:     global_buffer
      - .actual_access:  read_only
        .address_space:  global
        .offset:         24
        .size:           8
        .value_kind:     global_buffer
      - .actual_access:  read_only
        .address_space:  global
        .offset:         32
        .size:           8
        .value_kind:     global_buffer
      - .actual_access:  write_only
        .address_space:  global
        .offset:         40
        .size:           8
        .value_kind:     global_buffer
      - .offset:         48
        .size:           4
        .value_kind:     by_value
      - .offset:         52
        .size:           4
        .value_kind:     by_value
      - .offset:         56
        .size:           4
        .value_kind:     by_value
      - .offset:         60
        .size:           4
        .value_kind:     by_value
      - .offset:         64
        .size:           4
        .value_kind:     by_value
      - .offset:         68
        .size:           4
        .value_kind:     by_value
      - .offset:         72
        .size:           4
        .value_kind:     by_value
      - .offset:         76
        .size:           4
        .value_kind:     by_value
      - .offset:         80
        .size:           4
        .value_kind:     by_value
      - .offset:         84
        .size:           4
        .value_kind:     by_value
      - .offset:         88
        .size:           4
        .value_kind:     by_value
      - .offset:         92
        .size:           4
        .value_kind:     by_value
      - .offset:         96
        .size:           4
        .value_kind:     by_value
      - .offset:         100
        .size:           4
        .value_kind:     by_value
      - .offset:         104
        .size:           12
        .value_kind:     by_value
      - .offset:         116
        .size:           12
        .value_kind:     by_value
    .group_segment_fixed_size: 0
    .kernarg_segment_align: 8
    .kernarg_segment_size: 128
    .language:       OpenCL C
    .language_version:
      - 2
      - 0
    .max_flat_workgroup_size: 128
    .name:           _ZL13mul_mat_f_idsI15__hip_bfloat162Li64ELi13ELi2EEvPKT_PKfPKiS7_S7_Pfiiiiiiiiiiiiii15HIP_vector_typeIjLj3EESA_
    .private_segment_fixed_size: 0
    .sgpr_count:     106
    .sgpr_spill_count: 26
    .symbol:         _ZL13mul_mat_f_idsI15__hip_bfloat162Li64ELi13ELi2EEvPKT_PKfPKiS7_S7_Pfiiiiiiiiiiiiii15HIP_vector_typeIjLj3EESA_.kd
    .uniform_work_group_size: 1
    .uses_dynamic_stack: false
    .vgpr_count:     120
    .vgpr_spill_count: 0
    .wavefront_size: 64
  - .agpr_count:     16
    .args:
      - .actual_access:  read_only
        .address_space:  global
        .offset:         0
        .size:           8
        .value_kind:     global_buffer
      - .actual_access:  read_only
        .address_space:  global
        .offset:         8
        .size:           8
        .value_kind:     global_buffer
      - .actual_access:  read_only
        .address_space:  global
        .offset:         16
        .size:           8
        .value_kind:     global_buffer
      - .actual_access:  write_only
        .address_space:  global
        .offset:         24
        .size:           8
        .value_kind:     global_buffer
      - .offset:         32
        .size:           4
        .value_kind:     by_value
      - .offset:         36
        .size:           4
        .value_kind:     by_value
      - .offset:         40
        .size:           4
        .value_kind:     by_value
      - .offset:         44
        .size:           4
        .value_kind:     by_value
      - .offset:         48
        .size:           4
        .value_kind:     by_value
      - .offset:         52
        .size:           4
        .value_kind:     by_value
      - .offset:         56
        .size:           4
        .value_kind:     by_value
      - .offset:         60
        .size:           4
        .value_kind:     by_value
      - .offset:         64
        .size:           4
        .value_kind:     by_value
      - .offset:         68
        .size:           4
        .value_kind:     by_value
      - .offset:         72
        .size:           4
        .value_kind:     by_value
      - .offset:         76
        .size:           4
        .value_kind:     by_value
      - .offset:         80
        .size:           4
        .value_kind:     by_value
      - .offset:         84
        .size:           4
        .value_kind:     by_value
      - .offset:         88
        .size:           4
        .value_kind:     by_value
      - .offset:         92
        .size:           4
        .value_kind:     by_value
      - .offset:         96
        .size:           4
        .value_kind:     hidden_block_count_x
      - .offset:         100
        .size:           4
        .value_kind:     hidden_block_count_y
      - .offset:         104
        .size:           4
        .value_kind:     hidden_block_count_z
      - .offset:         108
        .size:           2
        .value_kind:     hidden_group_size_x
      - .offset:         110
        .size:           2
        .value_kind:     hidden_group_size_y
      - .offset:         112
        .size:           2
        .value_kind:     hidden_group_size_z
      - .offset:         114
        .size:           2
        .value_kind:     hidden_remainder_x
      - .offset:         116
        .size:           2
        .value_kind:     hidden_remainder_y
      - .offset:         118
        .size:           2
        .value_kind:     hidden_remainder_z
      - .offset:         136
        .size:           8
        .value_kind:     hidden_global_offset_x
      - .offset:         144
        .size:           8
        .value_kind:     hidden_global_offset_y
      - .offset:         152
        .size:           8
        .value_kind:     hidden_global_offset_z
      - .offset:         160
        .size:           2
        .value_kind:     hidden_grid_dims
      - .offset:         216
        .size:           4
        .value_kind:     hidden_dynamic_lds_size
    .group_segment_fixed_size: 256
    .kernarg_segment_align: 8
    .kernarg_segment_size: 352
    .language:       OpenCL C
    .language_version:
      - 2
      - 0
    .max_flat_workgroup_size: 128
    .name:           _ZL9mul_mat_fI15__hip_bfloat162Li64ELi13ELi2ELb1EEvPKT_PKfPKiPfiiiiiiiiiiiiiiii
    .private_segment_fixed_size: 0
    .sgpr_count:     106
    .sgpr_spill_count: 33
    .symbol:         _ZL9mul_mat_fI15__hip_bfloat162Li64ELi13ELi2ELb1EEvPKT_PKfPKiPfiiiiiiiiiiiiiiii.kd
    .uniform_work_group_size: 1
    .uses_dynamic_stack: false
    .vgpr_count:     112
    .vgpr_spill_count: 0
    .wavefront_size: 64
  - .agpr_count:     20
    .args:
      - .actual_access:  read_only
        .address_space:  global
        .offset:         0
        .size:           8
        .value_kind:     global_buffer
      - .actual_access:  read_only
        .address_space:  global
        .offset:         8
        .size:           8
        .value_kind:     global_buffer
      - .actual_access:  read_only
        .address_space:  global
        .offset:         16
        .size:           8
        .value_kind:     global_buffer
      - .actual_access:  write_only
        .address_space:  global
        .offset:         24
        .size:           8
        .value_kind:     global_buffer
      - .offset:         32
        .size:           4
        .value_kind:     by_value
      - .offset:         36
        .size:           4
        .value_kind:     by_value
      - .offset:         40
        .size:           4
        .value_kind:     by_value
      - .offset:         44
        .size:           4
        .value_kind:     by_value
      - .offset:         48
        .size:           4
        .value_kind:     by_value
      - .offset:         52
        .size:           4
        .value_kind:     by_value
      - .offset:         56
        .size:           4
        .value_kind:     by_value
      - .offset:         60
        .size:           4
        .value_kind:     by_value
      - .offset:         64
        .size:           4
        .value_kind:     by_value
      - .offset:         68
        .size:           4
        .value_kind:     by_value
      - .offset:         72
        .size:           4
        .value_kind:     by_value
      - .offset:         76
        .size:           4
        .value_kind:     by_value
      - .offset:         80
        .size:           4
        .value_kind:     by_value
      - .offset:         84
        .size:           4
        .value_kind:     by_value
      - .offset:         88
        .size:           4
        .value_kind:     by_value
      - .offset:         92
        .size:           4
        .value_kind:     by_value
    .group_segment_fixed_size: 0
    .kernarg_segment_align: 8
    .kernarg_segment_size: 96
    .language:       OpenCL C
    .language_version:
      - 2
      - 0
    .max_flat_workgroup_size: 128
    .name:           _ZL9mul_mat_fI15__hip_bfloat162Li64ELi13ELi2ELb0EEvPKT_PKfPKiPfiiiiiiiiiiiiiiii
    .private_segment_fixed_size: 0
    .sgpr_count:     103
    .sgpr_spill_count: 0
    .symbol:         _ZL9mul_mat_fI15__hip_bfloat162Li64ELi13ELi2ELb0EEvPKT_PKfPKiPfiiiiiiiiiiiiiiii.kd
    .uniform_work_group_size: 1
    .uses_dynamic_stack: false
    .vgpr_count:     132
    .vgpr_spill_count: 0
    .wavefront_size: 64
  - .agpr_count:     16
    .args:
      - .actual_access:  read_only
        .address_space:  global
        .offset:         0
        .size:           8
        .value_kind:     global_buffer
      - .actual_access:  read_only
        .address_space:  global
        .offset:         8
        .size:           8
        .value_kind:     global_buffer
      - .actual_access:  read_only
        .address_space:  global
        .offset:         16
        .size:           8
        .value_kind:     global_buffer
      - .actual_access:  read_only
        .address_space:  global
        .offset:         24
        .size:           8
        .value_kind:     global_buffer
      - .actual_access:  read_only
        .address_space:  global
        .offset:         32
        .size:           8
        .value_kind:     global_buffer
      - .actual_access:  write_only
        .address_space:  global
        .offset:         40
        .size:           8
        .value_kind:     global_buffer
      - .offset:         48
        .size:           4
        .value_kind:     by_value
      - .offset:         52
        .size:           4
        .value_kind:     by_value
      - .offset:         56
        .size:           4
        .value_kind:     by_value
      - .offset:         60
        .size:           4
        .value_kind:     by_value
      - .offset:         64
        .size:           4
        .value_kind:     by_value
      - .offset:         68
        .size:           4
        .value_kind:     by_value
      - .offset:         72
        .size:           4
        .value_kind:     by_value
      - .offset:         76
        .size:           4
        .value_kind:     by_value
      - .offset:         80
        .size:           4
        .value_kind:     by_value
      - .offset:         84
        .size:           4
        .value_kind:     by_value
      - .offset:         88
        .size:           4
        .value_kind:     by_value
      - .offset:         92
        .size:           4
        .value_kind:     by_value
      - .offset:         96
        .size:           4
        .value_kind:     by_value
      - .offset:         100
        .size:           4
        .value_kind:     by_value
      - .offset:         104
        .size:           12
        .value_kind:     by_value
      - .offset:         116
        .size:           12
        .value_kind:     by_value
    .group_segment_fixed_size: 0
    .kernarg_segment_align: 8
    .kernarg_segment_size: 128
    .language:       OpenCL C
    .language_version:
      - 2
      - 0
    .max_flat_workgroup_size: 192
    .name:           _ZL13mul_mat_f_idsI15__hip_bfloat162Li64ELi13ELi3EEvPKT_PKfPKiS7_S7_Pfiiiiiiiiiiiiii15HIP_vector_typeIjLj3EESA_
    .private_segment_fixed_size: 0
    .sgpr_count:     106
    .sgpr_spill_count: 26
    .symbol:         _ZL13mul_mat_f_idsI15__hip_bfloat162Li64ELi13ELi3EEvPKT_PKfPKiS7_S7_Pfiiiiiiiiiiiiii15HIP_vector_typeIjLj3EESA_.kd
    .uniform_work_group_size: 1
    .uses_dynamic_stack: false
    .vgpr_count:     120
    .vgpr_spill_count: 0
    .wavefront_size: 64
  - .agpr_count:     16
    .args:
      - .actual_access:  read_only
        .address_space:  global
        .offset:         0
        .size:           8
        .value_kind:     global_buffer
      - .actual_access:  read_only
        .address_space:  global
        .offset:         8
        .size:           8
        .value_kind:     global_buffer
      - .actual_access:  read_only
        .address_space:  global
        .offset:         16
        .size:           8
        .value_kind:     global_buffer
      - .actual_access:  write_only
        .address_space:  global
        .offset:         24
        .size:           8
        .value_kind:     global_buffer
      - .offset:         32
        .size:           4
        .value_kind:     by_value
      - .offset:         36
        .size:           4
        .value_kind:     by_value
      - .offset:         40
        .size:           4
        .value_kind:     by_value
      - .offset:         44
        .size:           4
        .value_kind:     by_value
      - .offset:         48
        .size:           4
        .value_kind:     by_value
      - .offset:         52
        .size:           4
        .value_kind:     by_value
      - .offset:         56
        .size:           4
        .value_kind:     by_value
      - .offset:         60
        .size:           4
        .value_kind:     by_value
      - .offset:         64
        .size:           4
        .value_kind:     by_value
      - .offset:         68
        .size:           4
        .value_kind:     by_value
      - .offset:         72
        .size:           4
        .value_kind:     by_value
      - .offset:         76
        .size:           4
        .value_kind:     by_value
      - .offset:         80
        .size:           4
        .value_kind:     by_value
      - .offset:         84
        .size:           4
        .value_kind:     by_value
      - .offset:         88
        .size:           4
        .value_kind:     by_value
      - .offset:         92
        .size:           4
        .value_kind:     by_value
      - .offset:         96
        .size:           4
        .value_kind:     hidden_block_count_x
      - .offset:         100
        .size:           4
        .value_kind:     hidden_block_count_y
      - .offset:         104
        .size:           4
        .value_kind:     hidden_block_count_z
      - .offset:         108
        .size:           2
        .value_kind:     hidden_group_size_x
      - .offset:         110
        .size:           2
        .value_kind:     hidden_group_size_y
      - .offset:         112
        .size:           2
        .value_kind:     hidden_group_size_z
      - .offset:         114
        .size:           2
        .value_kind:     hidden_remainder_x
      - .offset:         116
        .size:           2
        .value_kind:     hidden_remainder_y
      - .offset:         118
        .size:           2
        .value_kind:     hidden_remainder_z
      - .offset:         136
        .size:           8
        .value_kind:     hidden_global_offset_x
      - .offset:         144
        .size:           8
        .value_kind:     hidden_global_offset_y
      - .offset:         152
        .size:           8
        .value_kind:     hidden_global_offset_z
      - .offset:         160
        .size:           2
        .value_kind:     hidden_grid_dims
      - .offset:         216
        .size:           4
        .value_kind:     hidden_dynamic_lds_size
    .group_segment_fixed_size: 256
    .kernarg_segment_align: 8
    .kernarg_segment_size: 352
    .language:       OpenCL C
    .language_version:
      - 2
      - 0
    .max_flat_workgroup_size: 192
    .name:           _ZL9mul_mat_fI15__hip_bfloat162Li64ELi13ELi3ELb1EEvPKT_PKfPKiPfiiiiiiiiiiiiiiii
    .private_segment_fixed_size: 0
    .sgpr_count:     106
    .sgpr_spill_count: 29
    .symbol:         _ZL9mul_mat_fI15__hip_bfloat162Li64ELi13ELi3ELb1EEvPKT_PKfPKiPfiiiiiiiiiiiiiiii.kd
    .uniform_work_group_size: 1
    .uses_dynamic_stack: false
    .vgpr_count:     112
    .vgpr_spill_count: 0
    .wavefront_size: 64
  - .agpr_count:     20
    .args:
      - .actual_access:  read_only
        .address_space:  global
        .offset:         0
        .size:           8
        .value_kind:     global_buffer
      - .actual_access:  read_only
        .address_space:  global
        .offset:         8
        .size:           8
        .value_kind:     global_buffer
      - .actual_access:  read_only
        .address_space:  global
        .offset:         16
        .size:           8
        .value_kind:     global_buffer
      - .actual_access:  write_only
        .address_space:  global
        .offset:         24
        .size:           8
        .value_kind:     global_buffer
      - .offset:         32
        .size:           4
        .value_kind:     by_value
      - .offset:         36
        .size:           4
        .value_kind:     by_value
      - .offset:         40
        .size:           4
        .value_kind:     by_value
      - .offset:         44
        .size:           4
        .value_kind:     by_value
      - .offset:         48
        .size:           4
        .value_kind:     by_value
      - .offset:         52
        .size:           4
        .value_kind:     by_value
      - .offset:         56
        .size:           4
        .value_kind:     by_value
      - .offset:         60
        .size:           4
        .value_kind:     by_value
      - .offset:         64
        .size:           4
        .value_kind:     by_value
      - .offset:         68
        .size:           4
        .value_kind:     by_value
      - .offset:         72
        .size:           4
        .value_kind:     by_value
      - .offset:         76
        .size:           4
        .value_kind:     by_value
      - .offset:         80
        .size:           4
        .value_kind:     by_value
      - .offset:         84
        .size:           4
        .value_kind:     by_value
      - .offset:         88
        .size:           4
        .value_kind:     by_value
      - .offset:         92
        .size:           4
        .value_kind:     by_value
    .group_segment_fixed_size: 0
    .kernarg_segment_align: 8
    .kernarg_segment_size: 96
    .language:       OpenCL C
    .language_version:
      - 2
      - 0
    .max_flat_workgroup_size: 192
    .name:           _ZL9mul_mat_fI15__hip_bfloat162Li64ELi13ELi3ELb0EEvPKT_PKfPKiPfiiiiiiiiiiiiiiii
    .private_segment_fixed_size: 0
    .sgpr_count:     103
    .sgpr_spill_count: 0
    .symbol:         _ZL9mul_mat_fI15__hip_bfloat162Li64ELi13ELi3ELb0EEvPKT_PKfPKiPfiiiiiiiiiiiiiiii.kd
    .uniform_work_group_size: 1
    .uses_dynamic_stack: false
    .vgpr_count:     132
    .vgpr_spill_count: 0
    .wavefront_size: 64
  - .agpr_count:     16
    .args:
      - .actual_access:  read_only
        .address_space:  global
        .offset:         0
        .size:           8
        .value_kind:     global_buffer
      - .actual_access:  read_only
        .address_space:  global
        .offset:         8
        .size:           8
        .value_kind:     global_buffer
      - .actual_access:  read_only
        .address_space:  global
        .offset:         16
        .size:           8
        .value_kind:     global_buffer
      - .actual_access:  read_only
        .address_space:  global
        .offset:         24
        .size:           8
        .value_kind:     global_buffer
      - .actual_access:  read_only
        .address_space:  global
        .offset:         32
        .size:           8
        .value_kind:     global_buffer
      - .actual_access:  write_only
        .address_space:  global
        .offset:         40
        .size:           8
        .value_kind:     global_buffer
      - .offset:         48
        .size:           4
        .value_kind:     by_value
      - .offset:         52
        .size:           4
        .value_kind:     by_value
      - .offset:         56
        .size:           4
        .value_kind:     by_value
      - .offset:         60
        .size:           4
        .value_kind:     by_value
      - .offset:         64
        .size:           4
        .value_kind:     by_value
      - .offset:         68
        .size:           4
        .value_kind:     by_value
      - .offset:         72
        .size:           4
        .value_kind:     by_value
      - .offset:         76
        .size:           4
        .value_kind:     by_value
      - .offset:         80
        .size:           4
        .value_kind:     by_value
      - .offset:         84
        .size:           4
        .value_kind:     by_value
      - .offset:         88
        .size:           4
        .value_kind:     by_value
      - .offset:         92
        .size:           4
        .value_kind:     by_value
      - .offset:         96
        .size:           4
        .value_kind:     by_value
      - .offset:         100
        .size:           4
        .value_kind:     by_value
      - .offset:         104
        .size:           12
        .value_kind:     by_value
      - .offset:         116
        .size:           12
        .value_kind:     by_value
    .group_segment_fixed_size: 0
    .kernarg_segment_align: 8
    .kernarg_segment_size: 128
    .language:       OpenCL C
    .language_version:
      - 2
      - 0
    .max_flat_workgroup_size: 256
    .name:           _ZL13mul_mat_f_idsI15__hip_bfloat162Li64ELi13ELi4EEvPKT_PKfPKiS7_S7_Pfiiiiiiiiiiiiii15HIP_vector_typeIjLj3EESA_
    .private_segment_fixed_size: 0
    .sgpr_count:     106
    .sgpr_spill_count: 26
    .symbol:         _ZL13mul_mat_f_idsI15__hip_bfloat162Li64ELi13ELi4EEvPKT_PKfPKiS7_S7_Pfiiiiiiiiiiiiii15HIP_vector_typeIjLj3EESA_.kd
    .uniform_work_group_size: 1
    .uses_dynamic_stack: false
    .vgpr_count:     120
    .vgpr_spill_count: 0
    .wavefront_size: 64
  - .agpr_count:     16
    .args:
      - .actual_access:  read_only
        .address_space:  global
        .offset:         0
        .size:           8
        .value_kind:     global_buffer
      - .actual_access:  read_only
        .address_space:  global
        .offset:         8
        .size:           8
        .value_kind:     global_buffer
      - .actual_access:  read_only
        .address_space:  global
        .offset:         16
        .size:           8
        .value_kind:     global_buffer
      - .actual_access:  write_only
        .address_space:  global
        .offset:         24
        .size:           8
        .value_kind:     global_buffer
      - .offset:         32
        .size:           4
        .value_kind:     by_value
      - .offset:         36
        .size:           4
        .value_kind:     by_value
      - .offset:         40
        .size:           4
        .value_kind:     by_value
      - .offset:         44
        .size:           4
        .value_kind:     by_value
      - .offset:         48
        .size:           4
        .value_kind:     by_value
      - .offset:         52
        .size:           4
        .value_kind:     by_value
      - .offset:         56
        .size:           4
        .value_kind:     by_value
      - .offset:         60
        .size:           4
        .value_kind:     by_value
      - .offset:         64
        .size:           4
        .value_kind:     by_value
      - .offset:         68
        .size:           4
        .value_kind:     by_value
      - .offset:         72
        .size:           4
        .value_kind:     by_value
      - .offset:         76
        .size:           4
        .value_kind:     by_value
      - .offset:         80
        .size:           4
        .value_kind:     by_value
      - .offset:         84
        .size:           4
        .value_kind:     by_value
      - .offset:         88
        .size:           4
        .value_kind:     by_value
      - .offset:         92
        .size:           4
        .value_kind:     by_value
      - .offset:         96
        .size:           4
        .value_kind:     hidden_block_count_x
      - .offset:         100
        .size:           4
        .value_kind:     hidden_block_count_y
      - .offset:         104
        .size:           4
        .value_kind:     hidden_block_count_z
      - .offset:         108
        .size:           2
        .value_kind:     hidden_group_size_x
      - .offset:         110
        .size:           2
        .value_kind:     hidden_group_size_y
      - .offset:         112
        .size:           2
        .value_kind:     hidden_group_size_z
      - .offset:         114
        .size:           2
        .value_kind:     hidden_remainder_x
      - .offset:         116
        .size:           2
        .value_kind:     hidden_remainder_y
      - .offset:         118
        .size:           2
        .value_kind:     hidden_remainder_z
      - .offset:         136
        .size:           8
        .value_kind:     hidden_global_offset_x
      - .offset:         144
        .size:           8
        .value_kind:     hidden_global_offset_y
      - .offset:         152
        .size:           8
        .value_kind:     hidden_global_offset_z
      - .offset:         160
        .size:           2
        .value_kind:     hidden_grid_dims
      - .offset:         216
        .size:           4
        .value_kind:     hidden_dynamic_lds_size
    .group_segment_fixed_size: 256
    .kernarg_segment_align: 8
    .kernarg_segment_size: 352
    .language:       OpenCL C
    .language_version:
      - 2
      - 0
    .max_flat_workgroup_size: 256
    .name:           _ZL9mul_mat_fI15__hip_bfloat162Li64ELi13ELi4ELb1EEvPKT_PKfPKiPfiiiiiiiiiiiiiiii
    .private_segment_fixed_size: 0
    .sgpr_count:     106
    .sgpr_spill_count: 27
    .symbol:         _ZL9mul_mat_fI15__hip_bfloat162Li64ELi13ELi4ELb1EEvPKT_PKfPKiPfiiiiiiiiiiiiiiii.kd
    .uniform_work_group_size: 1
    .uses_dynamic_stack: false
    .vgpr_count:     108
    .vgpr_spill_count: 0
    .wavefront_size: 64
  - .agpr_count:     20
    .args:
      - .actual_access:  read_only
        .address_space:  global
        .offset:         0
        .size:           8
        .value_kind:     global_buffer
      - .actual_access:  read_only
        .address_space:  global
        .offset:         8
        .size:           8
        .value_kind:     global_buffer
      - .actual_access:  read_only
        .address_space:  global
        .offset:         16
        .size:           8
        .value_kind:     global_buffer
      - .actual_access:  write_only
        .address_space:  global
        .offset:         24
        .size:           8
        .value_kind:     global_buffer
      - .offset:         32
        .size:           4
        .value_kind:     by_value
      - .offset:         36
        .size:           4
        .value_kind:     by_value
      - .offset:         40
        .size:           4
        .value_kind:     by_value
      - .offset:         44
        .size:           4
        .value_kind:     by_value
      - .offset:         48
        .size:           4
        .value_kind:     by_value
      - .offset:         52
        .size:           4
        .value_kind:     by_value
      - .offset:         56
        .size:           4
        .value_kind:     by_value
      - .offset:         60
        .size:           4
        .value_kind:     by_value
      - .offset:         64
        .size:           4
        .value_kind:     by_value
      - .offset:         68
        .size:           4
        .value_kind:     by_value
      - .offset:         72
        .size:           4
        .value_kind:     by_value
      - .offset:         76
        .size:           4
        .value_kind:     by_value
      - .offset:         80
        .size:           4
        .value_kind:     by_value
      - .offset:         84
        .size:           4
        .value_kind:     by_value
      - .offset:         88
        .size:           4
        .value_kind:     by_value
      - .offset:         92
        .size:           4
        .value_kind:     by_value
    .group_segment_fixed_size: 0
    .kernarg_segment_align: 8
    .kernarg_segment_size: 96
    .language:       OpenCL C
    .language_version:
      - 2
      - 0
    .max_flat_workgroup_size: 256
    .name:           _ZL9mul_mat_fI15__hip_bfloat162Li64ELi13ELi4ELb0EEvPKT_PKfPKiPfiiiiiiiiiiiiiiii
    .private_segment_fixed_size: 0
    .sgpr_count:     103
    .sgpr_spill_count: 0
    .symbol:         _ZL9mul_mat_fI15__hip_bfloat162Li64ELi13ELi4ELb0EEvPKT_PKfPKiPfiiiiiiiiiiiiiiii.kd
    .uniform_work_group_size: 1
    .uses_dynamic_stack: false
    .vgpr_count:     132
    .vgpr_spill_count: 0
    .wavefront_size: 64
  - .agpr_count:     0
    .args:
      - .actual_access:  read_only
        .address_space:  global
        .offset:         0
        .size:           8
        .value_kind:     global_buffer
      - .actual_access:  read_only
        .address_space:  global
        .offset:         8
        .size:           8
        .value_kind:     global_buffer
      - .actual_access:  read_only
        .address_space:  global
        .offset:         16
        .size:           8
        .value_kind:     global_buffer
      - .actual_access:  read_only
        .address_space:  global
        .offset:         24
        .size:           8
        .value_kind:     global_buffer
      - .actual_access:  read_only
        .address_space:  global
        .offset:         32
        .size:           8
        .value_kind:     global_buffer
      - .actual_access:  write_only
        .address_space:  global
        .offset:         40
        .size:           8
        .value_kind:     global_buffer
      - .offset:         48
        .size:           4
        .value_kind:     by_value
      - .offset:         52
        .size:           4
        .value_kind:     by_value
      - .offset:         56
        .size:           4
        .value_kind:     by_value
      - .offset:         60
        .size:           4
        .value_kind:     by_value
      - .offset:         64
        .size:           4
        .value_kind:     by_value
      - .offset:         68
        .size:           4
        .value_kind:     by_value
      - .offset:         72
        .size:           4
        .value_kind:     by_value
      - .offset:         76
        .size:           4
        .value_kind:     by_value
      - .offset:         80
        .size:           4
        .value_kind:     by_value
      - .offset:         84
        .size:           4
        .value_kind:     by_value
      - .offset:         88
        .size:           4
        .value_kind:     by_value
      - .offset:         92
        .size:           4
        .value_kind:     by_value
      - .offset:         96
        .size:           4
        .value_kind:     by_value
      - .offset:         100
        .size:           4
        .value_kind:     by_value
      - .offset:         104
        .size:           12
        .value_kind:     by_value
      - .offset:         116
        .size:           12
        .value_kind:     by_value
    .group_segment_fixed_size: 0
    .kernarg_segment_align: 8
    .kernarg_segment_size: 128
    .language:       OpenCL C
    .language_version:
      - 2
      - 0
    .max_flat_workgroup_size: 320
    .name:           _ZL13mul_mat_f_idsI15__hip_bfloat162Li64ELi13ELi5EEvPKT_PKfPKiS7_S7_Pfiiiiiiiiiiiiii15HIP_vector_typeIjLj3EESA_
    .private_segment_fixed_size: 0
    .sgpr_count:     106
    .sgpr_spill_count: 26
    .symbol:         _ZL13mul_mat_f_idsI15__hip_bfloat162Li64ELi13ELi5EEvPKT_PKfPKiS7_S7_Pfiiiiiiiiiiiiii15HIP_vector_typeIjLj3EESA_.kd
    .uniform_work_group_size: 1
    .uses_dynamic_stack: false
    .vgpr_count:     119
    .vgpr_spill_count: 0
    .wavefront_size: 64
  - .agpr_count:     0
    .args:
      - .actual_access:  read_only
        .address_space:  global
        .offset:         0
        .size:           8
        .value_kind:     global_buffer
      - .actual_access:  read_only
        .address_space:  global
        .offset:         8
        .size:           8
        .value_kind:     global_buffer
      - .actual_access:  read_only
        .address_space:  global
        .offset:         16
        .size:           8
        .value_kind:     global_buffer
      - .actual_access:  write_only
        .address_space:  global
        .offset:         24
        .size:           8
        .value_kind:     global_buffer
      - .offset:         32
        .size:           4
        .value_kind:     by_value
      - .offset:         36
        .size:           4
        .value_kind:     by_value
      - .offset:         40
        .size:           4
        .value_kind:     by_value
      - .offset:         44
        .size:           4
        .value_kind:     by_value
      - .offset:         48
        .size:           4
        .value_kind:     by_value
      - .offset:         52
        .size:           4
        .value_kind:     by_value
      - .offset:         56
        .size:           4
        .value_kind:     by_value
      - .offset:         60
        .size:           4
        .value_kind:     by_value
      - .offset:         64
        .size:           4
        .value_kind:     by_value
      - .offset:         68
        .size:           4
        .value_kind:     by_value
      - .offset:         72
        .size:           4
        .value_kind:     by_value
      - .offset:         76
        .size:           4
        .value_kind:     by_value
      - .offset:         80
        .size:           4
        .value_kind:     by_value
      - .offset:         84
        .size:           4
        .value_kind:     by_value
      - .offset:         88
        .size:           4
        .value_kind:     by_value
      - .offset:         92
        .size:           4
        .value_kind:     by_value
      - .offset:         96
        .size:           4
        .value_kind:     hidden_block_count_x
      - .offset:         100
        .size:           4
        .value_kind:     hidden_block_count_y
      - .offset:         104
        .size:           4
        .value_kind:     hidden_block_count_z
      - .offset:         108
        .size:           2
        .value_kind:     hidden_group_size_x
      - .offset:         110
        .size:           2
        .value_kind:     hidden_group_size_y
      - .offset:         112
        .size:           2
        .value_kind:     hidden_group_size_z
      - .offset:         114
        .size:           2
        .value_kind:     hidden_remainder_x
      - .offset:         116
        .size:           2
        .value_kind:     hidden_remainder_y
      - .offset:         118
        .size:           2
        .value_kind:     hidden_remainder_z
      - .offset:         136
        .size:           8
        .value_kind:     hidden_global_offset_x
      - .offset:         144
        .size:           8
        .value_kind:     hidden_global_offset_y
      - .offset:         152
        .size:           8
        .value_kind:     hidden_global_offset_z
      - .offset:         160
        .size:           2
        .value_kind:     hidden_grid_dims
      - .offset:         216
        .size:           4
        .value_kind:     hidden_dynamic_lds_size
    .group_segment_fixed_size: 256
    .kernarg_segment_align: 8
    .kernarg_segment_size: 352
    .language:       OpenCL C
    .language_version:
      - 2
      - 0
    .max_flat_workgroup_size: 320
    .name:           _ZL9mul_mat_fI15__hip_bfloat162Li64ELi13ELi5ELb1EEvPKT_PKfPKiPfiiiiiiiiiiiiiiii
    .private_segment_fixed_size: 0
    .sgpr_count:     106
    .sgpr_spill_count: 25
    .symbol:         _ZL9mul_mat_fI15__hip_bfloat162Li64ELi13ELi5ELb1EEvPKT_PKfPKiPfiiiiiiiiiiiiiiii.kd
    .uniform_work_group_size: 1
    .uses_dynamic_stack: false
    .vgpr_count:     111
    .vgpr_spill_count: 0
    .wavefront_size: 64
  - .agpr_count:     0
    .args:
      - .actual_access:  read_only
        .address_space:  global
        .offset:         0
        .size:           8
        .value_kind:     global_buffer
      - .actual_access:  read_only
        .address_space:  global
        .offset:         8
        .size:           8
        .value_kind:     global_buffer
      - .actual_access:  read_only
        .address_space:  global
        .offset:         16
        .size:           8
        .value_kind:     global_buffer
      - .actual_access:  write_only
        .address_space:  global
        .offset:         24
        .size:           8
        .value_kind:     global_buffer
      - .offset:         32
        .size:           4
        .value_kind:     by_value
      - .offset:         36
        .size:           4
        .value_kind:     by_value
      - .offset:         40
        .size:           4
        .value_kind:     by_value
      - .offset:         44
        .size:           4
        .value_kind:     by_value
      - .offset:         48
        .size:           4
        .value_kind:     by_value
      - .offset:         52
        .size:           4
        .value_kind:     by_value
      - .offset:         56
        .size:           4
        .value_kind:     by_value
      - .offset:         60
        .size:           4
        .value_kind:     by_value
      - .offset:         64
        .size:           4
        .value_kind:     by_value
      - .offset:         68
        .size:           4
        .value_kind:     by_value
      - .offset:         72
        .size:           4
        .value_kind:     by_value
      - .offset:         76
        .size:           4
        .value_kind:     by_value
      - .offset:         80
        .size:           4
        .value_kind:     by_value
      - .offset:         84
        .size:           4
        .value_kind:     by_value
      - .offset:         88
        .size:           4
        .value_kind:     by_value
      - .offset:         92
        .size:           4
        .value_kind:     by_value
    .group_segment_fixed_size: 0
    .kernarg_segment_align: 8
    .kernarg_segment_size: 96
    .language:       OpenCL C
    .language_version:
      - 2
      - 0
    .max_flat_workgroup_size: 320
    .name:           _ZL9mul_mat_fI15__hip_bfloat162Li64ELi13ELi5ELb0EEvPKT_PKfPKiPfiiiiiiiiiiiiiiii
    .private_segment_fixed_size: 0
    .sgpr_count:     103
    .sgpr_spill_count: 0
    .symbol:         _ZL9mul_mat_fI15__hip_bfloat162Li64ELi13ELi5ELb0EEvPKT_PKfPKiPfiiiiiiiiiiiiiiii.kd
    .uniform_work_group_size: 1
    .uses_dynamic_stack: false
    .vgpr_count:     120
    .vgpr_spill_count: 0
    .wavefront_size: 64
  - .agpr_count:     0
    .args:
      - .actual_access:  read_only
        .address_space:  global
        .offset:         0
        .size:           8
        .value_kind:     global_buffer
      - .actual_access:  read_only
        .address_space:  global
        .offset:         8
        .size:           8
        .value_kind:     global_buffer
      - .actual_access:  read_only
        .address_space:  global
        .offset:         16
        .size:           8
        .value_kind:     global_buffer
      - .actual_access:  read_only
        .address_space:  global
        .offset:         24
        .size:           8
        .value_kind:     global_buffer
      - .actual_access:  read_only
        .address_space:  global
        .offset:         32
        .size:           8
        .value_kind:     global_buffer
      - .actual_access:  write_only
        .address_space:  global
        .offset:         40
        .size:           8
        .value_kind:     global_buffer
      - .offset:         48
        .size:           4
        .value_kind:     by_value
      - .offset:         52
        .size:           4
        .value_kind:     by_value
      - .offset:         56
        .size:           4
        .value_kind:     by_value
      - .offset:         60
        .size:           4
        .value_kind:     by_value
      - .offset:         64
        .size:           4
        .value_kind:     by_value
      - .offset:         68
        .size:           4
        .value_kind:     by_value
      - .offset:         72
        .size:           4
        .value_kind:     by_value
      - .offset:         76
        .size:           4
        .value_kind:     by_value
      - .offset:         80
        .size:           4
        .value_kind:     by_value
      - .offset:         84
        .size:           4
        .value_kind:     by_value
      - .offset:         88
        .size:           4
        .value_kind:     by_value
      - .offset:         92
        .size:           4
        .value_kind:     by_value
      - .offset:         96
        .size:           4
        .value_kind:     by_value
      - .offset:         100
        .size:           4
        .value_kind:     by_value
      - .offset:         104
        .size:           12
        .value_kind:     by_value
      - .offset:         116
        .size:           12
        .value_kind:     by_value
    .group_segment_fixed_size: 0
    .kernarg_segment_align: 8
    .kernarg_segment_size: 128
    .language:       OpenCL C
    .language_version:
      - 2
      - 0
    .max_flat_workgroup_size: 384
    .name:           _ZL13mul_mat_f_idsI15__hip_bfloat162Li64ELi13ELi6EEvPKT_PKfPKiS7_S7_Pfiiiiiiiiiiiiii15HIP_vector_typeIjLj3EESA_
    .private_segment_fixed_size: 0
    .sgpr_count:     106
    .sgpr_spill_count: 26
    .symbol:         _ZL13mul_mat_f_idsI15__hip_bfloat162Li64ELi13ELi6EEvPKT_PKfPKiS7_S7_Pfiiiiiiiiiiiiii15HIP_vector_typeIjLj3EESA_.kd
    .uniform_work_group_size: 1
    .uses_dynamic_stack: false
    .vgpr_count:     119
    .vgpr_spill_count: 0
    .wavefront_size: 64
  - .agpr_count:     0
    .args:
      - .actual_access:  read_only
        .address_space:  global
        .offset:         0
        .size:           8
        .value_kind:     global_buffer
      - .actual_access:  read_only
        .address_space:  global
        .offset:         8
        .size:           8
        .value_kind:     global_buffer
      - .actual_access:  read_only
        .address_space:  global
        .offset:         16
        .size:           8
        .value_kind:     global_buffer
      - .actual_access:  write_only
        .address_space:  global
        .offset:         24
        .size:           8
        .value_kind:     global_buffer
      - .offset:         32
        .size:           4
        .value_kind:     by_value
      - .offset:         36
        .size:           4
        .value_kind:     by_value
      - .offset:         40
        .size:           4
        .value_kind:     by_value
      - .offset:         44
        .size:           4
        .value_kind:     by_value
      - .offset:         48
        .size:           4
        .value_kind:     by_value
      - .offset:         52
        .size:           4
        .value_kind:     by_value
      - .offset:         56
        .size:           4
        .value_kind:     by_value
      - .offset:         60
        .size:           4
        .value_kind:     by_value
      - .offset:         64
        .size:           4
        .value_kind:     by_value
      - .offset:         68
        .size:           4
        .value_kind:     by_value
      - .offset:         72
        .size:           4
        .value_kind:     by_value
      - .offset:         76
        .size:           4
        .value_kind:     by_value
      - .offset:         80
        .size:           4
        .value_kind:     by_value
      - .offset:         84
        .size:           4
        .value_kind:     by_value
      - .offset:         88
        .size:           4
        .value_kind:     by_value
      - .offset:         92
        .size:           4
        .value_kind:     by_value
      - .offset:         96
        .size:           4
        .value_kind:     hidden_block_count_x
      - .offset:         100
        .size:           4
        .value_kind:     hidden_block_count_y
      - .offset:         104
        .size:           4
        .value_kind:     hidden_block_count_z
      - .offset:         108
        .size:           2
        .value_kind:     hidden_group_size_x
      - .offset:         110
        .size:           2
        .value_kind:     hidden_group_size_y
      - .offset:         112
        .size:           2
        .value_kind:     hidden_group_size_z
      - .offset:         114
        .size:           2
        .value_kind:     hidden_remainder_x
      - .offset:         116
        .size:           2
        .value_kind:     hidden_remainder_y
      - .offset:         118
        .size:           2
        .value_kind:     hidden_remainder_z
      - .offset:         136
        .size:           8
        .value_kind:     hidden_global_offset_x
      - .offset:         144
        .size:           8
        .value_kind:     hidden_global_offset_y
      - .offset:         152
        .size:           8
        .value_kind:     hidden_global_offset_z
      - .offset:         160
        .size:           2
        .value_kind:     hidden_grid_dims
      - .offset:         216
        .size:           4
        .value_kind:     hidden_dynamic_lds_size
    .group_segment_fixed_size: 256
    .kernarg_segment_align: 8
    .kernarg_segment_size: 352
    .language:       OpenCL C
    .language_version:
      - 2
      - 0
    .max_flat_workgroup_size: 384
    .name:           _ZL9mul_mat_fI15__hip_bfloat162Li64ELi13ELi6ELb1EEvPKT_PKfPKiPfiiiiiiiiiiiiiiii
    .private_segment_fixed_size: 0
    .sgpr_count:     106
    .sgpr_spill_count: 25
    .symbol:         _ZL9mul_mat_fI15__hip_bfloat162Li64ELi13ELi6ELb1EEvPKT_PKfPKiPfiiiiiiiiiiiiiiii.kd
    .uniform_work_group_size: 1
    .uses_dynamic_stack: false
    .vgpr_count:     110
    .vgpr_spill_count: 0
    .wavefront_size: 64
  - .agpr_count:     0
    .args:
      - .actual_access:  read_only
        .address_space:  global
        .offset:         0
        .size:           8
        .value_kind:     global_buffer
      - .actual_access:  read_only
        .address_space:  global
        .offset:         8
        .size:           8
        .value_kind:     global_buffer
      - .actual_access:  read_only
        .address_space:  global
        .offset:         16
        .size:           8
        .value_kind:     global_buffer
      - .actual_access:  write_only
        .address_space:  global
        .offset:         24
        .size:           8
        .value_kind:     global_buffer
      - .offset:         32
        .size:           4
        .value_kind:     by_value
      - .offset:         36
        .size:           4
        .value_kind:     by_value
      - .offset:         40
        .size:           4
        .value_kind:     by_value
      - .offset:         44
        .size:           4
        .value_kind:     by_value
      - .offset:         48
        .size:           4
        .value_kind:     by_value
      - .offset:         52
        .size:           4
        .value_kind:     by_value
      - .offset:         56
        .size:           4
        .value_kind:     by_value
      - .offset:         60
        .size:           4
        .value_kind:     by_value
      - .offset:         64
        .size:           4
        .value_kind:     by_value
      - .offset:         68
        .size:           4
        .value_kind:     by_value
      - .offset:         72
        .size:           4
        .value_kind:     by_value
      - .offset:         76
        .size:           4
        .value_kind:     by_value
      - .offset:         80
        .size:           4
        .value_kind:     by_value
      - .offset:         84
        .size:           4
        .value_kind:     by_value
      - .offset:         88
        .size:           4
        .value_kind:     by_value
      - .offset:         92
        .size:           4
        .value_kind:     by_value
    .group_segment_fixed_size: 0
    .kernarg_segment_align: 8
    .kernarg_segment_size: 96
    .language:       OpenCL C
    .language_version:
      - 2
      - 0
    .max_flat_workgroup_size: 384
    .name:           _ZL9mul_mat_fI15__hip_bfloat162Li64ELi13ELi6ELb0EEvPKT_PKfPKiPfiiiiiiiiiiiiiiii
    .private_segment_fixed_size: 0
    .sgpr_count:     103
    .sgpr_spill_count: 0
    .symbol:         _ZL9mul_mat_fI15__hip_bfloat162Li64ELi13ELi6ELb0EEvPKT_PKfPKiPfiiiiiiiiiiiiiiii.kd
    .uniform_work_group_size: 1
    .uses_dynamic_stack: false
    .vgpr_count:     120
    .vgpr_spill_count: 0
    .wavefront_size: 64
  - .agpr_count:     0
    .args:
      - .actual_access:  read_only
        .address_space:  global
        .offset:         0
        .size:           8
        .value_kind:     global_buffer
      - .actual_access:  read_only
        .address_space:  global
        .offset:         8
        .size:           8
        .value_kind:     global_buffer
      - .actual_access:  read_only
        .address_space:  global
        .offset:         16
        .size:           8
        .value_kind:     global_buffer
      - .actual_access:  read_only
        .address_space:  global
        .offset:         24
        .size:           8
        .value_kind:     global_buffer
      - .actual_access:  read_only
        .address_space:  global
        .offset:         32
        .size:           8
        .value_kind:     global_buffer
      - .actual_access:  write_only
        .address_space:  global
        .offset:         40
        .size:           8
        .value_kind:     global_buffer
      - .offset:         48
        .size:           4
        .value_kind:     by_value
      - .offset:         52
        .size:           4
        .value_kind:     by_value
      - .offset:         56
        .size:           4
        .value_kind:     by_value
      - .offset:         60
        .size:           4
        .value_kind:     by_value
      - .offset:         64
        .size:           4
        .value_kind:     by_value
      - .offset:         68
        .size:           4
        .value_kind:     by_value
      - .offset:         72
        .size:           4
        .value_kind:     by_value
      - .offset:         76
        .size:           4
        .value_kind:     by_value
      - .offset:         80
        .size:           4
        .value_kind:     by_value
      - .offset:         84
        .size:           4
        .value_kind:     by_value
      - .offset:         88
        .size:           4
        .value_kind:     by_value
      - .offset:         92
        .size:           4
        .value_kind:     by_value
      - .offset:         96
        .size:           4
        .value_kind:     by_value
      - .offset:         100
        .size:           4
        .value_kind:     by_value
      - .offset:         104
        .size:           12
        .value_kind:     by_value
      - .offset:         116
        .size:           12
        .value_kind:     by_value
    .group_segment_fixed_size: 0
    .kernarg_segment_align: 8
    .kernarg_segment_size: 128
    .language:       OpenCL C
    .language_version:
      - 2
      - 0
    .max_flat_workgroup_size: 448
    .name:           _ZL13mul_mat_f_idsI15__hip_bfloat162Li64ELi13ELi7EEvPKT_PKfPKiS7_S7_Pfiiiiiiiiiiiiii15HIP_vector_typeIjLj3EESA_
    .private_segment_fixed_size: 0
    .sgpr_count:     106
    .sgpr_spill_count: 26
    .symbol:         _ZL13mul_mat_f_idsI15__hip_bfloat162Li64ELi13ELi7EEvPKT_PKfPKiS7_S7_Pfiiiiiiiiiiiiii15HIP_vector_typeIjLj3EESA_.kd
    .uniform_work_group_size: 1
    .uses_dynamic_stack: false
    .vgpr_count:     119
    .vgpr_spill_count: 0
    .wavefront_size: 64
  - .agpr_count:     0
    .args:
      - .actual_access:  read_only
        .address_space:  global
        .offset:         0
        .size:           8
        .value_kind:     global_buffer
      - .actual_access:  read_only
        .address_space:  global
        .offset:         8
        .size:           8
        .value_kind:     global_buffer
      - .actual_access:  read_only
        .address_space:  global
        .offset:         16
        .size:           8
        .value_kind:     global_buffer
      - .actual_access:  write_only
        .address_space:  global
        .offset:         24
        .size:           8
        .value_kind:     global_buffer
      - .offset:         32
        .size:           4
        .value_kind:     by_value
      - .offset:         36
        .size:           4
        .value_kind:     by_value
      - .offset:         40
        .size:           4
        .value_kind:     by_value
      - .offset:         44
        .size:           4
        .value_kind:     by_value
      - .offset:         48
        .size:           4
        .value_kind:     by_value
      - .offset:         52
        .size:           4
        .value_kind:     by_value
      - .offset:         56
        .size:           4
        .value_kind:     by_value
      - .offset:         60
        .size:           4
        .value_kind:     by_value
      - .offset:         64
        .size:           4
        .value_kind:     by_value
      - .offset:         68
        .size:           4
        .value_kind:     by_value
      - .offset:         72
        .size:           4
        .value_kind:     by_value
      - .offset:         76
        .size:           4
        .value_kind:     by_value
      - .offset:         80
        .size:           4
        .value_kind:     by_value
      - .offset:         84
        .size:           4
        .value_kind:     by_value
      - .offset:         88
        .size:           4
        .value_kind:     by_value
      - .offset:         92
        .size:           4
        .value_kind:     by_value
      - .offset:         96
        .size:           4
        .value_kind:     hidden_block_count_x
      - .offset:         100
        .size:           4
        .value_kind:     hidden_block_count_y
      - .offset:         104
        .size:           4
        .value_kind:     hidden_block_count_z
      - .offset:         108
        .size:           2
        .value_kind:     hidden_group_size_x
      - .offset:         110
        .size:           2
        .value_kind:     hidden_group_size_y
      - .offset:         112
        .size:           2
        .value_kind:     hidden_group_size_z
      - .offset:         114
        .size:           2
        .value_kind:     hidden_remainder_x
      - .offset:         116
        .size:           2
        .value_kind:     hidden_remainder_y
      - .offset:         118
        .size:           2
        .value_kind:     hidden_remainder_z
      - .offset:         136
        .size:           8
        .value_kind:     hidden_global_offset_x
      - .offset:         144
        .size:           8
        .value_kind:     hidden_global_offset_y
      - .offset:         152
        .size:           8
        .value_kind:     hidden_global_offset_z
      - .offset:         160
        .size:           2
        .value_kind:     hidden_grid_dims
      - .offset:         216
        .size:           4
        .value_kind:     hidden_dynamic_lds_size
    .group_segment_fixed_size: 256
    .kernarg_segment_align: 8
    .kernarg_segment_size: 352
    .language:       OpenCL C
    .language_version:
      - 2
      - 0
    .max_flat_workgroup_size: 448
    .name:           _ZL9mul_mat_fI15__hip_bfloat162Li64ELi13ELi7ELb1EEvPKT_PKfPKiPfiiiiiiiiiiiiiiii
    .private_segment_fixed_size: 0
    .sgpr_count:     106
    .sgpr_spill_count: 23
    .symbol:         _ZL9mul_mat_fI15__hip_bfloat162Li64ELi13ELi7ELb1EEvPKT_PKfPKiPfiiiiiiiiiiiiiiii.kd
    .uniform_work_group_size: 1
    .uses_dynamic_stack: false
    .vgpr_count:     110
    .vgpr_spill_count: 0
    .wavefront_size: 64
  - .agpr_count:     0
    .args:
      - .actual_access:  read_only
        .address_space:  global
        .offset:         0
        .size:           8
        .value_kind:     global_buffer
      - .actual_access:  read_only
        .address_space:  global
        .offset:         8
        .size:           8
        .value_kind:     global_buffer
      - .actual_access:  read_only
        .address_space:  global
        .offset:         16
        .size:           8
        .value_kind:     global_buffer
      - .actual_access:  write_only
        .address_space:  global
        .offset:         24
        .size:           8
        .value_kind:     global_buffer
      - .offset:         32
        .size:           4
        .value_kind:     by_value
      - .offset:         36
        .size:           4
        .value_kind:     by_value
      - .offset:         40
        .size:           4
        .value_kind:     by_value
      - .offset:         44
        .size:           4
        .value_kind:     by_value
      - .offset:         48
        .size:           4
        .value_kind:     by_value
      - .offset:         52
        .size:           4
        .value_kind:     by_value
      - .offset:         56
        .size:           4
        .value_kind:     by_value
      - .offset:         60
        .size:           4
        .value_kind:     by_value
      - .offset:         64
        .size:           4
        .value_kind:     by_value
      - .offset:         68
        .size:           4
        .value_kind:     by_value
      - .offset:         72
        .size:           4
        .value_kind:     by_value
      - .offset:         76
        .size:           4
        .value_kind:     by_value
      - .offset:         80
        .size:           4
        .value_kind:     by_value
      - .offset:         84
        .size:           4
        .value_kind:     by_value
      - .offset:         88
        .size:           4
        .value_kind:     by_value
      - .offset:         92
        .size:           4
        .value_kind:     by_value
    .group_segment_fixed_size: 0
    .kernarg_segment_align: 8
    .kernarg_segment_size: 96
    .language:       OpenCL C
    .language_version:
      - 2
      - 0
    .max_flat_workgroup_size: 448
    .name:           _ZL9mul_mat_fI15__hip_bfloat162Li64ELi13ELi7ELb0EEvPKT_PKfPKiPfiiiiiiiiiiiiiiii
    .private_segment_fixed_size: 0
    .sgpr_count:     103
    .sgpr_spill_count: 0
    .symbol:         _ZL9mul_mat_fI15__hip_bfloat162Li64ELi13ELi7ELb0EEvPKT_PKfPKiPfiiiiiiiiiiiiiiii.kd
    .uniform_work_group_size: 1
    .uses_dynamic_stack: false
    .vgpr_count:     120
    .vgpr_spill_count: 0
    .wavefront_size: 64
  - .agpr_count:     0
    .args:
      - .actual_access:  read_only
        .address_space:  global
        .offset:         0
        .size:           8
        .value_kind:     global_buffer
      - .actual_access:  read_only
        .address_space:  global
        .offset:         8
        .size:           8
        .value_kind:     global_buffer
      - .actual_access:  read_only
        .address_space:  global
        .offset:         16
        .size:           8
        .value_kind:     global_buffer
      - .actual_access:  read_only
        .address_space:  global
        .offset:         24
        .size:           8
        .value_kind:     global_buffer
      - .actual_access:  read_only
        .address_space:  global
        .offset:         32
        .size:           8
        .value_kind:     global_buffer
      - .actual_access:  write_only
        .address_space:  global
        .offset:         40
        .size:           8
        .value_kind:     global_buffer
      - .offset:         48
        .size:           4
        .value_kind:     by_value
      - .offset:         52
        .size:           4
        .value_kind:     by_value
      - .offset:         56
        .size:           4
        .value_kind:     by_value
      - .offset:         60
        .size:           4
        .value_kind:     by_value
      - .offset:         64
        .size:           4
        .value_kind:     by_value
      - .offset:         68
        .size:           4
        .value_kind:     by_value
      - .offset:         72
        .size:           4
        .value_kind:     by_value
      - .offset:         76
        .size:           4
        .value_kind:     by_value
      - .offset:         80
        .size:           4
        .value_kind:     by_value
      - .offset:         84
        .size:           4
        .value_kind:     by_value
      - .offset:         88
        .size:           4
        .value_kind:     by_value
      - .offset:         92
        .size:           4
        .value_kind:     by_value
      - .offset:         96
        .size:           4
        .value_kind:     by_value
      - .offset:         100
        .size:           4
        .value_kind:     by_value
      - .offset:         104
        .size:           12
        .value_kind:     by_value
      - .offset:         116
        .size:           12
        .value_kind:     by_value
    .group_segment_fixed_size: 0
    .kernarg_segment_align: 8
    .kernarg_segment_size: 128
    .language:       OpenCL C
    .language_version:
      - 2
      - 0
    .max_flat_workgroup_size: 512
    .name:           _ZL13mul_mat_f_idsI15__hip_bfloat162Li64ELi13ELi8EEvPKT_PKfPKiS7_S7_Pfiiiiiiiiiiiiii15HIP_vector_typeIjLj3EESA_
    .private_segment_fixed_size: 0
    .sgpr_count:     106
    .sgpr_spill_count: 26
    .symbol:         _ZL13mul_mat_f_idsI15__hip_bfloat162Li64ELi13ELi8EEvPKT_PKfPKiS7_S7_Pfiiiiiiiiiiiiii15HIP_vector_typeIjLj3EESA_.kd
    .uniform_work_group_size: 1
    .uses_dynamic_stack: false
    .vgpr_count:     119
    .vgpr_spill_count: 0
    .wavefront_size: 64
  - .agpr_count:     0
    .args:
      - .actual_access:  read_only
        .address_space:  global
        .offset:         0
        .size:           8
        .value_kind:     global_buffer
      - .actual_access:  read_only
        .address_space:  global
        .offset:         8
        .size:           8
        .value_kind:     global_buffer
      - .actual_access:  read_only
        .address_space:  global
        .offset:         16
        .size:           8
        .value_kind:     global_buffer
      - .actual_access:  write_only
        .address_space:  global
        .offset:         24
        .size:           8
        .value_kind:     global_buffer
      - .offset:         32
        .size:           4
        .value_kind:     by_value
      - .offset:         36
        .size:           4
        .value_kind:     by_value
      - .offset:         40
        .size:           4
        .value_kind:     by_value
      - .offset:         44
        .size:           4
        .value_kind:     by_value
      - .offset:         48
        .size:           4
        .value_kind:     by_value
      - .offset:         52
        .size:           4
        .value_kind:     by_value
      - .offset:         56
        .size:           4
        .value_kind:     by_value
      - .offset:         60
        .size:           4
        .value_kind:     by_value
      - .offset:         64
        .size:           4
        .value_kind:     by_value
      - .offset:         68
        .size:           4
        .value_kind:     by_value
      - .offset:         72
        .size:           4
        .value_kind:     by_value
      - .offset:         76
        .size:           4
        .value_kind:     by_value
      - .offset:         80
        .size:           4
        .value_kind:     by_value
      - .offset:         84
        .size:           4
        .value_kind:     by_value
      - .offset:         88
        .size:           4
        .value_kind:     by_value
      - .offset:         92
        .size:           4
        .value_kind:     by_value
      - .offset:         96
        .size:           4
        .value_kind:     hidden_block_count_x
      - .offset:         100
        .size:           4
        .value_kind:     hidden_block_count_y
      - .offset:         104
        .size:           4
        .value_kind:     hidden_block_count_z
      - .offset:         108
        .size:           2
        .value_kind:     hidden_group_size_x
      - .offset:         110
        .size:           2
        .value_kind:     hidden_group_size_y
      - .offset:         112
        .size:           2
        .value_kind:     hidden_group_size_z
      - .offset:         114
        .size:           2
        .value_kind:     hidden_remainder_x
      - .offset:         116
        .size:           2
        .value_kind:     hidden_remainder_y
      - .offset:         118
        .size:           2
        .value_kind:     hidden_remainder_z
      - .offset:         136
        .size:           8
        .value_kind:     hidden_global_offset_x
      - .offset:         144
        .size:           8
        .value_kind:     hidden_global_offset_y
      - .offset:         152
        .size:           8
        .value_kind:     hidden_global_offset_z
      - .offset:         160
        .size:           2
        .value_kind:     hidden_grid_dims
      - .offset:         216
        .size:           4
        .value_kind:     hidden_dynamic_lds_size
    .group_segment_fixed_size: 256
    .kernarg_segment_align: 8
    .kernarg_segment_size: 352
    .language:       OpenCL C
    .language_version:
      - 2
      - 0
    .max_flat_workgroup_size: 512
    .name:           _ZL9mul_mat_fI15__hip_bfloat162Li64ELi13ELi8ELb1EEvPKT_PKfPKiPfiiiiiiiiiiiiiiii
    .private_segment_fixed_size: 0
    .sgpr_count:     106
    .sgpr_spill_count: 23
    .symbol:         _ZL9mul_mat_fI15__hip_bfloat162Li64ELi13ELi8ELb1EEvPKT_PKfPKiPfiiiiiiiiiiiiiiii.kd
    .uniform_work_group_size: 1
    .uses_dynamic_stack: false
    .vgpr_count:     110
    .vgpr_spill_count: 0
    .wavefront_size: 64
  - .agpr_count:     0
    .args:
      - .actual_access:  read_only
        .address_space:  global
        .offset:         0
        .size:           8
        .value_kind:     global_buffer
      - .actual_access:  read_only
        .address_space:  global
        .offset:         8
        .size:           8
        .value_kind:     global_buffer
      - .actual_access:  read_only
        .address_space:  global
        .offset:         16
        .size:           8
        .value_kind:     global_buffer
      - .actual_access:  write_only
        .address_space:  global
        .offset:         24
        .size:           8
        .value_kind:     global_buffer
      - .offset:         32
        .size:           4
        .value_kind:     by_value
      - .offset:         36
        .size:           4
        .value_kind:     by_value
      - .offset:         40
        .size:           4
        .value_kind:     by_value
      - .offset:         44
        .size:           4
        .value_kind:     by_value
      - .offset:         48
        .size:           4
        .value_kind:     by_value
      - .offset:         52
        .size:           4
        .value_kind:     by_value
      - .offset:         56
        .size:           4
        .value_kind:     by_value
      - .offset:         60
        .size:           4
        .value_kind:     by_value
      - .offset:         64
        .size:           4
        .value_kind:     by_value
      - .offset:         68
        .size:           4
        .value_kind:     by_value
      - .offset:         72
        .size:           4
        .value_kind:     by_value
      - .offset:         76
        .size:           4
        .value_kind:     by_value
      - .offset:         80
        .size:           4
        .value_kind:     by_value
      - .offset:         84
        .size:           4
        .value_kind:     by_value
      - .offset:         88
        .size:           4
        .value_kind:     by_value
      - .offset:         92
        .size:           4
        .value_kind:     by_value
    .group_segment_fixed_size: 0
    .kernarg_segment_align: 8
    .kernarg_segment_size: 96
    .language:       OpenCL C
    .language_version:
      - 2
      - 0
    .max_flat_workgroup_size: 512
    .name:           _ZL9mul_mat_fI15__hip_bfloat162Li64ELi13ELi8ELb0EEvPKT_PKfPKiPfiiiiiiiiiiiiiiii
    .private_segment_fixed_size: 0
    .sgpr_count:     103
    .sgpr_spill_count: 0
    .symbol:         _ZL9mul_mat_fI15__hip_bfloat162Li64ELi13ELi8ELb0EEvPKT_PKfPKiPfiiiiiiiiiiiiiiii.kd
    .uniform_work_group_size: 1
    .uses_dynamic_stack: false
    .vgpr_count:     120
    .vgpr_spill_count: 0
    .wavefront_size: 64
amdhsa.target:   amdgcn-amd-amdhsa--gfx950
amdhsa.version:
  - 1
  - 2
...

	.end_amdgpu_metadata
